;; amdgpu-corpus repo=pytorch/pytorch kind=compiled arch=gfx1100 opt=O3
	.text
	.amdgcn_target "amdgcn-amd-amdhsa--gfx1100"
	.amdhsa_code_object_version 6
	.section	.text._ZN2at4cuda3cub15calc_block_sumsILi512ELi16ELb0EhhEEvPKT2_PT3_li,"axG",@progbits,_ZN2at4cuda3cub15calc_block_sumsILi512ELi16ELb0EhhEEvPKT2_PT3_li,comdat
	.protected	_ZN2at4cuda3cub15calc_block_sumsILi512ELi16ELb0EhhEEvPKT2_PT3_li ; -- Begin function _ZN2at4cuda3cub15calc_block_sumsILi512ELi16ELb0EhhEEvPKT2_PT3_li
	.globl	_ZN2at4cuda3cub15calc_block_sumsILi512ELi16ELb0EhhEEvPKT2_PT3_li
	.p2align	8
	.type	_ZN2at4cuda3cub15calc_block_sumsILi512ELi16ELb0EhhEEvPKT2_PT3_li,@function
_ZN2at4cuda3cub15calc_block_sumsILi512ELi16ELb0EhhEEvPKT2_PT3_li: ; @_ZN2at4cuda3cub15calc_block_sumsILi512ELi16ELb0EhhEEvPKT2_PT3_li
; %bb.0:
	s_clause 0x1
	s_load_b32 s12, s[0:1], 0x18
	s_load_b64 s[4:5], s[0:1], 0x10
	s_waitcnt lgkmcnt(0)
	s_lshl_b32 s2, s12, 13
	s_delay_alu instid0(SALU_CYCLE_1)
	s_ashr_i32 s3, s2, 31
	s_mul_hi_u32 s7, s2, s15
	s_mul_i32 s3, s3, s15
	s_mul_i32 s6, s2, s15
	s_add_i32 s7, s7, s3
	s_sub_u32 s8, s4, s6
	s_subb_u32 s9, s5, s7
	s_delay_alu instid0(SALU_CYCLE_1) | instskip(NEXT) | instid1(VALU_DEP_1)
	v_cmp_lt_i64_e64 s2, s[8:9], 1
	s_and_b32 vcc_lo, exec_lo, s2
	s_cbranch_vccnz .LBB0_54
; %bb.1:
	s_load_b128 s[0:3], s[0:1], 0x0
	s_cmp_gt_i32 s12, 0
	s_mov_b32 s13, 0
	s_cbranch_scc1 .LBB0_3
; %bb.2:
	s_mov_b32 s5, 0
	s_delay_alu instid0(SALU_CYCLE_1)
	v_mov_b32_e32 v9, s5
	s_and_not1_b32 vcc_lo, exec_lo, s13
	s_cbranch_vccz .LBB0_4
	s_branch .LBB0_52
.LBB0_3:
	s_mov_b32 s13, -1
                                        ; implicit-def: $sgpr5
	v_mov_b32_e32 v9, s5
.LBB0_4:
	s_waitcnt lgkmcnt(0)
	s_add_u32 s10, s0, s6
	s_mul_i32 s0, s15, s12
	s_addc_u32 s11, s1, s7
	v_dual_mov_b32 v2, 0 :: v_dual_mov_b32 v9, 0
	v_add_nc_u32_e32 v10, 0x200, v0
	v_or_b32_e32 v11, 0x400, v0
	v_add_nc_u32_e32 v12, 0x600, v0
	v_or_b32_e32 v13, 0x800, v0
	;; [unrolled: 2-line block ×7, first 2 shown]
	v_add_nc_u32_e32 v24, 0x1e00, v0
	v_lshrrev_b32_e32 v25, 5, v0
	s_lshl_b32 s1, s0, 13
	v_cmp_gt_u32_e64 s0, 32, v0
	v_mbcnt_lo_u32_b32 v26, -1, 0
	s_sub_i32 s1, s4, s1
	s_mov_b32 s4, 0
	s_mov_b32 s13, -1
	s_mov_b32 s14, 0
	s_branch .LBB0_6
.LBB0_5:                                ;   in Loop: Header=BB0_6 Depth=1
	s_add_u32 s10, s10, 0x2000
	s_addc_u32 s11, s11, 0
	s_add_u32 s8, s8, 0xffffe000
	s_addc_u32 s9, s9, -1
	s_add_i32 s14, s14, 1
	s_delay_alu instid0(SALU_CYCLE_1)
	s_cmp_lt_i32 s14, s12
	s_barrier
	s_cselect_b32 s13, -1, 0
	s_addk_i32 s1, 0xe000
	s_cmp_eq_u32 s12, s14
	buffer_gl0_inv
	s_cselect_b32 s5, -1, 0
	s_delay_alu instid0(SALU_CYCLE_1)
	s_and_not1_b32 vcc_lo, exec_lo, s5
	s_cbranch_vccz .LBB0_52
.LBB0_6:                                ; =>This Inner Loop Header: Depth=1
	v_cmp_gt_i64_e64 s5, 0x2000, s[8:9]
                                        ; implicit-def: $vgpr1
	s_delay_alu instid0(VALU_DEP_1)
	s_and_b32 vcc_lo, exec_lo, s5
	s_mov_b32 s5, -1
	s_cbranch_vccnz .LBB0_9
; %bb.7:                                ;   in Loop: Header=BB0_6 Depth=1
	s_and_b32 vcc_lo, exec_lo, s5
	s_cbranch_vccnz .LBB0_31
.LBB0_8:                                ;   in Loop: Header=BB0_6 Depth=1
	v_cmp_gt_i64_e64 s5, 0x2001, s[8:9]
	s_delay_alu instid0(VALU_DEP_2) | instskip(NEXT) | instid1(VALU_DEP_2)
	v_add_nc_u16 v9, v1, v9
	s_and_b32 vcc_lo, exec_lo, s5
	s_cbranch_vccz .LBB0_5
	s_branch .LBB0_36
.LBB0_9:                                ;   in Loop: Header=BB0_6 Depth=1
	v_add_co_u32 v7, s5, s10, v0
	s_delay_alu instid0(VALU_DEP_1)
	v_add_co_ci_u32_e64 v8, null, s11, 0, s5
	s_mov_b32 s5, s4
	s_mov_b32 s6, s4
	;; [unrolled: 1-line block ×3, first 2 shown]
	v_dual_mov_b32 v3, s4 :: v_dual_mov_b32 v4, s5
	v_dual_mov_b32 v5, s6 :: v_dual_mov_b32 v6, s7
	s_mov_b32 s5, exec_lo
	v_cmpx_gt_u32_e64 s1, v0
	s_cbranch_execnz .LBB0_37
; %bb.10:                               ;   in Loop: Header=BB0_6 Depth=1
	s_or_b32 exec_lo, exec_lo, s5
	s_delay_alu instid0(SALU_CYCLE_1)
	s_mov_b32 s5, exec_lo
	v_cmpx_gt_u32_e64 s1, v10
	s_cbranch_execnz .LBB0_38
.LBB0_11:                               ;   in Loop: Header=BB0_6 Depth=1
	s_or_b32 exec_lo, exec_lo, s5
	s_delay_alu instid0(SALU_CYCLE_1)
	s_mov_b32 s5, exec_lo
	v_cmpx_gt_u32_e64 s1, v11
	s_cbranch_execnz .LBB0_39
.LBB0_12:                               ;   in Loop: Header=BB0_6 Depth=1
	s_or_b32 exec_lo, exec_lo, s5
	s_delay_alu instid0(SALU_CYCLE_1)
	s_mov_b32 s5, exec_lo
	v_cmpx_gt_u32_e64 s1, v12
	s_cbranch_execnz .LBB0_40
.LBB0_13:                               ;   in Loop: Header=BB0_6 Depth=1
	s_or_b32 exec_lo, exec_lo, s5
	s_delay_alu instid0(SALU_CYCLE_1)
	s_mov_b32 s5, exec_lo
	v_cmpx_gt_u32_e64 s1, v13
	s_cbranch_execnz .LBB0_41
.LBB0_14:                               ;   in Loop: Header=BB0_6 Depth=1
	s_or_b32 exec_lo, exec_lo, s5
	s_delay_alu instid0(SALU_CYCLE_1)
	s_mov_b32 s5, exec_lo
	v_cmpx_gt_u32_e64 s1, v14
	s_cbranch_execnz .LBB0_42
.LBB0_15:                               ;   in Loop: Header=BB0_6 Depth=1
	s_or_b32 exec_lo, exec_lo, s5
	s_delay_alu instid0(SALU_CYCLE_1)
	s_mov_b32 s5, exec_lo
	v_cmpx_gt_u32_e64 s1, v15
	s_cbranch_execnz .LBB0_43
.LBB0_16:                               ;   in Loop: Header=BB0_6 Depth=1
	s_or_b32 exec_lo, exec_lo, s5
	s_delay_alu instid0(SALU_CYCLE_1)
	s_mov_b32 s5, exec_lo
	v_cmpx_gt_u32_e64 s1, v16
	s_cbranch_execnz .LBB0_44
.LBB0_17:                               ;   in Loop: Header=BB0_6 Depth=1
	s_or_b32 exec_lo, exec_lo, s5
	s_delay_alu instid0(SALU_CYCLE_1)
	s_mov_b32 s5, exec_lo
	v_cmpx_gt_u32_e64 s1, v17
	s_cbranch_execnz .LBB0_45
.LBB0_18:                               ;   in Loop: Header=BB0_6 Depth=1
	s_or_b32 exec_lo, exec_lo, s5
	s_delay_alu instid0(SALU_CYCLE_1)
	s_mov_b32 s5, exec_lo
	v_cmpx_gt_u32_e64 s1, v18
	s_cbranch_execnz .LBB0_46
.LBB0_19:                               ;   in Loop: Header=BB0_6 Depth=1
	s_or_b32 exec_lo, exec_lo, s5
	s_delay_alu instid0(SALU_CYCLE_1)
	s_mov_b32 s5, exec_lo
	v_cmpx_gt_u32_e64 s1, v19
	s_cbranch_execnz .LBB0_47
.LBB0_20:                               ;   in Loop: Header=BB0_6 Depth=1
	s_or_b32 exec_lo, exec_lo, s5
	s_delay_alu instid0(SALU_CYCLE_1)
	s_mov_b32 s5, exec_lo
	v_cmpx_gt_u32_e64 s1, v20
	s_cbranch_execnz .LBB0_48
.LBB0_21:                               ;   in Loop: Header=BB0_6 Depth=1
	s_or_b32 exec_lo, exec_lo, s5
	s_delay_alu instid0(SALU_CYCLE_1)
	s_mov_b32 s5, exec_lo
	v_cmpx_gt_u32_e64 s1, v21
	s_cbranch_execnz .LBB0_49
.LBB0_22:                               ;   in Loop: Header=BB0_6 Depth=1
	s_or_b32 exec_lo, exec_lo, s5
	s_delay_alu instid0(SALU_CYCLE_1)
	s_mov_b32 s5, exec_lo
	v_cmpx_gt_u32_e64 s1, v22
	s_cbranch_execnz .LBB0_50
.LBB0_23:                               ;   in Loop: Header=BB0_6 Depth=1
	s_or_b32 exec_lo, exec_lo, s5
	s_delay_alu instid0(SALU_CYCLE_1)
	s_mov_b32 s5, exec_lo
	v_cmpx_gt_u32_e64 s1, v23
	s_cbranch_execnz .LBB0_51
.LBB0_24:                               ;   in Loop: Header=BB0_6 Depth=1
	s_or_b32 exec_lo, exec_lo, s5
	s_delay_alu instid0(SALU_CYCLE_1)
	s_mov_b32 s5, exec_lo
	v_cmpx_gt_u32_e64 s1, v24
	s_cbranch_execz .LBB0_26
.LBB0_25:                               ;   in Loop: Header=BB0_6 Depth=1
	v_add_co_u32 v7, vcc_lo, 0x1000, v7
	v_add_co_ci_u32_e32 v8, vcc_lo, 0, v8, vcc_lo
	global_load_u8 v1, v[7:8], off offset:3584
	s_waitcnt vmcnt(0)
	v_perm_b32 v6, v6, v1, 0x60504
.LBB0_26:                               ;   in Loop: Header=BB0_6 Depth=1
	s_or_b32 exec_lo, exec_lo, s5
	v_lshrrev_b32_e32 v1, 8, v3
	v_lshrrev_b32_e32 v27, 16, v3
	v_lshrrev_b64 v[7:8], 24, v[3:4]
	s_mov_b32 s5, exec_lo
	s_delay_alu instid0(VALU_DEP_3) | instskip(SKIP_4) | instid1(VALU_DEP_1)
	v_add_nc_u16 v1, v1, v3
	v_lshrrev_b32_e32 v3, 8, v4
	s_barrier
	buffer_gl0_inv
	v_add_nc_u16 v1, v1, v27
	v_add_nc_u16 v1, v1, v7
	v_lshrrev_b32_e32 v7, 16, v4
	s_delay_alu instid0(VALU_DEP_2) | instskip(NEXT) | instid1(VALU_DEP_1)
	v_add_nc_u16 v1, v1, v4
	v_add_nc_u16 v1, v1, v3
	v_lshrrev_b32_e32 v3, 24, v4
	s_delay_alu instid0(VALU_DEP_2) | instskip(SKIP_1) | instid1(VALU_DEP_2)
	v_add_nc_u16 v1, v1, v7
	v_lshrrev_b32_e32 v7, 16, v5
	v_add_nc_u16 v1, v1, v3
	v_lshrrev_b32_e32 v3, 8, v5
	s_delay_alu instid0(VALU_DEP_2) | instskip(NEXT) | instid1(VALU_DEP_1)
	v_add_nc_u16 v1, v1, v5
	v_add_nc_u16 v1, v1, v3
	v_lshrrev_b64 v[3:4], 24, v[5:6]
	v_lshrrev_b32_e32 v4, 16, v6
	s_delay_alu instid0(VALU_DEP_3) | instskip(NEXT) | instid1(VALU_DEP_1)
	v_add_nc_u16 v1, v1, v7
	v_add_nc_u16 v1, v1, v3
	v_lshrrev_b32_e32 v3, 8, v6
	s_delay_alu instid0(VALU_DEP_2) | instskip(NEXT) | instid1(VALU_DEP_1)
	v_add_nc_u16 v1, v1, v6
	v_add_nc_u16 v1, v1, v3
	v_lshrrev_b32_e32 v3, 24, v6
	s_delay_alu instid0(VALU_DEP_2) | instskip(NEXT) | instid1(VALU_DEP_1)
	v_add_nc_u16 v1, v1, v4
	v_add_nc_u16 v1, v1, v3
	s_delay_alu instid0(VALU_DEP_1) | instskip(NEXT) | instid1(VALU_DEP_1)
	v_and_b32_e32 v3, 0xff, v1
	v_mov_b32_dpp v3, v3 quad_perm:[1,0,3,2] row_mask:0xf bank_mask:0xf
	s_delay_alu instid0(VALU_DEP_1) | instskip(NEXT) | instid1(VALU_DEP_1)
	v_add_nc_u16 v1, v1, v3
	v_and_b32_e32 v3, 0xff, v1
	s_delay_alu instid0(VALU_DEP_1) | instskip(NEXT) | instid1(VALU_DEP_1)
	v_mov_b32_dpp v3, v3 quad_perm:[2,3,0,1] row_mask:0xf bank_mask:0xf
	v_add_nc_u16 v1, v1, v3
	s_delay_alu instid0(VALU_DEP_1) | instskip(NEXT) | instid1(VALU_DEP_1)
	v_and_b32_e32 v3, 0xff, v1
	v_mov_b32_dpp v3, v3 row_ror:4 row_mask:0xf bank_mask:0xf
	s_delay_alu instid0(VALU_DEP_1) | instskip(NEXT) | instid1(VALU_DEP_1)
	v_add_nc_u16 v1, v1, v3
	v_and_b32_e32 v3, 0xff, v1
	s_delay_alu instid0(VALU_DEP_1) | instskip(NEXT) | instid1(VALU_DEP_1)
	v_mov_b32_dpp v3, v3 row_ror:8 row_mask:0xf bank_mask:0xf
	v_add_nc_u16 v1, v1, v3
	s_delay_alu instid0(VALU_DEP_1) | instskip(SKIP_3) | instid1(VALU_DEP_1)
	v_and_b32_e32 v3, 0xff, v1
	ds_swizzle_b32 v3, v3 offset:swizzle(BROADCAST,32,15)
	s_waitcnt lgkmcnt(0)
	v_add_nc_u16 v1, v1, v3
	v_and_b32_e32 v1, 0xff, v1
	ds_bpermute_b32 v1, v2, v1 offset:124
	v_cmpx_eq_u32_e32 0, v26
	s_cbranch_execz .LBB0_28
; %bb.27:                               ;   in Loop: Header=BB0_6 Depth=1
	s_waitcnt lgkmcnt(0)
	ds_store_b8 v25, v1
.LBB0_28:                               ;   in Loop: Header=BB0_6 Depth=1
	s_or_b32 exec_lo, exec_lo, s5
	s_waitcnt lgkmcnt(0)
	s_barrier
	buffer_gl0_inv
	s_and_saveexec_b32 s5, s0
	s_cbranch_execz .LBB0_30
; %bb.29:                               ;   in Loop: Header=BB0_6 Depth=1
	v_and_b32_e32 v1, 15, v26
	ds_load_u8 v3, v1
	v_cmp_ne_u32_e32 vcc_lo, 15, v1
	v_add_co_ci_u32_e32 v4, vcc_lo, 0, v26, vcc_lo
	v_cmp_gt_u32_e32 vcc_lo, 14, v1
	s_delay_alu instid0(VALU_DEP_2)
	v_lshlrev_b32_e32 v4, 2, v4
	s_waitcnt lgkmcnt(0)
	v_and_b32_e32 v5, 0xff, v3
	ds_bpermute_b32 v4, v4, v5
	v_cndmask_b32_e64 v5, 0, 1, vcc_lo
	v_cmp_gt_u32_e32 vcc_lo, 12, v1
	s_delay_alu instid0(VALU_DEP_2) | instskip(SKIP_2) | instid1(VALU_DEP_2)
	v_lshlrev_b32_e32 v5, 1, v5
	s_waitcnt lgkmcnt(0)
	v_add_nc_u16 v3, v3, v4
	v_add_lshl_u32 v4, v5, v26, 2
	s_delay_alu instid0(VALU_DEP_2) | instskip(SKIP_3) | instid1(VALU_DEP_2)
	v_and_b32_e32 v5, 0xff, v3
	ds_bpermute_b32 v4, v4, v5
	v_cndmask_b32_e64 v5, 0, 1, vcc_lo
	v_cmp_gt_u32_e32 vcc_lo, 8, v1
	v_lshlrev_b32_e32 v5, 2, v5
	v_cndmask_b32_e64 v1, 0, 1, vcc_lo
	s_delay_alu instid0(VALU_DEP_1) | instskip(NEXT) | instid1(VALU_DEP_1)
	v_lshlrev_b32_e32 v1, 3, v1
	v_add_lshl_u32 v1, v1, v26, 2
	s_waitcnt lgkmcnt(0)
	v_add_nc_u16 v3, v3, v4
	v_add_lshl_u32 v4, v5, v26, 2
	s_delay_alu instid0(VALU_DEP_2) | instskip(SKIP_3) | instid1(VALU_DEP_1)
	v_and_b32_e32 v5, 0xff, v3
	ds_bpermute_b32 v4, v4, v5
	s_waitcnt lgkmcnt(0)
	v_add_nc_u16 v3, v3, v4
	v_and_b32_e32 v4, 0xff, v3
	ds_bpermute_b32 v1, v1, v4
	s_waitcnt lgkmcnt(0)
	v_add_nc_u16 v1, v3, v1
.LBB0_30:                               ;   in Loop: Header=BB0_6 Depth=1
	s_or_b32 exec_lo, exec_lo, s5
	s_branch .LBB0_8
.LBB0_31:                               ;   in Loop: Header=BB0_6 Depth=1
	v_add_co_u32 v3, s5, s10, v0
	s_delay_alu instid0(VALU_DEP_1)
	v_add_co_ci_u32_e64 v4, null, s11, 0, s5
	s_mov_b32 s5, exec_lo
	s_clause 0x7
	global_load_u8 v1, v[3:4], off
	global_load_u8 v5, v[3:4], off offset:512
	global_load_u8 v6, v[3:4], off offset:1024
	;; [unrolled: 1-line block ×7, first 2 shown]
	v_add_co_u32 v3, vcc_lo, 0x1000, v3
	v_add_co_ci_u32_e32 v4, vcc_lo, 0, v4, vcc_lo
	s_clause 0x7
	global_load_u8 v30, v[3:4], off
	global_load_u8 v31, v[3:4], off offset:512
	global_load_u8 v32, v[3:4], off offset:1024
	;; [unrolled: 1-line block ×7, first 2 shown]
	s_waitcnt vmcnt(0)
	s_barrier
	buffer_gl0_inv
	v_add_nc_u16 v1, v5, v1
	s_delay_alu instid0(VALU_DEP_1) | instskip(NEXT) | instid1(VALU_DEP_1)
	v_add_nc_u16 v1, v1, v6
	v_add_nc_u16 v1, v1, v7
	s_delay_alu instid0(VALU_DEP_1) | instskip(NEXT) | instid1(VALU_DEP_1)
	v_add_nc_u16 v1, v1, v8
	v_add_nc_u16 v1, v1, v27
	s_delay_alu instid0(VALU_DEP_1) | instskip(NEXT) | instid1(VALU_DEP_1)
	v_add_nc_u16 v1, v1, v28
	v_add_nc_u16 v1, v1, v29
	s_delay_alu instid0(VALU_DEP_1) | instskip(NEXT) | instid1(VALU_DEP_1)
	v_add_nc_u16 v1, v1, v30
	v_add_nc_u16 v1, v1, v31
	s_delay_alu instid0(VALU_DEP_1) | instskip(NEXT) | instid1(VALU_DEP_1)
	v_add_nc_u16 v1, v1, v32
	v_add_nc_u16 v1, v1, v33
	s_delay_alu instid0(VALU_DEP_1) | instskip(NEXT) | instid1(VALU_DEP_1)
	v_add_nc_u16 v1, v1, v34
	v_add_nc_u16 v1, v1, v35
	s_delay_alu instid0(VALU_DEP_1) | instskip(NEXT) | instid1(VALU_DEP_1)
	v_add_nc_u16 v1, v1, v36
	v_add_nc_u16 v1, v1, v3
	s_delay_alu instid0(VALU_DEP_1) | instskip(NEXT) | instid1(VALU_DEP_1)
	v_and_b32_e32 v3, 0xff, v1
	v_mov_b32_dpp v3, v3 quad_perm:[1,0,3,2] row_mask:0xf bank_mask:0xf
	s_delay_alu instid0(VALU_DEP_1) | instskip(NEXT) | instid1(VALU_DEP_1)
	v_add_nc_u16 v1, v1, v3
	v_and_b32_e32 v3, 0xff, v1
	s_delay_alu instid0(VALU_DEP_1) | instskip(NEXT) | instid1(VALU_DEP_1)
	v_mov_b32_dpp v3, v3 quad_perm:[2,3,0,1] row_mask:0xf bank_mask:0xf
	v_add_nc_u16 v1, v1, v3
	s_delay_alu instid0(VALU_DEP_1) | instskip(NEXT) | instid1(VALU_DEP_1)
	v_and_b32_e32 v3, 0xff, v1
	v_mov_b32_dpp v3, v3 row_ror:4 row_mask:0xf bank_mask:0xf
	s_delay_alu instid0(VALU_DEP_1) | instskip(NEXT) | instid1(VALU_DEP_1)
	v_add_nc_u16 v1, v1, v3
	v_and_b32_e32 v3, 0xff, v1
	s_delay_alu instid0(VALU_DEP_1) | instskip(NEXT) | instid1(VALU_DEP_1)
	v_mov_b32_dpp v3, v3 row_ror:8 row_mask:0xf bank_mask:0xf
	v_add_nc_u16 v1, v1, v3
	s_delay_alu instid0(VALU_DEP_1) | instskip(SKIP_3) | instid1(VALU_DEP_1)
	v_and_b32_e32 v3, 0xff, v1
	ds_swizzle_b32 v3, v3 offset:swizzle(BROADCAST,32,15)
	s_waitcnt lgkmcnt(0)
	v_add_nc_u16 v1, v1, v3
	v_and_b32_e32 v1, 0xff, v1
	ds_bpermute_b32 v1, v2, v1 offset:124
	v_cmpx_eq_u32_e32 0, v26
	s_cbranch_execz .LBB0_33
; %bb.32:                               ;   in Loop: Header=BB0_6 Depth=1
	s_waitcnt lgkmcnt(0)
	ds_store_b8 v25, v1
.LBB0_33:                               ;   in Loop: Header=BB0_6 Depth=1
	s_or_b32 exec_lo, exec_lo, s5
	s_waitcnt lgkmcnt(0)
	s_barrier
	buffer_gl0_inv
	s_and_saveexec_b32 s5, s0
	s_cbranch_execz .LBB0_35
; %bb.34:                               ;   in Loop: Header=BB0_6 Depth=1
	v_and_b32_e32 v1, 15, v26
	ds_load_u8 v3, v1
	v_cmp_ne_u32_e32 vcc_lo, 15, v1
	v_add_co_ci_u32_e32 v4, vcc_lo, 0, v26, vcc_lo
	v_cmp_gt_u32_e32 vcc_lo, 14, v1
	s_delay_alu instid0(VALU_DEP_2)
	v_lshlrev_b32_e32 v4, 2, v4
	s_waitcnt lgkmcnt(0)
	v_and_b32_e32 v5, 0xff, v3
	ds_bpermute_b32 v4, v4, v5
	v_cndmask_b32_e64 v5, 0, 1, vcc_lo
	v_cmp_gt_u32_e32 vcc_lo, 12, v1
	s_delay_alu instid0(VALU_DEP_2) | instskip(SKIP_2) | instid1(VALU_DEP_2)
	v_lshlrev_b32_e32 v5, 1, v5
	s_waitcnt lgkmcnt(0)
	v_add_nc_u16 v3, v3, v4
	v_add_lshl_u32 v4, v5, v26, 2
	s_delay_alu instid0(VALU_DEP_2) | instskip(SKIP_3) | instid1(VALU_DEP_2)
	v_and_b32_e32 v5, 0xff, v3
	ds_bpermute_b32 v4, v4, v5
	v_cndmask_b32_e64 v5, 0, 1, vcc_lo
	v_cmp_gt_u32_e32 vcc_lo, 8, v1
	v_lshlrev_b32_e32 v5, 2, v5
	v_cndmask_b32_e64 v1, 0, 1, vcc_lo
	s_delay_alu instid0(VALU_DEP_1) | instskip(NEXT) | instid1(VALU_DEP_1)
	v_lshlrev_b32_e32 v1, 3, v1
	v_add_lshl_u32 v1, v1, v26, 2
	s_waitcnt lgkmcnt(0)
	v_add_nc_u16 v3, v3, v4
	v_add_lshl_u32 v4, v5, v26, 2
	s_delay_alu instid0(VALU_DEP_2) | instskip(SKIP_3) | instid1(VALU_DEP_1)
	v_and_b32_e32 v5, 0xff, v3
	ds_bpermute_b32 v4, v4, v5
	s_waitcnt lgkmcnt(0)
	v_add_nc_u16 v3, v3, v4
	v_and_b32_e32 v4, 0xff, v3
	ds_bpermute_b32 v1, v1, v4
	s_waitcnt lgkmcnt(0)
	v_add_nc_u16 v1, v3, v1
.LBB0_35:                               ;   in Loop: Header=BB0_6 Depth=1
	s_or_b32 exec_lo, exec_lo, s5
	v_cmp_gt_i64_e64 s5, 0x2001, s[8:9]
	s_delay_alu instid0(VALU_DEP_2) | instskip(NEXT) | instid1(VALU_DEP_2)
	v_add_nc_u16 v9, v1, v9
	s_and_b32 vcc_lo, exec_lo, s5
	s_cbranch_vccz .LBB0_5
.LBB0_36:
                                        ; implicit-def: $sgpr10_sgpr11
                                        ; implicit-def: $sgpr14
                                        ; implicit-def: $sgpr8_sgpr9
                                        ; implicit-def: $sgpr1
	s_branch .LBB0_52
.LBB0_37:                               ;   in Loop: Header=BB0_6 Depth=1
	global_load_u8 v1, v[7:8], off
	v_mov_b32_e32 v3, v2
	s_waitcnt vmcnt(0)
	v_dual_mov_b32 v4, v2 :: v_dual_and_b32 v1, 0xffff, v1
	s_delay_alu instid0(VALU_DEP_1) | instskip(NEXT) | instid1(VALU_DEP_3)
	v_mov_b32_e32 v6, v4
	v_dual_mov_b32 v5, v3 :: v_dual_mov_b32 v4, v2
	s_delay_alu instid0(VALU_DEP_3) | instskip(SKIP_1) | instid1(SALU_CYCLE_1)
	v_mov_b32_e32 v3, v1
	s_or_b32 exec_lo, exec_lo, s5
	s_mov_b32 s5, exec_lo
	v_cmpx_gt_u32_e64 s1, v10
	s_cbranch_execz .LBB0_11
.LBB0_38:                               ;   in Loop: Header=BB0_6 Depth=1
	global_load_u8 v1, v[7:8], off offset:512
	s_waitcnt vmcnt(0)
	v_perm_b32 v3, v3, v1, 0x7060004
	s_or_b32 exec_lo, exec_lo, s5
	s_delay_alu instid0(SALU_CYCLE_1)
	s_mov_b32 s5, exec_lo
	v_cmpx_gt_u32_e64 s1, v11
	s_cbranch_execz .LBB0_12
.LBB0_39:                               ;   in Loop: Header=BB0_6 Depth=1
	global_load_u8 v1, v[7:8], off offset:1024
	s_waitcnt vmcnt(0)
	v_perm_b32 v3, v3, v1, 0x7000504
	s_or_b32 exec_lo, exec_lo, s5
	s_delay_alu instid0(SALU_CYCLE_1)
	s_mov_b32 s5, exec_lo
	v_cmpx_gt_u32_e64 s1, v12
	s_cbranch_execz .LBB0_13
.LBB0_40:                               ;   in Loop: Header=BB0_6 Depth=1
	global_load_u8 v1, v[7:8], off offset:1536
	s_waitcnt vmcnt(0)
	v_perm_b32 v3, v3, v1, 0x60504
	s_or_b32 exec_lo, exec_lo, s5
	s_delay_alu instid0(SALU_CYCLE_1)
	s_mov_b32 s5, exec_lo
	v_cmpx_gt_u32_e64 s1, v13
	s_cbranch_execz .LBB0_14
.LBB0_41:                               ;   in Loop: Header=BB0_6 Depth=1
	global_load_u8 v1, v[7:8], off offset:2048
	s_waitcnt vmcnt(0)
	v_perm_b32 v4, v1, v4, 0x3020104
	s_or_b32 exec_lo, exec_lo, s5
	s_delay_alu instid0(SALU_CYCLE_1)
	s_mov_b32 s5, exec_lo
	v_cmpx_gt_u32_e64 s1, v14
	s_cbranch_execz .LBB0_15
.LBB0_42:                               ;   in Loop: Header=BB0_6 Depth=1
	global_load_u8 v1, v[7:8], off offset:2560
	s_waitcnt vmcnt(0)
	v_perm_b32 v4, v4, v1, 0x7060004
	s_or_b32 exec_lo, exec_lo, s5
	s_delay_alu instid0(SALU_CYCLE_1)
	s_mov_b32 s5, exec_lo
	v_cmpx_gt_u32_e64 s1, v15
	s_cbranch_execz .LBB0_16
.LBB0_43:                               ;   in Loop: Header=BB0_6 Depth=1
	global_load_u8 v1, v[7:8], off offset:3072
	s_waitcnt vmcnt(0)
	v_perm_b32 v4, v4, v1, 0x7000504
	s_or_b32 exec_lo, exec_lo, s5
	s_delay_alu instid0(SALU_CYCLE_1)
	s_mov_b32 s5, exec_lo
	v_cmpx_gt_u32_e64 s1, v16
	s_cbranch_execz .LBB0_17
.LBB0_44:                               ;   in Loop: Header=BB0_6 Depth=1
	global_load_u8 v1, v[7:8], off offset:3584
	s_waitcnt vmcnt(0)
	v_perm_b32 v4, v4, v1, 0x60504
	s_or_b32 exec_lo, exec_lo, s5
	s_delay_alu instid0(SALU_CYCLE_1)
	s_mov_b32 s5, exec_lo
	v_cmpx_gt_u32_e64 s1, v17
	s_cbranch_execz .LBB0_18
.LBB0_45:                               ;   in Loop: Header=BB0_6 Depth=1
	v_add_co_u32 v27, vcc_lo, 0x1000, v7
	v_add_co_ci_u32_e32 v28, vcc_lo, 0, v8, vcc_lo
	global_load_u8 v1, v[27:28], off
	s_waitcnt vmcnt(0)
	v_perm_b32 v5, v1, v5, 0x3020104
	s_or_b32 exec_lo, exec_lo, s5
	s_delay_alu instid0(SALU_CYCLE_1)
	s_mov_b32 s5, exec_lo
	v_cmpx_gt_u32_e64 s1, v18
	s_cbranch_execz .LBB0_19
.LBB0_46:                               ;   in Loop: Header=BB0_6 Depth=1
	v_add_co_u32 v27, vcc_lo, 0x1000, v7
	v_add_co_ci_u32_e32 v28, vcc_lo, 0, v8, vcc_lo
	global_load_u8 v1, v[27:28], off offset:512
	s_waitcnt vmcnt(0)
	v_perm_b32 v5, v5, v1, 0x7060004
	s_or_b32 exec_lo, exec_lo, s5
	s_delay_alu instid0(SALU_CYCLE_1)
	s_mov_b32 s5, exec_lo
	v_cmpx_gt_u32_e64 s1, v19
	s_cbranch_execz .LBB0_20
.LBB0_47:                               ;   in Loop: Header=BB0_6 Depth=1
	v_add_co_u32 v27, vcc_lo, 0x1000, v7
	v_add_co_ci_u32_e32 v28, vcc_lo, 0, v8, vcc_lo
	global_load_u8 v1, v[27:28], off offset:1024
	s_waitcnt vmcnt(0)
	v_perm_b32 v5, v5, v1, 0x7000504
	s_or_b32 exec_lo, exec_lo, s5
	s_delay_alu instid0(SALU_CYCLE_1)
	s_mov_b32 s5, exec_lo
	v_cmpx_gt_u32_e64 s1, v20
	s_cbranch_execz .LBB0_21
.LBB0_48:                               ;   in Loop: Header=BB0_6 Depth=1
	v_add_co_u32 v27, vcc_lo, 0x1000, v7
	v_add_co_ci_u32_e32 v28, vcc_lo, 0, v8, vcc_lo
	global_load_u8 v1, v[27:28], off offset:1536
	s_waitcnt vmcnt(0)
	v_perm_b32 v5, v5, v1, 0x60504
	s_or_b32 exec_lo, exec_lo, s5
	s_delay_alu instid0(SALU_CYCLE_1)
	s_mov_b32 s5, exec_lo
	v_cmpx_gt_u32_e64 s1, v21
	s_cbranch_execz .LBB0_22
.LBB0_49:                               ;   in Loop: Header=BB0_6 Depth=1
	v_add_co_u32 v27, vcc_lo, 0x1000, v7
	v_add_co_ci_u32_e32 v28, vcc_lo, 0, v8, vcc_lo
	global_load_u8 v1, v[27:28], off offset:2048
	s_waitcnt vmcnt(0)
	v_perm_b32 v6, v1, v6, 0x3020104
	s_or_b32 exec_lo, exec_lo, s5
	s_delay_alu instid0(SALU_CYCLE_1)
	s_mov_b32 s5, exec_lo
	v_cmpx_gt_u32_e64 s1, v22
	s_cbranch_execz .LBB0_23
.LBB0_50:                               ;   in Loop: Header=BB0_6 Depth=1
	v_add_co_u32 v27, vcc_lo, 0x1000, v7
	v_add_co_ci_u32_e32 v28, vcc_lo, 0, v8, vcc_lo
	global_load_u8 v1, v[27:28], off offset:2560
	s_waitcnt vmcnt(0)
	v_perm_b32 v6, v6, v1, 0x7060004
	s_or_b32 exec_lo, exec_lo, s5
	s_delay_alu instid0(SALU_CYCLE_1)
	s_mov_b32 s5, exec_lo
	v_cmpx_gt_u32_e64 s1, v23
	s_cbranch_execz .LBB0_24
.LBB0_51:                               ;   in Loop: Header=BB0_6 Depth=1
	v_add_co_u32 v27, vcc_lo, 0x1000, v7
	v_add_co_ci_u32_e32 v28, vcc_lo, 0, v8, vcc_lo
	global_load_u8 v1, v[27:28], off offset:3072
	s_waitcnt vmcnt(0)
	v_perm_b32 v6, v6, v1, 0x7000504
	s_or_b32 exec_lo, exec_lo, s5
	s_delay_alu instid0(SALU_CYCLE_1)
	s_mov_b32 s5, exec_lo
	v_cmpx_gt_u32_e64 s1, v24
	s_cbranch_execnz .LBB0_25
	s_branch .LBB0_26
.LBB0_52:
	v_cmp_eq_u32_e32 vcc_lo, 0, v0
	s_waitcnt lgkmcnt(0)
	s_xor_b32 s0, s13, -1
	s_delay_alu instid0(SALU_CYCLE_1) | instskip(NEXT) | instid1(SALU_CYCLE_1)
	s_and_b32 s0, vcc_lo, s0
	s_and_saveexec_b32 s1, s0
	s_cbranch_execz .LBB0_54
; %bb.53:
	v_mov_b32_e32 v0, 0
	s_add_u32 s0, s2, s15
	s_addc_u32 s1, s3, 0
	global_store_b8 v0, v9, s[0:1]
.LBB0_54:
	s_nop 0
	s_sendmsg sendmsg(MSG_DEALLOC_VGPRS)
	s_endpgm
	.section	.rodata,"a",@progbits
	.p2align	6, 0x0
	.amdhsa_kernel _ZN2at4cuda3cub15calc_block_sumsILi512ELi16ELb0EhhEEvPKT2_PT3_li
		.amdhsa_group_segment_fixed_size 16
		.amdhsa_private_segment_fixed_size 0
		.amdhsa_kernarg_size 28
		.amdhsa_user_sgpr_count 15
		.amdhsa_user_sgpr_dispatch_ptr 0
		.amdhsa_user_sgpr_queue_ptr 0
		.amdhsa_user_sgpr_kernarg_segment_ptr 1
		.amdhsa_user_sgpr_dispatch_id 0
		.amdhsa_user_sgpr_private_segment_size 0
		.amdhsa_wavefront_size32 1
		.amdhsa_uses_dynamic_stack 0
		.amdhsa_enable_private_segment 0
		.amdhsa_system_sgpr_workgroup_id_x 1
		.amdhsa_system_sgpr_workgroup_id_y 0
		.amdhsa_system_sgpr_workgroup_id_z 0
		.amdhsa_system_sgpr_workgroup_info 0
		.amdhsa_system_vgpr_workitem_id 0
		.amdhsa_next_free_vgpr 37
		.amdhsa_next_free_sgpr 16
		.amdhsa_reserve_vcc 1
		.amdhsa_float_round_mode_32 0
		.amdhsa_float_round_mode_16_64 0
		.amdhsa_float_denorm_mode_32 3
		.amdhsa_float_denorm_mode_16_64 3
		.amdhsa_dx10_clamp 1
		.amdhsa_ieee_mode 1
		.amdhsa_fp16_overflow 0
		.amdhsa_workgroup_processor_mode 1
		.amdhsa_memory_ordered 1
		.amdhsa_forward_progress 0
		.amdhsa_shared_vgpr_count 0
		.amdhsa_exception_fp_ieee_invalid_op 0
		.amdhsa_exception_fp_denorm_src 0
		.amdhsa_exception_fp_ieee_div_zero 0
		.amdhsa_exception_fp_ieee_overflow 0
		.amdhsa_exception_fp_ieee_underflow 0
		.amdhsa_exception_fp_ieee_inexact 0
		.amdhsa_exception_int_div_zero 0
	.end_amdhsa_kernel
	.section	.text._ZN2at4cuda3cub15calc_block_sumsILi512ELi16ELb0EhhEEvPKT2_PT3_li,"axG",@progbits,_ZN2at4cuda3cub15calc_block_sumsILi512ELi16ELb0EhhEEvPKT2_PT3_li,comdat
.Lfunc_end0:
	.size	_ZN2at4cuda3cub15calc_block_sumsILi512ELi16ELb0EhhEEvPKT2_PT3_li, .Lfunc_end0-_ZN2at4cuda3cub15calc_block_sumsILi512ELi16ELb0EhhEEvPKT2_PT3_li
                                        ; -- End function
	.section	.AMDGPU.csdata,"",@progbits
; Kernel info:
; codeLenInByte = 3360
; NumSgprs: 18
; NumVgprs: 37
; ScratchSize: 0
; MemoryBound: 0
; FloatMode: 240
; IeeeMode: 1
; LDSByteSize: 16 bytes/workgroup (compile time only)
; SGPRBlocks: 2
; VGPRBlocks: 4
; NumSGPRsForWavesPerEU: 18
; NumVGPRsForWavesPerEU: 37
; Occupancy: 16
; WaveLimiterHint : 1
; COMPUTE_PGM_RSRC2:SCRATCH_EN: 0
; COMPUTE_PGM_RSRC2:USER_SGPR: 15
; COMPUTE_PGM_RSRC2:TRAP_HANDLER: 0
; COMPUTE_PGM_RSRC2:TGID_X_EN: 1
; COMPUTE_PGM_RSRC2:TGID_Y_EN: 0
; COMPUTE_PGM_RSRC2:TGID_Z_EN: 0
; COMPUTE_PGM_RSRC2:TIDIG_COMP_CNT: 0
	.section	.text._ZN2at4cuda3cub17final_scan_kernelILi512ELi16EhEEvPKT1_PS3_S6_li,"axG",@progbits,_ZN2at4cuda3cub17final_scan_kernelILi512ELi16EhEEvPKT1_PS3_S6_li,comdat
	.protected	_ZN2at4cuda3cub17final_scan_kernelILi512ELi16EhEEvPKT1_PS3_S6_li ; -- Begin function _ZN2at4cuda3cub17final_scan_kernelILi512ELi16EhEEvPKT1_PS3_S6_li
	.globl	_ZN2at4cuda3cub17final_scan_kernelILi512ELi16EhEEvPKT1_PS3_S6_li
	.p2align	8
	.type	_ZN2at4cuda3cub17final_scan_kernelILi512ELi16EhEEvPKT1_PS3_S6_li,@function
_ZN2at4cuda3cub17final_scan_kernelILi512ELi16EhEEvPKT1_PS3_S6_li: ; @_ZN2at4cuda3cub17final_scan_kernelILi512ELi16EhEEvPKT1_PS3_S6_li
; %bb.0:
	s_clause 0x1
	s_load_b32 s26, s[0:1], 0x20
	s_load_b256 s[16:23], s[0:1], 0x0
	s_waitcnt lgkmcnt(0)
	s_lshl_b32 s2, s26, 13
	s_delay_alu instid0(SALU_CYCLE_1)
	s_ashr_i32 s3, s2, 31
	s_mul_hi_u32 s4, s2, s15
	s_mul_i32 s3, s3, s15
	s_mul_i32 s10, s2, s15
	s_add_i32 s11, s4, s3
	s_sub_u32 s24, s22, s10
	s_subb_u32 s25, s23, s11
	s_delay_alu instid0(SALU_CYCLE_1) | instskip(NEXT) | instid1(VALU_DEP_1)
	v_cmp_lt_i64_e64 s2, s[24:25], 1
	s_and_b32 vcc_lo, exec_lo, s2
	s_cbranch_vccnz .LBB1_98
; %bb.1:
	v_mov_b32_e32 v1, 0
	s_mov_b32 s2, exec_lo
	v_cmpx_gt_u32_e64 s15, v0
	s_cbranch_execz .LBB1_3
; %bb.2:
	global_load_u8 v1, v0, s[20:21]
.LBB1_3:
	s_or_b32 exec_lo, exec_lo, s2
	s_load_b32 s0, s[0:1], 0x34
	s_waitcnt lgkmcnt(0)
	s_and_b32 s1, s0, 0xffff
	s_mov_b32 s0, exec_lo
	v_add_nc_u32_e32 v2, s1, v0
	s_delay_alu instid0(VALU_DEP_1)
	v_cmpx_gt_u32_e64 s15, v2
	s_cbranch_execz .LBB1_7
; %bb.4:
	s_mov_b32 s2, 0
.LBB1_5:                                ; =>This Inner Loop Header: Depth=1
	global_load_u8 v3, v2, s[20:21]
	v_add_nc_u32_e32 v2, s1, v2
	s_delay_alu instid0(VALU_DEP_1)
	v_cmp_le_u32_e32 vcc_lo, s15, v2
	s_or_b32 s2, vcc_lo, s2
	s_waitcnt vmcnt(0)
	v_add_nc_u16 v1, v3, v1
	s_and_not1_b32 exec_lo, exec_lo, s2
	s_cbranch_execnz .LBB1_5
; %bb.6:
	s_or_b32 exec_lo, exec_lo, s2
.LBB1_7:
	s_delay_alu instid0(SALU_CYCLE_1) | instskip(SKIP_4) | instid1(VALU_DEP_3)
	s_or_b32 exec_lo, exec_lo, s0
	s_waitcnt vmcnt(0)
	v_and_b32_e32 v2, 0xff, v1
	v_mbcnt_lo_u32_b32 v13, -1, 0
	v_lshrrev_b32_e32 v14, 5, v0
	v_mov_b32_dpp v2, v2 quad_perm:[1,0,3,2] row_mask:0xf bank_mask:0xf
	s_delay_alu instid0(VALU_DEP_3) | instskip(NEXT) | instid1(VALU_DEP_2)
	v_cmp_eq_u32_e64 s0, 0, v13
	v_add_nc_u16 v1, v1, v2
	s_delay_alu instid0(VALU_DEP_1) | instskip(NEXT) | instid1(VALU_DEP_1)
	v_and_b32_e32 v2, 0xff, v1
	v_mov_b32_dpp v2, v2 quad_perm:[2,3,0,1] row_mask:0xf bank_mask:0xf
	s_delay_alu instid0(VALU_DEP_1) | instskip(NEXT) | instid1(VALU_DEP_1)
	v_add_nc_u16 v1, v1, v2
	v_and_b32_e32 v2, 0xff, v1
	s_delay_alu instid0(VALU_DEP_1) | instskip(NEXT) | instid1(VALU_DEP_1)
	v_mov_b32_dpp v2, v2 row_ror:4 row_mask:0xf bank_mask:0xf
	v_add_nc_u16 v1, v1, v2
	s_delay_alu instid0(VALU_DEP_1) | instskip(NEXT) | instid1(VALU_DEP_1)
	v_and_b32_e32 v2, 0xff, v1
	v_mov_b32_dpp v2, v2 row_ror:8 row_mask:0xf bank_mask:0xf
	s_delay_alu instid0(VALU_DEP_1) | instskip(NEXT) | instid1(VALU_DEP_1)
	v_add_nc_u16 v1, v1, v2
	v_and_b32_e32 v2, 0xff, v1
	ds_swizzle_b32 v2, v2 offset:swizzle(BROADCAST,32,15)
	s_waitcnt lgkmcnt(0)
	v_add_nc_u16 v1, v1, v2
	s_delay_alu instid0(VALU_DEP_1)
	v_dual_mov_b32 v2, 0 :: v_dual_and_b32 v1, 0xff, v1
	ds_bpermute_b32 v15, v2, v1 offset:124
	s_and_saveexec_b32 s1, s0
	s_cbranch_execz .LBB1_9
; %bb.8:
	s_waitcnt lgkmcnt(0)
	ds_store_b8 v14, v15
.LBB1_9:
	s_or_b32 exec_lo, exec_lo, s1
	v_cmp_lt_u32_e64 s1, 31, v0
	v_cmp_gt_u32_e64 s2, 32, v0
	v_and_b32_e32 v1, 15, v13
	s_waitcnt lgkmcnt(0)
	s_barrier
	buffer_gl0_inv
	s_and_saveexec_b32 s3, s2
	s_cbranch_execz .LBB1_11
; %bb.10:
	ds_load_u8 v2, v1
	v_cmp_ne_u32_e32 vcc_lo, 15, v1
	v_add_co_ci_u32_e32 v3, vcc_lo, 0, v13, vcc_lo
	v_cmp_gt_u32_e32 vcc_lo, 14, v1
	s_delay_alu instid0(VALU_DEP_2)
	v_lshlrev_b32_e32 v3, 2, v3
	s_waitcnt lgkmcnt(0)
	v_and_b32_e32 v4, 0xff, v2
	ds_bpermute_b32 v3, v3, v4
	v_cndmask_b32_e64 v4, 0, 1, vcc_lo
	v_cmp_gt_u32_e32 vcc_lo, 12, v1
	s_delay_alu instid0(VALU_DEP_2) | instskip(SKIP_2) | instid1(VALU_DEP_2)
	v_lshlrev_b32_e32 v4, 1, v4
	s_waitcnt lgkmcnt(0)
	v_add_nc_u16 v2, v2, v3
	v_add_lshl_u32 v3, v4, v13, 2
	s_delay_alu instid0(VALU_DEP_2) | instskip(SKIP_3) | instid1(VALU_DEP_2)
	v_and_b32_e32 v4, 0xff, v2
	ds_bpermute_b32 v3, v3, v4
	v_cndmask_b32_e64 v4, 0, 1, vcc_lo
	v_cmp_gt_u32_e32 vcc_lo, 8, v1
	v_lshlrev_b32_e32 v4, 2, v4
	s_waitcnt lgkmcnt(0)
	v_add_nc_u16 v2, v2, v3
	s_delay_alu instid0(VALU_DEP_2) | instskip(NEXT) | instid1(VALU_DEP_2)
	v_add_lshl_u32 v3, v4, v13, 2
	v_and_b32_e32 v4, 0xff, v2
	ds_bpermute_b32 v3, v3, v4
	v_cndmask_b32_e64 v4, 0, 1, vcc_lo
	s_waitcnt lgkmcnt(0)
	v_add_nc_u16 v2, v2, v3
	s_delay_alu instid0(VALU_DEP_2) | instskip(NEXT) | instid1(VALU_DEP_2)
	v_lshlrev_b32_e32 v3, 3, v4
	v_and_b32_e32 v4, 0xff, v2
	s_delay_alu instid0(VALU_DEP_2)
	v_add_lshl_u32 v3, v3, v13, 2
	ds_bpermute_b32 v3, v3, v4
	s_waitcnt lgkmcnt(0)
	v_add_nc_u16 v15, v2, v3
.LBB1_11:
	s_or_b32 exec_lo, exec_lo, s3
	s_cmp_lt_i32 s26, 1
	s_barrier
	buffer_gl0_inv
	s_cbranch_scc1 .LBB1_98
; %bb.12:
	v_cmp_eq_u32_e64 s3, 0, v1
	v_cmp_lt_u32_e64 s4, 1, v1
	v_cmp_lt_u32_e64 s5, 3, v1
	v_cmp_lt_u32_e64 s6, 7, v1
	v_add_nc_u32_e32 v1, -1, v13
	s_mul_i32 s15, s15, s26
	v_cmp_gt_u32_e64 s9, 16, v0
	v_add_nc_u32_e32 v49, -1, v14
	s_mov_b32 s12, 0
	v_cmp_gt_i32_e32 vcc_lo, 0, v1
	v_dual_cndmask_b32 v1, v1, v13 :: v_dual_lshlrev_b32 v2, 4, v0
	s_delay_alu instid0(VALU_DEP_1) | instskip(NEXT) | instid1(VALU_DEP_2)
	v_dual_mov_b32 v2, 0 :: v_dual_and_b32 v3, 0x3e00, v2
	v_lshlrev_b32_e32 v50, 2, v1
	s_delay_alu instid0(VALU_DEP_2) | instskip(SKIP_2) | instid1(VALU_DEP_3)
	v_or_b32_e32 v16, v13, v3
	v_lshrrev_b32_e32 v4, 5, v3
	v_add_co_u32 v3, s10, s10, v3
	v_or_b32_e32 v21, 0xa0, v16
	v_or_b32_e32 v23, 0xe0, v16
	v_or_b32_e32 v17, 32, v16
	v_or_b32_e32 v18, 64, v16
	v_or_b32_e32 v19, 0x60, v16
	v_lshrrev_b32_e32 v5, 5, v21
	v_lshrrev_b32_e32 v8, 5, v23
	v_or_b32_e32 v24, 0x100, v16
	v_or_b32_e32 v25, 0x120, v16
	v_add_nc_u32_e32 v32, v4, v16
	v_add_nc_u32_e32 v33, v4, v17
	v_add_nc_u32_e32 v34, v4, v18
	v_and_b32_e32 v5, 0x1f4, v5
	v_add_nc_u32_e32 v35, v4, v19
	v_and_b32_e32 v4, 0x1f4, v8
	v_and_b32_e32 v8, 0x3e0, v0
	v_or_b32_e32 v20, 0x80, v16
	v_add_nc_u32_e32 v37, v5, v21
	v_lshrrev_b32_e32 v5, 5, v25
	v_add_nc_u32_e32 v39, v4, v23
	v_lshrrev_b32_e32 v4, 5, v24
	v_or_b32_e32 v22, 0xc0, v16
	v_or_b32_e32 v28, 0x180, v16
	;; [unrolled: 1-line block ×3, first 2 shown]
	v_and_b32_e32 v5, 0x1f8, v5
	v_add_nc_u32_e32 v40, v4, v24
	v_or_b32_e32 v4, v13, v8
	v_or_b32_e32 v27, 0x160, v16
	v_lshrrev_b32_e32 v6, 5, v22
	v_lshrrev_b32_e32 v7, 5, v20
	v_add_nc_u32_e32 v41, v5, v25
	v_lshrrev_b32_e32 v5, 5, v29
	v_lshrrev_b32_e32 v9, 5, v28
	v_lshrrev_b16 v10, 1, v4
	v_or_b32_e32 v26, 0x140, v16
	v_and_b32_e32 v6, 0x1f4, v6
	v_add_nc_u32_e32 v36, v7, v20
	v_lshrrev_b32_e32 v7, 5, v27
	v_and_b32_e32 v5, 0x1fc, v5
	v_add_nc_u32_e32 v44, v9, v28
	v_and_b32_e32 v9, 0x1fc, v10
	v_or_b32_e32 v31, 0x1e0, v16
	v_add_nc_u32_e32 v38, v6, v22
	v_lshrrev_b32_e32 v6, 5, v26
	v_and_b32_e32 v7, 0x1f8, v7
	v_add_nc_u32_e32 v45, v5, v29
	v_min_u32_e32 v5, 0x1e0, v8
	v_lshl_add_u32 v48, v4, 4, v9
	v_and_b32_e32 v4, 16, v13
	v_or_b32_e32 v30, 0x1c0, v16
	v_and_b32_e32 v6, 0x1f8, v6
	v_add_nc_u32_e32 v43, v7, v27
	v_lshrrev_b32_e32 v7, 5, v31
	v_or_b32_e32 v5, 31, v5
	v_cmp_eq_u32_e64 s7, 0, v4
	v_add_co_ci_u32_e64 v4, null, s11, 0, s10
	v_add_nc_u32_e32 v42, v6, v26
	v_lshrrev_b32_e32 v6, 5, v30
	v_and_b32_e32 v7, 0x1fc, v7
	v_add_co_u32 v1, vcc_lo, v3, s18
	v_cmp_eq_u32_e64 s8, v5, v0
	v_add_co_ci_u32_e32 v5, vcc_lo, s19, v4, vcc_lo
	v_and_b32_e32 v6, 0x1fc, v6
	v_add_nc_u32_e32 v47, v7, v31
	v_add_co_u32 v7, vcc_lo, 0x1e0, v1
	s_delay_alu instid0(VALU_DEP_4)
	v_add_co_ci_u32_e32 v8, vcc_lo, 0, v5, vcc_lo
	v_add_co_u32 v9, vcc_lo, s16, v3
	v_add_nc_u32_e32 v46, v6, v30
	v_cmp_eq_u32_e64 s10, 0, v0
	v_add_co_ci_u32_e32 v10, vcc_lo, s17, v4, vcc_lo
	s_lshl_b32 s11, s15, 13
	s_delay_alu instid0(SALU_CYCLE_1)
	s_sub_i32 s16, s22, s11
	s_branch .LBB1_14
.LBB1_13:                               ;   in Loop: Header=BB1_14 Depth=1
	v_add_co_u32 v7, vcc_lo, 0x2000, v7
	v_add_co_ci_u32_e32 v8, vcc_lo, 0, v8, vcc_lo
	s_add_u32 s24, s24, 0xffffe000
	v_add_co_u32 v9, vcc_lo, 0x2000, v9
	s_addc_u32 s25, s25, -1
	s_add_i32 s26, s26, -1
	v_add_co_ci_u32_e32 v10, vcc_lo, 0, v10, vcc_lo
	s_addk_i32 s16, 0xe000
	s_cmp_eq_u32 s26, 0
	s_waitcnt lgkmcnt(0)
	s_waitcnt_vscnt null, 0x0
	s_cselect_b32 s11, -1, 0
	s_barrier
	buffer_gl0_inv
	s_and_not1_b32 vcc_lo, exec_lo, s11
	s_cbranch_vccz .LBB1_98
.LBB1_14:                               ; =>This Inner Loop Header: Depth=1
	v_cmp_lt_i64_e64 s11, 0x1fff, s[24:25]
	v_cmp_gt_i64_e64 s17, 0x2000, s[24:25]
	s_mov_b32 s13, -1
	s_delay_alu instid0(VALU_DEP_2)
	s_and_b32 vcc_lo, exec_lo, s11
	v_cmp_gt_u32_e64 s11, s16, v16
	s_cbranch_vccnz .LBB1_33
; %bb.15:                               ;   in Loop: Header=BB1_14 Depth=1
	s_mov_b32 s13, s12
	s_mov_b32 s14, s12
	;; [unrolled: 1-line block ×3, first 2 shown]
	v_add_co_u32 v11, vcc_lo, v9, v13
	v_dual_mov_b32 v3, s12 :: v_dual_mov_b32 v4, s13
	v_add_co_ci_u32_e32 v12, vcc_lo, 0, v10, vcc_lo
	v_dual_mov_b32 v5, s14 :: v_dual_mov_b32 v6, s15
	s_and_saveexec_b32 s13, s11
	s_cbranch_execnz .LBB1_83
; %bb.16:                               ;   in Loop: Header=BB1_14 Depth=1
	s_or_b32 exec_lo, exec_lo, s13
	s_delay_alu instid0(SALU_CYCLE_1)
	s_mov_b32 s11, exec_lo
	v_cmpx_gt_u32_e64 s16, v17
	s_cbranch_execnz .LBB1_84
.LBB1_17:                               ;   in Loop: Header=BB1_14 Depth=1
	s_or_b32 exec_lo, exec_lo, s11
	s_delay_alu instid0(SALU_CYCLE_1)
	s_mov_b32 s11, exec_lo
	v_cmpx_gt_u32_e64 s16, v18
	s_cbranch_execnz .LBB1_85
.LBB1_18:                               ;   in Loop: Header=BB1_14 Depth=1
	s_or_b32 exec_lo, exec_lo, s11
	s_delay_alu instid0(SALU_CYCLE_1)
	s_mov_b32 s11, exec_lo
	v_cmpx_gt_u32_e64 s16, v19
	s_cbranch_execnz .LBB1_86
.LBB1_19:                               ;   in Loop: Header=BB1_14 Depth=1
	s_or_b32 exec_lo, exec_lo, s11
	s_delay_alu instid0(SALU_CYCLE_1)
	s_mov_b32 s11, exec_lo
	v_cmpx_gt_u32_e64 s16, v20
	s_cbranch_execnz .LBB1_87
.LBB1_20:                               ;   in Loop: Header=BB1_14 Depth=1
	s_or_b32 exec_lo, exec_lo, s11
	s_delay_alu instid0(SALU_CYCLE_1)
	s_mov_b32 s11, exec_lo
	v_cmpx_gt_u32_e64 s16, v21
	s_cbranch_execnz .LBB1_88
.LBB1_21:                               ;   in Loop: Header=BB1_14 Depth=1
	s_or_b32 exec_lo, exec_lo, s11
	s_delay_alu instid0(SALU_CYCLE_1)
	s_mov_b32 s11, exec_lo
	v_cmpx_gt_u32_e64 s16, v22
	s_cbranch_execnz .LBB1_89
.LBB1_22:                               ;   in Loop: Header=BB1_14 Depth=1
	s_or_b32 exec_lo, exec_lo, s11
	s_delay_alu instid0(SALU_CYCLE_1)
	s_mov_b32 s11, exec_lo
	v_cmpx_gt_u32_e64 s16, v23
	s_cbranch_execnz .LBB1_90
.LBB1_23:                               ;   in Loop: Header=BB1_14 Depth=1
	s_or_b32 exec_lo, exec_lo, s11
	s_delay_alu instid0(SALU_CYCLE_1)
	s_mov_b32 s11, exec_lo
	v_cmpx_gt_u32_e64 s16, v24
	s_cbranch_execnz .LBB1_91
.LBB1_24:                               ;   in Loop: Header=BB1_14 Depth=1
	s_or_b32 exec_lo, exec_lo, s11
	s_delay_alu instid0(SALU_CYCLE_1)
	s_mov_b32 s11, exec_lo
	v_cmpx_gt_u32_e64 s16, v25
	s_cbranch_execnz .LBB1_92
.LBB1_25:                               ;   in Loop: Header=BB1_14 Depth=1
	s_or_b32 exec_lo, exec_lo, s11
	s_delay_alu instid0(SALU_CYCLE_1)
	s_mov_b32 s11, exec_lo
	v_cmpx_gt_u32_e64 s16, v26
	s_cbranch_execnz .LBB1_93
.LBB1_26:                               ;   in Loop: Header=BB1_14 Depth=1
	s_or_b32 exec_lo, exec_lo, s11
	s_delay_alu instid0(SALU_CYCLE_1)
	s_mov_b32 s11, exec_lo
	v_cmpx_gt_u32_e64 s16, v27
	s_cbranch_execnz .LBB1_94
.LBB1_27:                               ;   in Loop: Header=BB1_14 Depth=1
	s_or_b32 exec_lo, exec_lo, s11
	s_delay_alu instid0(SALU_CYCLE_1)
	s_mov_b32 s11, exec_lo
	v_cmpx_gt_u32_e64 s16, v28
	s_cbranch_execnz .LBB1_95
.LBB1_28:                               ;   in Loop: Header=BB1_14 Depth=1
	s_or_b32 exec_lo, exec_lo, s11
	s_delay_alu instid0(SALU_CYCLE_1)
	s_mov_b32 s11, exec_lo
	v_cmpx_gt_u32_e64 s16, v29
	s_cbranch_execnz .LBB1_96
.LBB1_29:                               ;   in Loop: Header=BB1_14 Depth=1
	s_or_b32 exec_lo, exec_lo, s11
	s_delay_alu instid0(SALU_CYCLE_1)
	s_mov_b32 s11, exec_lo
	v_cmpx_gt_u32_e64 s16, v30
	s_cbranch_execnz .LBB1_97
.LBB1_30:                               ;   in Loop: Header=BB1_14 Depth=1
	s_or_b32 exec_lo, exec_lo, s11
	s_delay_alu instid0(SALU_CYCLE_1)
	s_mov_b32 s11, exec_lo
	v_cmpx_gt_u32_e64 s16, v31
	s_cbranch_execz .LBB1_32
.LBB1_31:                               ;   in Loop: Header=BB1_14 Depth=1
	global_load_u8 v1, v[11:12], off offset:480
	s_waitcnt vmcnt(0)
	v_perm_b32 v6, v6, v1, 0x60504
.LBB1_32:                               ;   in Loop: Header=BB1_14 Depth=1
	s_or_b32 exec_lo, exec_lo, s11
	v_lshrrev_b32_e32 v1, 8, v3
	v_lshrrev_b32_e32 v11, 24, v3
	ds_store_b8 v32, v3
	v_lshrrev_b32_e32 v12, 8, v4
	s_mov_b32 s13, 0
	ds_store_b8 v33, v1
	ds_store_b8_d16_hi v34, v3
	ds_store_b8 v35, v11
	v_lshrrev_b32_e32 v1, 24, v4
	v_lshrrev_b32_e32 v3, 8, v5
	ds_store_b8 v36, v4
	ds_store_b8 v37, v12
	ds_store_b8_d16_hi v38, v4
	ds_store_b8 v39, v1
	ds_store_b8 v40, v5
	v_lshrrev_b32_e32 v1, 24, v5
	ds_store_b8 v41, v3
	v_lshrrev_b32_e32 v3, 8, v6
	v_lshrrev_b32_e32 v4, 24, v6
	ds_store_b8_d16_hi v42, v5
	ds_store_b8 v43, v1
	ds_store_b8 v44, v6
	;; [unrolled: 1-line block ×3, first 2 shown]
	ds_store_b8_d16_hi v46, v6
	ds_store_b8 v47, v4
	; wave barrier
.LBB1_33:                               ;   in Loop: Header=BB1_14 Depth=1
	s_and_b32 vcc_lo, exec_lo, s13
	s_cbranch_vccz .LBB1_35
; %bb.34:                               ;   in Loop: Header=BB1_14 Depth=1
	v_add_co_u32 v3, vcc_lo, v9, v13
	v_add_co_ci_u32_e32 v4, vcc_lo, 0, v10, vcc_lo
	s_clause 0xf
	global_load_u8 v1, v[3:4], off
	global_load_u8 v5, v[3:4], off offset:32
	global_load_u8 v6, v[3:4], off offset:64
	;; [unrolled: 1-line block ×15, first 2 shown]
	s_waitcnt vmcnt(15)
	ds_store_b8 v32, v1
	s_waitcnt vmcnt(14)
	ds_store_b8 v33, v5
	;; [unrolled: 2-line block ×16, first 2 shown]
	; wave barrier
.LBB1_35:                               ;   in Loop: Header=BB1_14 Depth=1
	ds_load_b128 v[3:6], v48
	s_waitcnt lgkmcnt(0)
	s_waitcnt_vscnt null, 0x0
	s_barrier
	buffer_gl0_inv
	v_lshrrev_b32_e32 v1, 8, v3
	v_lshrrev_b32_e32 v12, 16, v3
	;; [unrolled: 1-line block ×5, first 2 shown]
	v_add_nc_u16 v11, v1, v3
	v_lshrrev_b32_e32 v56, 24, v4
	v_lshrrev_b32_e32 v57, 8, v5
	;; [unrolled: 1-line block ×4, first 2 shown]
	v_add_nc_u16 v11, v11, v12
	s_delay_alu instid0(VALU_DEP_1) | instskip(NEXT) | instid1(VALU_DEP_1)
	v_add_nc_u16 v11, v11, v51
	v_add_nc_u16 v11, v11, v4
	s_delay_alu instid0(VALU_DEP_1) | instskip(NEXT) | instid1(VALU_DEP_1)
	v_add_nc_u16 v11, v11, v54
	;; [unrolled: 3-line block ×4, first 2 shown]
	v_add_nc_u16 v11, v11, v58
	s_delay_alu instid0(VALU_DEP_1) | instskip(SKIP_1) | instid1(VALU_DEP_2)
	v_add_nc_u16 v52, v11, v59
	v_lshrrev_b32_e32 v11, 8, v6
	v_add_nc_u16 v53, v52, v6
	v_lshrrev_b32_e32 v52, 16, v6
	s_delay_alu instid0(VALU_DEP_2) | instskip(SKIP_1) | instid1(VALU_DEP_2)
	v_add_nc_u16 v60, v53, v11
	v_lshrrev_b32_e32 v53, 24, v6
	v_add_nc_u16 v60, v60, v52
	s_delay_alu instid0(VALU_DEP_1) | instskip(NEXT) | instid1(VALU_DEP_1)
	v_add_nc_u16 v60, v60, v53
	v_and_b32_e32 v61, 0xff, v60
	s_delay_alu instid0(VALU_DEP_1) | instskip(NEXT) | instid1(VALU_DEP_1)
	v_mov_b32_dpp v61, v61 row_shr:1 row_mask:0xf bank_mask:0xf
	v_cndmask_b32_e64 v61, v61, 0, s3
	s_delay_alu instid0(VALU_DEP_1) | instskip(NEXT) | instid1(VALU_DEP_1)
	v_add_nc_u16 v60, v60, v61
	v_and_b32_e32 v61, 0xff, v60
	s_delay_alu instid0(VALU_DEP_1) | instskip(NEXT) | instid1(VALU_DEP_1)
	v_mov_b32_dpp v61, v61 row_shr:2 row_mask:0xf bank_mask:0xf
	v_cndmask_b32_e64 v61, 0, v61, s4
	;; [unrolled: 6-line block ×4, first 2 shown]
	s_delay_alu instid0(VALU_DEP_1) | instskip(NEXT) | instid1(VALU_DEP_1)
	v_add_nc_u16 v60, v60, v61
	v_and_b32_e32 v61, 0xff, v60
	ds_swizzle_b32 v61, v61 offset:swizzle(BROADCAST,32,15)
	s_waitcnt lgkmcnt(0)
	v_cndmask_b32_e64 v61, v61, 0, s7
	s_delay_alu instid0(VALU_DEP_1)
	v_add_nc_u16 v60, v60, v61
	s_and_saveexec_b32 s11, s8
	s_cbranch_execz .LBB1_37
; %bb.36:                               ;   in Loop: Header=BB1_14 Depth=1
	ds_store_b8 v14, v60
.LBB1_37:                               ;   in Loop: Header=BB1_14 Depth=1
	s_or_b32 exec_lo, exec_lo, s11
	s_waitcnt lgkmcnt(0)
	s_barrier
	buffer_gl0_inv
	s_and_saveexec_b32 s11, s9
	s_cbranch_execz .LBB1_39
; %bb.38:                               ;   in Loop: Header=BB1_14 Depth=1
	ds_load_u8 v61, v0
	s_waitcnt lgkmcnt(0)
	v_and_b32_e32 v62, 0xff, v61
	s_delay_alu instid0(VALU_DEP_1) | instskip(NEXT) | instid1(VALU_DEP_1)
	v_mov_b32_dpp v62, v62 row_shr:1 row_mask:0xf bank_mask:0xf
	v_cndmask_b32_e64 v62, v62, 0, s3
	s_delay_alu instid0(VALU_DEP_1) | instskip(NEXT) | instid1(VALU_DEP_1)
	v_add_nc_u16 v61, v62, v61
	v_and_b32_e32 v62, 0xff, v61
	s_delay_alu instid0(VALU_DEP_1) | instskip(NEXT) | instid1(VALU_DEP_1)
	v_mov_b32_dpp v62, v62 row_shr:2 row_mask:0xf bank_mask:0xf
	v_cndmask_b32_e64 v62, 0, v62, s4
	s_delay_alu instid0(VALU_DEP_1) | instskip(NEXT) | instid1(VALU_DEP_1)
	v_add_nc_u16 v61, v61, v62
	;; [unrolled: 6-line block ×3, first 2 shown]
	v_and_b32_e32 v62, 0xff, v61
	s_delay_alu instid0(VALU_DEP_1) | instskip(NEXT) | instid1(VALU_DEP_1)
	v_mov_b32_dpp v62, v62 row_shr:8 row_mask:0xf bank_mask:0xf
	v_cndmask_b32_e64 v62, 0, v62, s6
	s_delay_alu instid0(VALU_DEP_1)
	v_add_nc_u16 v61, v61, v62
	ds_store_b8 v0, v61
.LBB1_39:                               ;   in Loop: Header=BB1_14 Depth=1
	s_or_b32 exec_lo, exec_lo, s11
	s_waitcnt lgkmcnt(0)
	s_barrier
	buffer_gl0_inv
                                        ; implicit-def: $vgpr61
	s_and_saveexec_b32 s11, s1
	s_cbranch_execz .LBB1_41
; %bb.40:                               ;   in Loop: Header=BB1_14 Depth=1
	ds_load_u8 v61, v49
	s_waitcnt lgkmcnt(0)
	v_add_nc_u16 v60, v61, v60
.LBB1_41:                               ;   in Loop: Header=BB1_14 Depth=1
	s_or_b32 exec_lo, exec_lo, s11
	s_delay_alu instid0(VALU_DEP_1)
	v_and_b32_e32 v60, 0xff, v60
	ds_bpermute_b32 v60, v50, v60
	s_and_saveexec_b32 s11, s2
	s_cbranch_execz .LBB1_45
; %bb.42:                               ;   in Loop: Header=BB1_14 Depth=1
	ds_load_u8 v62, v2 offset:15
	s_and_saveexec_b32 s13, s10
	s_cbranch_execz .LBB1_44
; %bb.43:                               ;   in Loop: Header=BB1_14 Depth=1
	ds_store_b8 v2, v15 offset:15
.LBB1_44:                               ;   in Loop: Header=BB1_14 Depth=1
	s_or_b32 exec_lo, exec_lo, s13
	s_waitcnt lgkmcnt(0)
	v_add_nc_u16 v15, v62, v15
.LBB1_45:                               ;   in Loop: Header=BB1_14 Depth=1
	s_or_b32 exec_lo, exec_lo, s11
	s_waitcnt lgkmcnt(0)
	s_barrier
	buffer_gl0_inv
	ds_load_u8 v62, v2 offset:15
	v_cndmask_b32_e64 v60, v60, v61, s0
	s_and_b32 vcc_lo, exec_lo, s17
	s_waitcnt lgkmcnt(0)
	s_barrier
	buffer_gl0_inv
	v_cndmask_b32_e64 v60, v60, 0, s10
	s_delay_alu instid0(VALU_DEP_1) | instskip(NEXT) | instid1(VALU_DEP_1)
	v_add_nc_u16 v3, v60, v3
	v_add_nc_u16 v3, v3, v62
	s_delay_alu instid0(VALU_DEP_1) | instskip(SKIP_1) | instid1(VALU_DEP_2)
	v_add_nc_u16 v60, v3, v1
	v_and_b32_e32 v1, 0xff, v3
	v_add_nc_u16 v62, v60, v12
	s_delay_alu instid0(VALU_DEP_1) | instskip(NEXT) | instid1(VALU_DEP_1)
	v_add_nc_u16 v12, v62, v51
	v_add_nc_u16 v4, v12, v4
	s_delay_alu instid0(VALU_DEP_1) | instskip(NEXT) | instid1(VALU_DEP_1)
	v_add_nc_u16 v51, v4, v54
	v_add_nc_u16 v54, v51, v55
	v_lshlrev_b16 v51, 8, v51
	s_delay_alu instid0(VALU_DEP_2) | instskip(NEXT) | instid1(VALU_DEP_1)
	v_add_nc_u16 v55, v54, v56
	v_add_nc_u16 v56, v55, v5
	v_lshlrev_b16 v5, 8, v60
	s_delay_alu instid0(VALU_DEP_2) | instskip(NEXT) | instid1(VALU_DEP_1)
	;; [unrolled: 4-line block ×3, first 2 shown]
	v_add_nc_u16 v59, v58, v59
	v_add_nc_u16 v61, v59, v6
	v_lshlrev_b16 v6, 8, v12
	v_and_b32_e32 v12, 0xff, v54
	v_and_b32_e32 v54, 0xff, v58
	s_delay_alu instid0(VALU_DEP_4) | instskip(SKIP_2) | instid1(VALU_DEP_3)
	v_add_nc_u16 v3, v61, v11
	v_and_b32_e32 v11, 0xff, v4
	v_and_b32_e32 v58, 0xff, v61
	v_add_nc_u16 v4, v3, v52
	v_lshlrev_b16 v52, 8, v55
	v_and_b32_e32 v55, 0xff, v56
	v_lshlrev_b16 v56, 8, v59
	v_lshlrev_b16 v60, 8, v3
	v_add_nc_u16 v53, v4, v53
	v_and_b32_e32 v59, 0xff, v4
	s_delay_alu instid0(VALU_DEP_2)
	v_lshlrev_b16 v61, 8, v53
	v_and_b32_e32 v53, 0xff, v62
	s_cbranch_vccz .LBB1_66
; %bb.46:                               ;   in Loop: Header=BB1_14 Depth=1
	v_or_b32_e32 v3, v58, v60
	s_delay_alu instid0(VALU_DEP_3)
	v_or_b32_e32 v4, v59, v61
	v_or_b32_e32 v62, v55, v57
	;; [unrolled: 1-line block ×7, first 2 shown]
	v_and_b32_e32 v3, 0xffff, v3
	v_lshlrev_b32_e32 v4, 16, v4
	v_and_b32_e32 v62, 0xffff, v62
	v_lshlrev_b32_e32 v63, 16, v63
	;; [unrolled: 2-line block ×4, first 2 shown]
	v_or_b32_e32 v65, v3, v4
	v_or_b32_e32 v64, v62, v63
	;; [unrolled: 1-line block ×3, first 2 shown]
	v_add_co_u32 v3, vcc_lo, v7, v13
	v_or_b32_e32 v62, v66, v67
	v_add_co_ci_u32_e32 v4, vcc_lo, 0, v8, vcc_lo
	s_mov_b32 s11, exec_lo
	ds_store_b128 v48, v[62:65]
	; wave barrier
	ds_load_u8 v77, v32
	ds_load_u8 v76, v33
	;; [unrolled: 1-line block ×16, first 2 shown]
	v_cmpx_gt_u32_e64 s16, v16
	s_cbranch_execnz .LBB1_69
; %bb.47:                               ;   in Loop: Header=BB1_14 Depth=1
	s_or_b32 exec_lo, exec_lo, s11
	s_delay_alu instid0(SALU_CYCLE_1)
	s_mov_b32 s11, exec_lo
	v_cmpx_gt_u32_e64 s16, v17
	s_cbranch_execnz .LBB1_70
.LBB1_48:                               ;   in Loop: Header=BB1_14 Depth=1
	s_or_b32 exec_lo, exec_lo, s11
	s_delay_alu instid0(SALU_CYCLE_1)
	s_mov_b32 s11, exec_lo
	v_cmpx_gt_u32_e64 s16, v18
	s_cbranch_execnz .LBB1_71
.LBB1_49:                               ;   in Loop: Header=BB1_14 Depth=1
	s_or_b32 exec_lo, exec_lo, s11
	s_delay_alu instid0(SALU_CYCLE_1)
	s_mov_b32 s11, exec_lo
	v_cmpx_gt_u32_e64 s16, v19
	s_cbranch_execnz .LBB1_72
.LBB1_50:                               ;   in Loop: Header=BB1_14 Depth=1
	s_or_b32 exec_lo, exec_lo, s11
	s_delay_alu instid0(SALU_CYCLE_1)
	s_mov_b32 s11, exec_lo
	v_cmpx_gt_u32_e64 s16, v20
	s_cbranch_execnz .LBB1_73
.LBB1_51:                               ;   in Loop: Header=BB1_14 Depth=1
	s_or_b32 exec_lo, exec_lo, s11
	s_delay_alu instid0(SALU_CYCLE_1)
	s_mov_b32 s11, exec_lo
	v_cmpx_gt_u32_e64 s16, v21
	s_cbranch_execnz .LBB1_74
.LBB1_52:                               ;   in Loop: Header=BB1_14 Depth=1
	s_or_b32 exec_lo, exec_lo, s11
	s_delay_alu instid0(SALU_CYCLE_1)
	s_mov_b32 s11, exec_lo
	v_cmpx_gt_u32_e64 s16, v22
	s_cbranch_execnz .LBB1_75
.LBB1_53:                               ;   in Loop: Header=BB1_14 Depth=1
	s_or_b32 exec_lo, exec_lo, s11
	s_delay_alu instid0(SALU_CYCLE_1)
	s_mov_b32 s11, exec_lo
	v_cmpx_gt_u32_e64 s16, v23
	s_cbranch_execnz .LBB1_76
.LBB1_54:                               ;   in Loop: Header=BB1_14 Depth=1
	s_or_b32 exec_lo, exec_lo, s11
	s_delay_alu instid0(SALU_CYCLE_1)
	s_mov_b32 s11, exec_lo
	v_cmpx_gt_u32_e64 s16, v24
	s_cbranch_execnz .LBB1_77
.LBB1_55:                               ;   in Loop: Header=BB1_14 Depth=1
	s_or_b32 exec_lo, exec_lo, s11
	s_delay_alu instid0(SALU_CYCLE_1)
	s_mov_b32 s11, exec_lo
	v_cmpx_gt_u32_e64 s16, v25
	s_cbranch_execnz .LBB1_78
.LBB1_56:                               ;   in Loop: Header=BB1_14 Depth=1
	s_or_b32 exec_lo, exec_lo, s11
	s_delay_alu instid0(SALU_CYCLE_1)
	s_mov_b32 s11, exec_lo
	v_cmpx_gt_u32_e64 s16, v26
	s_cbranch_execnz .LBB1_79
.LBB1_57:                               ;   in Loop: Header=BB1_14 Depth=1
	s_or_b32 exec_lo, exec_lo, s11
	s_delay_alu instid0(SALU_CYCLE_1)
	s_mov_b32 s11, exec_lo
	v_cmpx_gt_u32_e64 s16, v27
	s_cbranch_execnz .LBB1_80
.LBB1_58:                               ;   in Loop: Header=BB1_14 Depth=1
	s_or_b32 exec_lo, exec_lo, s11
	s_delay_alu instid0(SALU_CYCLE_1)
	s_mov_b32 s11, exec_lo
	v_cmpx_gt_u32_e64 s16, v28
	s_cbranch_execnz .LBB1_81
.LBB1_59:                               ;   in Loop: Header=BB1_14 Depth=1
	s_or_b32 exec_lo, exec_lo, s11
	s_delay_alu instid0(SALU_CYCLE_1)
	s_mov_b32 s11, exec_lo
	v_cmpx_gt_u32_e64 s16, v29
	s_cbranch_execnz .LBB1_82
.LBB1_60:                               ;   in Loop: Header=BB1_14 Depth=1
	s_or_b32 exec_lo, exec_lo, s11
	s_delay_alu instid0(SALU_CYCLE_1)
	s_mov_b32 s11, exec_lo
	v_cmpx_gt_u32_e64 s16, v30
	s_cbranch_execz .LBB1_62
.LBB1_61:                               ;   in Loop: Header=BB1_14 Depth=1
	s_waitcnt lgkmcnt(1)
	global_store_b8 v[3:4], v63, off offset:-32
.LBB1_62:                               ;   in Loop: Header=BB1_14 Depth=1
	s_or_b32 exec_lo, exec_lo, s11
	v_cmp_gt_u32_e64 s11, s16, v31
	s_branch .LBB1_64
.LBB1_63:                               ;   in Loop: Header=BB1_14 Depth=1
	v_or_b32_e32 v3, v58, v60
	v_or_b32_e32 v4, v59, v61
	;; [unrolled: 1-line block ×8, first 2 shown]
	v_and_b32_e32 v3, 0xffff, v3
	v_lshlrev_b32_e32 v4, 16, v4
	v_and_b32_e32 v55, 0xffff, v55
	v_lshlrev_b32_e32 v51, 16, v54
	;; [unrolled: 2-line block ×4, first 2 shown]
	v_or_b32_e32 v6, v3, v4
	v_or_b32_e32 v5, v55, v51
	;; [unrolled: 1-line block ×3, first 2 shown]
	s_or_b32 s11, s11, exec_lo
	v_or_b32_e32 v3, v1, v52
	ds_store_b128 v48, v[3:6]
	; wave barrier
	ds_load_u8 v1, v32
	ds_load_u8 v5, v33
	;; [unrolled: 1-line block ×15, first 2 shown]
	s_waitcnt lgkmcnt(16)
	ds_load_u8 v62, v47
	v_add_co_u32 v3, vcc_lo, v7, v13
	v_add_co_ci_u32_e32 v4, vcc_lo, 0, v8, vcc_lo
	s_waitcnt lgkmcnt(15)
	global_store_b8 v[3:4], v1, off offset:-480
	s_waitcnt lgkmcnt(14)
	global_store_b8 v[3:4], v5, off offset:-448
	;; [unrolled: 2-line block ×15, first 2 shown]
.LBB1_64:                               ;   in Loop: Header=BB1_14 Depth=1
	s_delay_alu instid0(VALU_DEP_1)
	s_and_saveexec_b32 s13, s11
	s_cbranch_execnz .LBB1_67
; %bb.65:                               ;   in Loop: Header=BB1_14 Depth=1
	s_or_b32 exec_lo, exec_lo, s13
	v_cmp_gt_i64_e64 s11, 0x2001, s[24:25]
	s_delay_alu instid0(VALU_DEP_1)
	s_and_b32 vcc_lo, exec_lo, s11
	s_cbranch_vccz .LBB1_13
	s_branch .LBB1_68
.LBB1_66:                               ;   in Loop: Header=BB1_14 Depth=1
	s_mov_b32 s11, 0
                                        ; implicit-def: $vgpr62
	s_cbranch_execnz .LBB1_63
	s_branch .LBB1_64
.LBB1_67:                               ;   in Loop: Header=BB1_14 Depth=1
	v_add_co_u32 v3, vcc_lo, v7, v13
	v_add_co_ci_u32_e32 v4, vcc_lo, 0, v8, vcc_lo
	s_waitcnt lgkmcnt(0)
	global_store_b8 v[3:4], v62, off
	s_or_b32 exec_lo, exec_lo, s13
	v_cmp_gt_i64_e64 s11, 0x2001, s[24:25]
	s_delay_alu instid0(VALU_DEP_1)
	s_and_b32 vcc_lo, exec_lo, s11
	s_cbranch_vccz .LBB1_13
.LBB1_68:
                                        ; implicit-def: $vgpr15
                                        ; implicit-def: $sgpr24_sgpr25
                                        ; implicit-def: $sgpr26
                                        ; implicit-def: $vgpr7_vgpr8
                                        ; implicit-def: $vgpr9_vgpr10
                                        ; implicit-def: $sgpr16
	s_branch .LBB1_98
.LBB1_69:                               ;   in Loop: Header=BB1_14 Depth=1
	s_waitcnt lgkmcnt(15)
	global_store_b8 v[3:4], v77, off offset:-480
	s_or_b32 exec_lo, exec_lo, s11
	s_delay_alu instid0(SALU_CYCLE_1)
	s_mov_b32 s11, exec_lo
	v_cmpx_gt_u32_e64 s16, v17
	s_cbranch_execz .LBB1_48
.LBB1_70:                               ;   in Loop: Header=BB1_14 Depth=1
	s_waitcnt lgkmcnt(14)
	global_store_b8 v[3:4], v76, off offset:-448
	s_or_b32 exec_lo, exec_lo, s11
	s_delay_alu instid0(SALU_CYCLE_1)
	s_mov_b32 s11, exec_lo
	v_cmpx_gt_u32_e64 s16, v18
	s_cbranch_execz .LBB1_49
.LBB1_71:                               ;   in Loop: Header=BB1_14 Depth=1
	s_waitcnt lgkmcnt(13)
	global_store_b8 v[3:4], v75, off offset:-416
	s_or_b32 exec_lo, exec_lo, s11
	s_delay_alu instid0(SALU_CYCLE_1)
	s_mov_b32 s11, exec_lo
	v_cmpx_gt_u32_e64 s16, v19
	s_cbranch_execz .LBB1_50
.LBB1_72:                               ;   in Loop: Header=BB1_14 Depth=1
	s_waitcnt lgkmcnt(12)
	global_store_b8 v[3:4], v74, off offset:-384
	s_or_b32 exec_lo, exec_lo, s11
	s_delay_alu instid0(SALU_CYCLE_1)
	s_mov_b32 s11, exec_lo
	v_cmpx_gt_u32_e64 s16, v20
	s_cbranch_execz .LBB1_51
.LBB1_73:                               ;   in Loop: Header=BB1_14 Depth=1
	s_waitcnt lgkmcnt(11)
	global_store_b8 v[3:4], v73, off offset:-352
	s_or_b32 exec_lo, exec_lo, s11
	s_delay_alu instid0(SALU_CYCLE_1)
	s_mov_b32 s11, exec_lo
	v_cmpx_gt_u32_e64 s16, v21
	s_cbranch_execz .LBB1_52
.LBB1_74:                               ;   in Loop: Header=BB1_14 Depth=1
	s_waitcnt lgkmcnt(10)
	global_store_b8 v[3:4], v72, off offset:-320
	s_or_b32 exec_lo, exec_lo, s11
	s_delay_alu instid0(SALU_CYCLE_1)
	s_mov_b32 s11, exec_lo
	v_cmpx_gt_u32_e64 s16, v22
	s_cbranch_execz .LBB1_53
.LBB1_75:                               ;   in Loop: Header=BB1_14 Depth=1
	s_waitcnt lgkmcnt(9)
	global_store_b8 v[3:4], v71, off offset:-288
	s_or_b32 exec_lo, exec_lo, s11
	s_delay_alu instid0(SALU_CYCLE_1)
	s_mov_b32 s11, exec_lo
	v_cmpx_gt_u32_e64 s16, v23
	s_cbranch_execz .LBB1_54
.LBB1_76:                               ;   in Loop: Header=BB1_14 Depth=1
	s_waitcnt lgkmcnt(8)
	global_store_b8 v[3:4], v70, off offset:-256
	s_or_b32 exec_lo, exec_lo, s11
	s_delay_alu instid0(SALU_CYCLE_1)
	s_mov_b32 s11, exec_lo
	v_cmpx_gt_u32_e64 s16, v24
	s_cbranch_execz .LBB1_55
.LBB1_77:                               ;   in Loop: Header=BB1_14 Depth=1
	s_waitcnt lgkmcnt(7)
	global_store_b8 v[3:4], v69, off offset:-224
	s_or_b32 exec_lo, exec_lo, s11
	s_delay_alu instid0(SALU_CYCLE_1)
	s_mov_b32 s11, exec_lo
	v_cmpx_gt_u32_e64 s16, v25
	s_cbranch_execz .LBB1_56
.LBB1_78:                               ;   in Loop: Header=BB1_14 Depth=1
	s_waitcnt lgkmcnt(6)
	global_store_b8 v[3:4], v68, off offset:-192
	s_or_b32 exec_lo, exec_lo, s11
	s_delay_alu instid0(SALU_CYCLE_1)
	s_mov_b32 s11, exec_lo
	v_cmpx_gt_u32_e64 s16, v26
	s_cbranch_execz .LBB1_57
.LBB1_79:                               ;   in Loop: Header=BB1_14 Depth=1
	s_waitcnt lgkmcnt(5)
	global_store_b8 v[3:4], v67, off offset:-160
	s_or_b32 exec_lo, exec_lo, s11
	s_delay_alu instid0(SALU_CYCLE_1)
	s_mov_b32 s11, exec_lo
	v_cmpx_gt_u32_e64 s16, v27
	s_cbranch_execz .LBB1_58
.LBB1_80:                               ;   in Loop: Header=BB1_14 Depth=1
	s_waitcnt lgkmcnt(4)
	global_store_b8 v[3:4], v66, off offset:-128
	s_or_b32 exec_lo, exec_lo, s11
	s_delay_alu instid0(SALU_CYCLE_1)
	s_mov_b32 s11, exec_lo
	v_cmpx_gt_u32_e64 s16, v28
	s_cbranch_execz .LBB1_59
.LBB1_81:                               ;   in Loop: Header=BB1_14 Depth=1
	s_waitcnt lgkmcnt(3)
	global_store_b8 v[3:4], v65, off offset:-96
	s_or_b32 exec_lo, exec_lo, s11
	s_delay_alu instid0(SALU_CYCLE_1)
	s_mov_b32 s11, exec_lo
	v_cmpx_gt_u32_e64 s16, v29
	s_cbranch_execz .LBB1_60
.LBB1_82:                               ;   in Loop: Header=BB1_14 Depth=1
	s_waitcnt lgkmcnt(2)
	global_store_b8 v[3:4], v64, off offset:-64
	s_or_b32 exec_lo, exec_lo, s11
	s_delay_alu instid0(SALU_CYCLE_1)
	s_mov_b32 s11, exec_lo
	v_cmpx_gt_u32_e64 s16, v30
	s_cbranch_execnz .LBB1_61
	s_branch .LBB1_62
.LBB1_83:                               ;   in Loop: Header=BB1_14 Depth=1
	global_load_u8 v1, v[11:12], off
	v_mov_b32_e32 v3, v2
	s_waitcnt vmcnt(0)
	v_dual_mov_b32 v4, v2 :: v_dual_and_b32 v1, 0xffff, v1
	s_delay_alu instid0(VALU_DEP_1) | instskip(NEXT) | instid1(VALU_DEP_3)
	v_mov_b32_e32 v6, v4
	v_dual_mov_b32 v5, v3 :: v_dual_mov_b32 v4, v2
	s_delay_alu instid0(VALU_DEP_3) | instskip(SKIP_1) | instid1(SALU_CYCLE_1)
	v_mov_b32_e32 v3, v1
	s_or_b32 exec_lo, exec_lo, s13
	s_mov_b32 s11, exec_lo
	v_cmpx_gt_u32_e64 s16, v17
	s_cbranch_execz .LBB1_17
.LBB1_84:                               ;   in Loop: Header=BB1_14 Depth=1
	global_load_u8 v1, v[11:12], off offset:32
	s_waitcnt vmcnt(0)
	v_perm_b32 v3, v3, v1, 0x7060004
	s_or_b32 exec_lo, exec_lo, s11
	s_delay_alu instid0(SALU_CYCLE_1)
	s_mov_b32 s11, exec_lo
	v_cmpx_gt_u32_e64 s16, v18
	s_cbranch_execz .LBB1_18
.LBB1_85:                               ;   in Loop: Header=BB1_14 Depth=1
	global_load_u8 v1, v[11:12], off offset:64
	s_waitcnt vmcnt(0)
	v_perm_b32 v3, v3, v1, 0x7000504
	s_or_b32 exec_lo, exec_lo, s11
	s_delay_alu instid0(SALU_CYCLE_1)
	s_mov_b32 s11, exec_lo
	v_cmpx_gt_u32_e64 s16, v19
	s_cbranch_execz .LBB1_19
.LBB1_86:                               ;   in Loop: Header=BB1_14 Depth=1
	global_load_u8 v1, v[11:12], off offset:96
	s_waitcnt vmcnt(0)
	v_perm_b32 v3, v3, v1, 0x60504
	s_or_b32 exec_lo, exec_lo, s11
	s_delay_alu instid0(SALU_CYCLE_1)
	s_mov_b32 s11, exec_lo
	v_cmpx_gt_u32_e64 s16, v20
	s_cbranch_execz .LBB1_20
.LBB1_87:                               ;   in Loop: Header=BB1_14 Depth=1
	global_load_u8 v1, v[11:12], off offset:128
	s_waitcnt vmcnt(0)
	v_perm_b32 v4, v1, v4, 0x3020104
	s_or_b32 exec_lo, exec_lo, s11
	s_delay_alu instid0(SALU_CYCLE_1)
	s_mov_b32 s11, exec_lo
	v_cmpx_gt_u32_e64 s16, v21
	s_cbranch_execz .LBB1_21
.LBB1_88:                               ;   in Loop: Header=BB1_14 Depth=1
	global_load_u8 v1, v[11:12], off offset:160
	s_waitcnt vmcnt(0)
	v_perm_b32 v4, v4, v1, 0x7060004
	s_or_b32 exec_lo, exec_lo, s11
	s_delay_alu instid0(SALU_CYCLE_1)
	s_mov_b32 s11, exec_lo
	v_cmpx_gt_u32_e64 s16, v22
	s_cbranch_execz .LBB1_22
.LBB1_89:                               ;   in Loop: Header=BB1_14 Depth=1
	global_load_u8 v1, v[11:12], off offset:192
	s_waitcnt vmcnt(0)
	v_perm_b32 v4, v4, v1, 0x7000504
	s_or_b32 exec_lo, exec_lo, s11
	s_delay_alu instid0(SALU_CYCLE_1)
	s_mov_b32 s11, exec_lo
	v_cmpx_gt_u32_e64 s16, v23
	s_cbranch_execz .LBB1_23
.LBB1_90:                               ;   in Loop: Header=BB1_14 Depth=1
	global_load_u8 v1, v[11:12], off offset:224
	s_waitcnt vmcnt(0)
	v_perm_b32 v4, v4, v1, 0x60504
	s_or_b32 exec_lo, exec_lo, s11
	s_delay_alu instid0(SALU_CYCLE_1)
	s_mov_b32 s11, exec_lo
	v_cmpx_gt_u32_e64 s16, v24
	s_cbranch_execz .LBB1_24
.LBB1_91:                               ;   in Loop: Header=BB1_14 Depth=1
	global_load_u8 v1, v[11:12], off offset:256
	s_waitcnt vmcnt(0)
	v_perm_b32 v5, v1, v5, 0x3020104
	s_or_b32 exec_lo, exec_lo, s11
	s_delay_alu instid0(SALU_CYCLE_1)
	s_mov_b32 s11, exec_lo
	v_cmpx_gt_u32_e64 s16, v25
	s_cbranch_execz .LBB1_25
.LBB1_92:                               ;   in Loop: Header=BB1_14 Depth=1
	global_load_u8 v1, v[11:12], off offset:288
	s_waitcnt vmcnt(0)
	v_perm_b32 v5, v5, v1, 0x7060004
	s_or_b32 exec_lo, exec_lo, s11
	s_delay_alu instid0(SALU_CYCLE_1)
	s_mov_b32 s11, exec_lo
	v_cmpx_gt_u32_e64 s16, v26
	s_cbranch_execz .LBB1_26
.LBB1_93:                               ;   in Loop: Header=BB1_14 Depth=1
	global_load_u8 v1, v[11:12], off offset:320
	s_waitcnt vmcnt(0)
	v_perm_b32 v5, v5, v1, 0x7000504
	s_or_b32 exec_lo, exec_lo, s11
	s_delay_alu instid0(SALU_CYCLE_1)
	s_mov_b32 s11, exec_lo
	v_cmpx_gt_u32_e64 s16, v27
	s_cbranch_execz .LBB1_27
.LBB1_94:                               ;   in Loop: Header=BB1_14 Depth=1
	global_load_u8 v1, v[11:12], off offset:352
	s_waitcnt vmcnt(0)
	v_perm_b32 v5, v5, v1, 0x60504
	s_or_b32 exec_lo, exec_lo, s11
	s_delay_alu instid0(SALU_CYCLE_1)
	s_mov_b32 s11, exec_lo
	v_cmpx_gt_u32_e64 s16, v28
	s_cbranch_execz .LBB1_28
.LBB1_95:                               ;   in Loop: Header=BB1_14 Depth=1
	global_load_u8 v1, v[11:12], off offset:384
	s_waitcnt vmcnt(0)
	v_perm_b32 v6, v1, v6, 0x3020104
	s_or_b32 exec_lo, exec_lo, s11
	s_delay_alu instid0(SALU_CYCLE_1)
	s_mov_b32 s11, exec_lo
	v_cmpx_gt_u32_e64 s16, v29
	s_cbranch_execz .LBB1_29
.LBB1_96:                               ;   in Loop: Header=BB1_14 Depth=1
	global_load_u8 v1, v[11:12], off offset:416
	s_waitcnt vmcnt(0)
	v_perm_b32 v6, v6, v1, 0x7060004
	s_or_b32 exec_lo, exec_lo, s11
	s_delay_alu instid0(SALU_CYCLE_1)
	s_mov_b32 s11, exec_lo
	v_cmpx_gt_u32_e64 s16, v30
	s_cbranch_execz .LBB1_30
.LBB1_97:                               ;   in Loop: Header=BB1_14 Depth=1
	global_load_u8 v1, v[11:12], off offset:448
	s_waitcnt vmcnt(0)
	v_perm_b32 v6, v6, v1, 0x7000504
	s_or_b32 exec_lo, exec_lo, s11
	s_delay_alu instid0(SALU_CYCLE_1)
	s_mov_b32 s11, exec_lo
	v_cmpx_gt_u32_e64 s16, v31
	s_cbranch_execnz .LBB1_31
	s_branch .LBB1_32
.LBB1_98:
	s_nop 0
	s_sendmsg sendmsg(MSG_DEALLOC_VGPRS)
	s_endpgm
	.section	.rodata,"a",@progbits
	.p2align	6, 0x0
	.amdhsa_kernel _ZN2at4cuda3cub17final_scan_kernelILi512ELi16EhEEvPKT1_PS3_S6_li
		.amdhsa_group_segment_fixed_size 8448
		.amdhsa_private_segment_fixed_size 0
		.amdhsa_kernarg_size 296
		.amdhsa_user_sgpr_count 15
		.amdhsa_user_sgpr_dispatch_ptr 0
		.amdhsa_user_sgpr_queue_ptr 0
		.amdhsa_user_sgpr_kernarg_segment_ptr 1
		.amdhsa_user_sgpr_dispatch_id 0
		.amdhsa_user_sgpr_private_segment_size 0
		.amdhsa_wavefront_size32 1
		.amdhsa_uses_dynamic_stack 0
		.amdhsa_enable_private_segment 0
		.amdhsa_system_sgpr_workgroup_id_x 1
		.amdhsa_system_sgpr_workgroup_id_y 0
		.amdhsa_system_sgpr_workgroup_id_z 0
		.amdhsa_system_sgpr_workgroup_info 0
		.amdhsa_system_vgpr_workitem_id 0
		.amdhsa_next_free_vgpr 78
		.amdhsa_next_free_sgpr 27
		.amdhsa_reserve_vcc 1
		.amdhsa_float_round_mode_32 0
		.amdhsa_float_round_mode_16_64 0
		.amdhsa_float_denorm_mode_32 3
		.amdhsa_float_denorm_mode_16_64 3
		.amdhsa_dx10_clamp 1
		.amdhsa_ieee_mode 1
		.amdhsa_fp16_overflow 0
		.amdhsa_workgroup_processor_mode 1
		.amdhsa_memory_ordered 1
		.amdhsa_forward_progress 0
		.amdhsa_shared_vgpr_count 0
		.amdhsa_exception_fp_ieee_invalid_op 0
		.amdhsa_exception_fp_denorm_src 0
		.amdhsa_exception_fp_ieee_div_zero 0
		.amdhsa_exception_fp_ieee_overflow 0
		.amdhsa_exception_fp_ieee_underflow 0
		.amdhsa_exception_fp_ieee_inexact 0
		.amdhsa_exception_int_div_zero 0
	.end_amdhsa_kernel
	.section	.text._ZN2at4cuda3cub17final_scan_kernelILi512ELi16EhEEvPKT1_PS3_S6_li,"axG",@progbits,_ZN2at4cuda3cub17final_scan_kernelILi512ELi16EhEEvPKT1_PS3_S6_li,comdat
.Lfunc_end1:
	.size	_ZN2at4cuda3cub17final_scan_kernelILi512ELi16EhEEvPKT1_PS3_S6_li, .Lfunc_end1-_ZN2at4cuda3cub17final_scan_kernelILi512ELi16EhEEvPKT1_PS3_S6_li
                                        ; -- End function
	.section	.AMDGPU.csdata,"",@progbits
; Kernel info:
; codeLenInByte = 5940
; NumSgprs: 29
; NumVgprs: 78
; ScratchSize: 0
; MemoryBound: 0
; FloatMode: 240
; IeeeMode: 1
; LDSByteSize: 8448 bytes/workgroup (compile time only)
; SGPRBlocks: 3
; VGPRBlocks: 9
; NumSGPRsForWavesPerEU: 29
; NumVGPRsForWavesPerEU: 78
; Occupancy: 16
; WaveLimiterHint : 0
; COMPUTE_PGM_RSRC2:SCRATCH_EN: 0
; COMPUTE_PGM_RSRC2:USER_SGPR: 15
; COMPUTE_PGM_RSRC2:TRAP_HANDLER: 0
; COMPUTE_PGM_RSRC2:TGID_X_EN: 1
; COMPUTE_PGM_RSRC2:TGID_Y_EN: 0
; COMPUTE_PGM_RSRC2:TGID_Z_EN: 0
; COMPUTE_PGM_RSRC2:TIDIG_COMP_CNT: 0
	.section	.text._ZN7rocprim17ROCPRIM_304000_NS6detail31init_lookback_scan_state_kernelINS1_19lookback_scan_stateIhLb1ELb1EEEEEvT_jjPNS5_10value_typeE,"axG",@progbits,_ZN7rocprim17ROCPRIM_304000_NS6detail31init_lookback_scan_state_kernelINS1_19lookback_scan_stateIhLb1ELb1EEEEEvT_jjPNS5_10value_typeE,comdat
	.protected	_ZN7rocprim17ROCPRIM_304000_NS6detail31init_lookback_scan_state_kernelINS1_19lookback_scan_stateIhLb1ELb1EEEEEvT_jjPNS5_10value_typeE ; -- Begin function _ZN7rocprim17ROCPRIM_304000_NS6detail31init_lookback_scan_state_kernelINS1_19lookback_scan_stateIhLb1ELb1EEEEEvT_jjPNS5_10value_typeE
	.globl	_ZN7rocprim17ROCPRIM_304000_NS6detail31init_lookback_scan_state_kernelINS1_19lookback_scan_stateIhLb1ELb1EEEEEvT_jjPNS5_10value_typeE
	.p2align	8
	.type	_ZN7rocprim17ROCPRIM_304000_NS6detail31init_lookback_scan_state_kernelINS1_19lookback_scan_stateIhLb1ELb1EEEEEvT_jjPNS5_10value_typeE,@function
_ZN7rocprim17ROCPRIM_304000_NS6detail31init_lookback_scan_state_kernelINS1_19lookback_scan_stateIhLb1ELb1EEEEEvT_jjPNS5_10value_typeE: ; @_ZN7rocprim17ROCPRIM_304000_NS6detail31init_lookback_scan_state_kernelINS1_19lookback_scan_stateIhLb1ELb1EEEEEvT_jjPNS5_10value_typeE
; %bb.0:
	s_clause 0x2
	s_load_b32 s6, s[0:1], 0x24
	s_load_b64 s[4:5], s[0:1], 0x10
	s_load_b128 s[0:3], s[0:1], 0x0
	s_waitcnt lgkmcnt(0)
	s_and_b32 s6, s6, 0xffff
	s_cmp_eq_u64 s[4:5], 0
	v_mad_u64_u32 v[1:2], null, s15, s6, v[0:1]
	s_cbranch_scc1 .LBB2_8
; %bb.1:
	s_cmp_lt_u32 s3, s2
	s_mov_b32 s7, 0
	s_cselect_b32 s6, s3, 0
	s_mov_b32 s8, exec_lo
	s_delay_alu instid0(VALU_DEP_1)
	v_cmpx_eq_u32_e64 s6, v1
	s_cbranch_execz .LBB2_7
; %bb.2:
	s_add_i32 s6, s3, 32
	v_mov_b32_e32 v0, 0
	s_lshl_b64 s[6:7], s[6:7], 1
	s_mov_b32 s3, 1
	s_add_u32 s6, s0, s6
	s_addc_u32 s7, s1, s7
	global_load_u16 v2, v0, s[6:7] glc
	s_waitcnt vmcnt(0)
	v_cmp_lt_u16_e32 vcc_lo, 0xff, v2
	s_cbranch_vccnz .LBB2_6
.LBB2_3:                                ; =>This Loop Header: Depth=1
                                        ;     Child Loop BB2_4 Depth 2
	s_max_u32 s9, s3, 1
.LBB2_4:                                ;   Parent Loop BB2_3 Depth=1
                                        ; =>  This Inner Loop Header: Depth=2
	s_delay_alu instid0(SALU_CYCLE_1)
	s_add_i32 s9, s9, -1
	s_sleep 1
	s_cmp_eq_u32 s9, 0
	s_cbranch_scc0 .LBB2_4
; %bb.5:                                ;   in Loop: Header=BB2_3 Depth=1
	global_load_u16 v2, v0, s[6:7] glc
	s_cmp_lt_u32 s3, 32
	s_cselect_b32 s9, -1, 0
	s_delay_alu instid0(SALU_CYCLE_1)
	s_cmp_lg_u32 s9, 0
	s_addc_u32 s3, s3, 0
	s_waitcnt vmcnt(0)
	v_cmp_lt_u16_e32 vcc_lo, 0xff, v2
	s_cbranch_vccz .LBB2_3
.LBB2_6:
	v_mov_b32_e32 v0, 0
	global_store_b8 v0, v2, s[4:5]
.LBB2_7:
	s_or_b32 exec_lo, exec_lo, s8
.LBB2_8:
	s_delay_alu instid0(VALU_DEP_1)
	v_cmp_gt_u32_e32 vcc_lo, s2, v1
	s_and_saveexec_b32 s2, vcc_lo
	s_cbranch_execz .LBB2_10
; %bb.9:
	v_dual_mov_b32 v3, 0 :: v_dual_add_nc_u32 v2, 32, v1
	s_delay_alu instid0(VALU_DEP_1) | instskip(NEXT) | instid1(VALU_DEP_1)
	v_lshlrev_b64 v[4:5], 1, v[2:3]
	v_add_co_u32 v4, vcc_lo, s0, v4
	s_delay_alu instid0(VALU_DEP_2)
	v_add_co_ci_u32_e32 v5, vcc_lo, s1, v5, vcc_lo
	global_store_b16 v[4:5], v3, off
.LBB2_10:
	s_or_b32 exec_lo, exec_lo, s2
	s_delay_alu instid0(SALU_CYCLE_1)
	s_mov_b32 s2, exec_lo
	v_cmpx_gt_u32_e32 32, v1
	s_cbranch_execz .LBB2_12
; %bb.11:
	v_mov_b32_e32 v2, 0
	s_delay_alu instid0(VALU_DEP_1) | instskip(SKIP_1) | instid1(VALU_DEP_2)
	v_lshlrev_b64 v[0:1], 1, v[1:2]
	v_mov_b32_e32 v2, 0xffffff00
	v_add_co_u32 v0, vcc_lo, s0, v0
	s_delay_alu instid0(VALU_DEP_3)
	v_add_co_ci_u32_e32 v1, vcc_lo, s1, v1, vcc_lo
	global_store_b16 v[0:1], v2, off
.LBB2_12:
	s_nop 0
	s_sendmsg sendmsg(MSG_DEALLOC_VGPRS)
	s_endpgm
	.section	.rodata,"a",@progbits
	.p2align	6, 0x0
	.amdhsa_kernel _ZN7rocprim17ROCPRIM_304000_NS6detail31init_lookback_scan_state_kernelINS1_19lookback_scan_stateIhLb1ELb1EEEEEvT_jjPNS5_10value_typeE
		.amdhsa_group_segment_fixed_size 0
		.amdhsa_private_segment_fixed_size 0
		.amdhsa_kernarg_size 280
		.amdhsa_user_sgpr_count 15
		.amdhsa_user_sgpr_dispatch_ptr 0
		.amdhsa_user_sgpr_queue_ptr 0
		.amdhsa_user_sgpr_kernarg_segment_ptr 1
		.amdhsa_user_sgpr_dispatch_id 0
		.amdhsa_user_sgpr_private_segment_size 0
		.amdhsa_wavefront_size32 1
		.amdhsa_uses_dynamic_stack 0
		.amdhsa_enable_private_segment 0
		.amdhsa_system_sgpr_workgroup_id_x 1
		.amdhsa_system_sgpr_workgroup_id_y 0
		.amdhsa_system_sgpr_workgroup_id_z 0
		.amdhsa_system_sgpr_workgroup_info 0
		.amdhsa_system_vgpr_workitem_id 0
		.amdhsa_next_free_vgpr 6
		.amdhsa_next_free_sgpr 16
		.amdhsa_reserve_vcc 1
		.amdhsa_float_round_mode_32 0
		.amdhsa_float_round_mode_16_64 0
		.amdhsa_float_denorm_mode_32 3
		.amdhsa_float_denorm_mode_16_64 3
		.amdhsa_dx10_clamp 1
		.amdhsa_ieee_mode 1
		.amdhsa_fp16_overflow 0
		.amdhsa_workgroup_processor_mode 1
		.amdhsa_memory_ordered 1
		.amdhsa_forward_progress 0
		.amdhsa_shared_vgpr_count 0
		.amdhsa_exception_fp_ieee_invalid_op 0
		.amdhsa_exception_fp_denorm_src 0
		.amdhsa_exception_fp_ieee_div_zero 0
		.amdhsa_exception_fp_ieee_overflow 0
		.amdhsa_exception_fp_ieee_underflow 0
		.amdhsa_exception_fp_ieee_inexact 0
		.amdhsa_exception_int_div_zero 0
	.end_amdhsa_kernel
	.section	.text._ZN7rocprim17ROCPRIM_304000_NS6detail31init_lookback_scan_state_kernelINS1_19lookback_scan_stateIhLb1ELb1EEEEEvT_jjPNS5_10value_typeE,"axG",@progbits,_ZN7rocprim17ROCPRIM_304000_NS6detail31init_lookback_scan_state_kernelINS1_19lookback_scan_stateIhLb1ELb1EEEEEvT_jjPNS5_10value_typeE,comdat
.Lfunc_end2:
	.size	_ZN7rocprim17ROCPRIM_304000_NS6detail31init_lookback_scan_state_kernelINS1_19lookback_scan_stateIhLb1ELb1EEEEEvT_jjPNS5_10value_typeE, .Lfunc_end2-_ZN7rocprim17ROCPRIM_304000_NS6detail31init_lookback_scan_state_kernelINS1_19lookback_scan_stateIhLb1ELb1EEEEEvT_jjPNS5_10value_typeE
                                        ; -- End function
	.section	.AMDGPU.csdata,"",@progbits
; Kernel info:
; codeLenInByte = 360
; NumSgprs: 18
; NumVgprs: 6
; ScratchSize: 0
; MemoryBound: 0
; FloatMode: 240
; IeeeMode: 1
; LDSByteSize: 0 bytes/workgroup (compile time only)
; SGPRBlocks: 2
; VGPRBlocks: 0
; NumSGPRsForWavesPerEU: 18
; NumVGPRsForWavesPerEU: 6
; Occupancy: 16
; WaveLimiterHint : 0
; COMPUTE_PGM_RSRC2:SCRATCH_EN: 0
; COMPUTE_PGM_RSRC2:USER_SGPR: 15
; COMPUTE_PGM_RSRC2:TRAP_HANDLER: 0
; COMPUTE_PGM_RSRC2:TGID_X_EN: 1
; COMPUTE_PGM_RSRC2:TGID_Y_EN: 0
; COMPUTE_PGM_RSRC2:TGID_Z_EN: 0
; COMPUTE_PGM_RSRC2:TIDIG_COMP_CNT: 0
	.section	.text._ZN7rocprim17ROCPRIM_304000_NS6detail31init_lookback_scan_state_kernelINS1_19lookback_scan_stateIhLb0ELb1EEEEEvT_jjPNS5_10value_typeE,"axG",@progbits,_ZN7rocprim17ROCPRIM_304000_NS6detail31init_lookback_scan_state_kernelINS1_19lookback_scan_stateIhLb0ELb1EEEEEvT_jjPNS5_10value_typeE,comdat
	.protected	_ZN7rocprim17ROCPRIM_304000_NS6detail31init_lookback_scan_state_kernelINS1_19lookback_scan_stateIhLb0ELb1EEEEEvT_jjPNS5_10value_typeE ; -- Begin function _ZN7rocprim17ROCPRIM_304000_NS6detail31init_lookback_scan_state_kernelINS1_19lookback_scan_stateIhLb0ELb1EEEEEvT_jjPNS5_10value_typeE
	.globl	_ZN7rocprim17ROCPRIM_304000_NS6detail31init_lookback_scan_state_kernelINS1_19lookback_scan_stateIhLb0ELb1EEEEEvT_jjPNS5_10value_typeE
	.p2align	8
	.type	_ZN7rocprim17ROCPRIM_304000_NS6detail31init_lookback_scan_state_kernelINS1_19lookback_scan_stateIhLb0ELb1EEEEEvT_jjPNS5_10value_typeE,@function
_ZN7rocprim17ROCPRIM_304000_NS6detail31init_lookback_scan_state_kernelINS1_19lookback_scan_stateIhLb0ELb1EEEEEvT_jjPNS5_10value_typeE: ; @_ZN7rocprim17ROCPRIM_304000_NS6detail31init_lookback_scan_state_kernelINS1_19lookback_scan_stateIhLb0ELb1EEEEEvT_jjPNS5_10value_typeE
; %bb.0:
	s_clause 0x2
	s_load_b32 s6, s[0:1], 0x24
	s_load_b64 s[4:5], s[0:1], 0x10
	s_load_b128 s[0:3], s[0:1], 0x0
	s_waitcnt lgkmcnt(0)
	s_and_b32 s6, s6, 0xffff
	s_cmp_eq_u64 s[4:5], 0
	v_mad_u64_u32 v[1:2], null, s15, s6, v[0:1]
	s_cbranch_scc1 .LBB3_6
; %bb.1:
	s_cmp_lt_u32 s3, s2
	s_mov_b32 s7, 0
	s_cselect_b32 s6, s3, 0
	s_mov_b32 s8, exec_lo
	s_delay_alu instid0(VALU_DEP_1)
	v_cmpx_eq_u32_e64 s6, v1
	s_cbranch_execz .LBB3_5
; %bb.2:
	s_add_i32 s6, s3, 32
	v_mov_b32_e32 v2, 0
	s_lshl_b64 s[6:7], s[6:7], 1
	s_delay_alu instid0(SALU_CYCLE_1)
	s_add_u32 s6, s0, s6
	s_addc_u32 s7, s1, s7
	global_load_u16 v0, v2, s[6:7] glc
	s_waitcnt vmcnt(0)
	v_cmp_lt_u16_e32 vcc_lo, 0xff, v0
	s_cbranch_vccnz .LBB3_4
.LBB3_3:                                ; =>This Inner Loop Header: Depth=1
	global_load_u16 v0, v2, s[6:7] glc
	s_waitcnt vmcnt(0)
	v_cmp_gt_u16_e32 vcc_lo, 0x100, v0
	s_cbranch_vccnz .LBB3_3
.LBB3_4:
	v_mov_b32_e32 v2, 0
	global_store_b8 v2, v0, s[4:5]
.LBB3_5:
	s_or_b32 exec_lo, exec_lo, s8
.LBB3_6:
	s_delay_alu instid0(VALU_DEP_1)
	v_cmp_gt_u32_e32 vcc_lo, s2, v1
	s_and_saveexec_b32 s2, vcc_lo
	s_cbranch_execz .LBB3_8
; %bb.7:
	v_dual_mov_b32 v3, 0 :: v_dual_add_nc_u32 v2, 32, v1
	s_delay_alu instid0(VALU_DEP_1) | instskip(NEXT) | instid1(VALU_DEP_1)
	v_lshlrev_b64 v[4:5], 1, v[2:3]
	v_add_co_u32 v4, vcc_lo, s0, v4
	s_delay_alu instid0(VALU_DEP_2)
	v_add_co_ci_u32_e32 v5, vcc_lo, s1, v5, vcc_lo
	global_store_b16 v[4:5], v3, off
.LBB3_8:
	s_or_b32 exec_lo, exec_lo, s2
	s_delay_alu instid0(SALU_CYCLE_1)
	s_mov_b32 s2, exec_lo
	v_cmpx_gt_u32_e32 32, v1
	s_cbranch_execz .LBB3_10
; %bb.9:
	v_mov_b32_e32 v2, 0
	s_delay_alu instid0(VALU_DEP_1) | instskip(SKIP_1) | instid1(VALU_DEP_2)
	v_lshlrev_b64 v[0:1], 1, v[1:2]
	v_mov_b32_e32 v2, 0xffffff00
	v_add_co_u32 v0, vcc_lo, s0, v0
	s_delay_alu instid0(VALU_DEP_3)
	v_add_co_ci_u32_e32 v1, vcc_lo, s1, v1, vcc_lo
	global_store_b16 v[0:1], v2, off
.LBB3_10:
	s_nop 0
	s_sendmsg sendmsg(MSG_DEALLOC_VGPRS)
	s_endpgm
	.section	.rodata,"a",@progbits
	.p2align	6, 0x0
	.amdhsa_kernel _ZN7rocprim17ROCPRIM_304000_NS6detail31init_lookback_scan_state_kernelINS1_19lookback_scan_stateIhLb0ELb1EEEEEvT_jjPNS5_10value_typeE
		.amdhsa_group_segment_fixed_size 0
		.amdhsa_private_segment_fixed_size 0
		.amdhsa_kernarg_size 280
		.amdhsa_user_sgpr_count 15
		.amdhsa_user_sgpr_dispatch_ptr 0
		.amdhsa_user_sgpr_queue_ptr 0
		.amdhsa_user_sgpr_kernarg_segment_ptr 1
		.amdhsa_user_sgpr_dispatch_id 0
		.amdhsa_user_sgpr_private_segment_size 0
		.amdhsa_wavefront_size32 1
		.amdhsa_uses_dynamic_stack 0
		.amdhsa_enable_private_segment 0
		.amdhsa_system_sgpr_workgroup_id_x 1
		.amdhsa_system_sgpr_workgroup_id_y 0
		.amdhsa_system_sgpr_workgroup_id_z 0
		.amdhsa_system_sgpr_workgroup_info 0
		.amdhsa_system_vgpr_workitem_id 0
		.amdhsa_next_free_vgpr 6
		.amdhsa_next_free_sgpr 16
		.amdhsa_reserve_vcc 1
		.amdhsa_float_round_mode_32 0
		.amdhsa_float_round_mode_16_64 0
		.amdhsa_float_denorm_mode_32 3
		.amdhsa_float_denorm_mode_16_64 3
		.amdhsa_dx10_clamp 1
		.amdhsa_ieee_mode 1
		.amdhsa_fp16_overflow 0
		.amdhsa_workgroup_processor_mode 1
		.amdhsa_memory_ordered 1
		.amdhsa_forward_progress 0
		.amdhsa_shared_vgpr_count 0
		.amdhsa_exception_fp_ieee_invalid_op 0
		.amdhsa_exception_fp_denorm_src 0
		.amdhsa_exception_fp_ieee_div_zero 0
		.amdhsa_exception_fp_ieee_overflow 0
		.amdhsa_exception_fp_ieee_underflow 0
		.amdhsa_exception_fp_ieee_inexact 0
		.amdhsa_exception_int_div_zero 0
	.end_amdhsa_kernel
	.section	.text._ZN7rocprim17ROCPRIM_304000_NS6detail31init_lookback_scan_state_kernelINS1_19lookback_scan_stateIhLb0ELb1EEEEEvT_jjPNS5_10value_typeE,"axG",@progbits,_ZN7rocprim17ROCPRIM_304000_NS6detail31init_lookback_scan_state_kernelINS1_19lookback_scan_stateIhLb0ELb1EEEEEvT_jjPNS5_10value_typeE,comdat
.Lfunc_end3:
	.size	_ZN7rocprim17ROCPRIM_304000_NS6detail31init_lookback_scan_state_kernelINS1_19lookback_scan_stateIhLb0ELb1EEEEEvT_jjPNS5_10value_typeE, .Lfunc_end3-_ZN7rocprim17ROCPRIM_304000_NS6detail31init_lookback_scan_state_kernelINS1_19lookback_scan_stateIhLb0ELb1EEEEEvT_jjPNS5_10value_typeE
                                        ; -- End function
	.section	.AMDGPU.csdata,"",@progbits
; Kernel info:
; codeLenInByte = 316
; NumSgprs: 18
; NumVgprs: 6
; ScratchSize: 0
; MemoryBound: 0
; FloatMode: 240
; IeeeMode: 1
; LDSByteSize: 0 bytes/workgroup (compile time only)
; SGPRBlocks: 2
; VGPRBlocks: 0
; NumSGPRsForWavesPerEU: 18
; NumVGPRsForWavesPerEU: 6
; Occupancy: 16
; WaveLimiterHint : 0
; COMPUTE_PGM_RSRC2:SCRATCH_EN: 0
; COMPUTE_PGM_RSRC2:USER_SGPR: 15
; COMPUTE_PGM_RSRC2:TRAP_HANDLER: 0
; COMPUTE_PGM_RSRC2:TGID_X_EN: 1
; COMPUTE_PGM_RSRC2:TGID_Y_EN: 0
; COMPUTE_PGM_RSRC2:TGID_Z_EN: 0
; COMPUTE_PGM_RSRC2:TIDIG_COMP_CNT: 0
	.section	.text._ZN7rocprim17ROCPRIM_304000_NS6detail20lookback_scan_kernelILNS1_25lookback_scan_determinismE0ELb0ENS1_19wrapped_scan_configINS0_14default_configEhEEPKhPhSt4plusIhEhhNS1_19lookback_scan_stateIhLb1ELb1EEEEEvT2_T3_mT5_T4_T7_jPT6_SK_bb,"axG",@progbits,_ZN7rocprim17ROCPRIM_304000_NS6detail20lookback_scan_kernelILNS1_25lookback_scan_determinismE0ELb0ENS1_19wrapped_scan_configINS0_14default_configEhEEPKhPhSt4plusIhEhhNS1_19lookback_scan_stateIhLb1ELb1EEEEEvT2_T3_mT5_T4_T7_jPT6_SK_bb,comdat
	.protected	_ZN7rocprim17ROCPRIM_304000_NS6detail20lookback_scan_kernelILNS1_25lookback_scan_determinismE0ELb0ENS1_19wrapped_scan_configINS0_14default_configEhEEPKhPhSt4plusIhEhhNS1_19lookback_scan_stateIhLb1ELb1EEEEEvT2_T3_mT5_T4_T7_jPT6_SK_bb ; -- Begin function _ZN7rocprim17ROCPRIM_304000_NS6detail20lookback_scan_kernelILNS1_25lookback_scan_determinismE0ELb0ENS1_19wrapped_scan_configINS0_14default_configEhEEPKhPhSt4plusIhEhhNS1_19lookback_scan_stateIhLb1ELb1EEEEEvT2_T3_mT5_T4_T7_jPT6_SK_bb
	.globl	_ZN7rocprim17ROCPRIM_304000_NS6detail20lookback_scan_kernelILNS1_25lookback_scan_determinismE0ELb0ENS1_19wrapped_scan_configINS0_14default_configEhEEPKhPhSt4plusIhEhhNS1_19lookback_scan_stateIhLb1ELb1EEEEEvT2_T3_mT5_T4_T7_jPT6_SK_bb
	.p2align	8
	.type	_ZN7rocprim17ROCPRIM_304000_NS6detail20lookback_scan_kernelILNS1_25lookback_scan_determinismE0ELb0ENS1_19wrapped_scan_configINS0_14default_configEhEEPKhPhSt4plusIhEhhNS1_19lookback_scan_stateIhLb1ELb1EEEEEvT2_T3_mT5_T4_T7_jPT6_SK_bb,@function
_ZN7rocprim17ROCPRIM_304000_NS6detail20lookback_scan_kernelILNS1_25lookback_scan_determinismE0ELb0ENS1_19wrapped_scan_configINS0_14default_configEhEEPKhPhSt4plusIhEhhNS1_19lookback_scan_stateIhLb1ELb1EEEEEvT2_T3_mT5_T4_T7_jPT6_SK_bb: ; @_ZN7rocprim17ROCPRIM_304000_NS6detail20lookback_scan_kernelILNS1_25lookback_scan_determinismE0ELb0ENS1_19wrapped_scan_configINS0_14default_configEhEEPKhPhSt4plusIhEhhNS1_19lookback_scan_stateIhLb1ELb1EEEEEvT2_T3_mT5_T4_T7_jPT6_SK_bb
; %bb.0:
	s_endpgm
	.section	.rodata,"a",@progbits
	.p2align	6, 0x0
	.amdhsa_kernel _ZN7rocprim17ROCPRIM_304000_NS6detail20lookback_scan_kernelILNS1_25lookback_scan_determinismE0ELb0ENS1_19wrapped_scan_configINS0_14default_configEhEEPKhPhSt4plusIhEhhNS1_19lookback_scan_stateIhLb1ELb1EEEEEvT2_T3_mT5_T4_T7_jPT6_SK_bb
		.amdhsa_group_segment_fixed_size 0
		.amdhsa_private_segment_fixed_size 0
		.amdhsa_kernarg_size 68
		.amdhsa_user_sgpr_count 15
		.amdhsa_user_sgpr_dispatch_ptr 0
		.amdhsa_user_sgpr_queue_ptr 0
		.amdhsa_user_sgpr_kernarg_segment_ptr 1
		.amdhsa_user_sgpr_dispatch_id 0
		.amdhsa_user_sgpr_private_segment_size 0
		.amdhsa_wavefront_size32 1
		.amdhsa_uses_dynamic_stack 0
		.amdhsa_enable_private_segment 0
		.amdhsa_system_sgpr_workgroup_id_x 1
		.amdhsa_system_sgpr_workgroup_id_y 0
		.amdhsa_system_sgpr_workgroup_id_z 0
		.amdhsa_system_sgpr_workgroup_info 0
		.amdhsa_system_vgpr_workitem_id 0
		.amdhsa_next_free_vgpr 1
		.amdhsa_next_free_sgpr 1
		.amdhsa_reserve_vcc 0
		.amdhsa_float_round_mode_32 0
		.amdhsa_float_round_mode_16_64 0
		.amdhsa_float_denorm_mode_32 3
		.amdhsa_float_denorm_mode_16_64 3
		.amdhsa_dx10_clamp 1
		.amdhsa_ieee_mode 1
		.amdhsa_fp16_overflow 0
		.amdhsa_workgroup_processor_mode 1
		.amdhsa_memory_ordered 1
		.amdhsa_forward_progress 0
		.amdhsa_shared_vgpr_count 0
		.amdhsa_exception_fp_ieee_invalid_op 0
		.amdhsa_exception_fp_denorm_src 0
		.amdhsa_exception_fp_ieee_div_zero 0
		.amdhsa_exception_fp_ieee_overflow 0
		.amdhsa_exception_fp_ieee_underflow 0
		.amdhsa_exception_fp_ieee_inexact 0
		.amdhsa_exception_int_div_zero 0
	.end_amdhsa_kernel
	.section	.text._ZN7rocprim17ROCPRIM_304000_NS6detail20lookback_scan_kernelILNS1_25lookback_scan_determinismE0ELb0ENS1_19wrapped_scan_configINS0_14default_configEhEEPKhPhSt4plusIhEhhNS1_19lookback_scan_stateIhLb1ELb1EEEEEvT2_T3_mT5_T4_T7_jPT6_SK_bb,"axG",@progbits,_ZN7rocprim17ROCPRIM_304000_NS6detail20lookback_scan_kernelILNS1_25lookback_scan_determinismE0ELb0ENS1_19wrapped_scan_configINS0_14default_configEhEEPKhPhSt4plusIhEhhNS1_19lookback_scan_stateIhLb1ELb1EEEEEvT2_T3_mT5_T4_T7_jPT6_SK_bb,comdat
.Lfunc_end4:
	.size	_ZN7rocprim17ROCPRIM_304000_NS6detail20lookback_scan_kernelILNS1_25lookback_scan_determinismE0ELb0ENS1_19wrapped_scan_configINS0_14default_configEhEEPKhPhSt4plusIhEhhNS1_19lookback_scan_stateIhLb1ELb1EEEEEvT2_T3_mT5_T4_T7_jPT6_SK_bb, .Lfunc_end4-_ZN7rocprim17ROCPRIM_304000_NS6detail20lookback_scan_kernelILNS1_25lookback_scan_determinismE0ELb0ENS1_19wrapped_scan_configINS0_14default_configEhEEPKhPhSt4plusIhEhhNS1_19lookback_scan_stateIhLb1ELb1EEEEEvT2_T3_mT5_T4_T7_jPT6_SK_bb
                                        ; -- End function
	.section	.AMDGPU.csdata,"",@progbits
; Kernel info:
; codeLenInByte = 4
; NumSgprs: 0
; NumVgprs: 0
; ScratchSize: 0
; MemoryBound: 0
; FloatMode: 240
; IeeeMode: 1
; LDSByteSize: 0 bytes/workgroup (compile time only)
; SGPRBlocks: 0
; VGPRBlocks: 0
; NumSGPRsForWavesPerEU: 1
; NumVGPRsForWavesPerEU: 1
; Occupancy: 16
; WaveLimiterHint : 0
; COMPUTE_PGM_RSRC2:SCRATCH_EN: 0
; COMPUTE_PGM_RSRC2:USER_SGPR: 15
; COMPUTE_PGM_RSRC2:TRAP_HANDLER: 0
; COMPUTE_PGM_RSRC2:TGID_X_EN: 1
; COMPUTE_PGM_RSRC2:TGID_Y_EN: 0
; COMPUTE_PGM_RSRC2:TGID_Z_EN: 0
; COMPUTE_PGM_RSRC2:TIDIG_COMP_CNT: 0
	.section	.text._ZN7rocprim17ROCPRIM_304000_NS6detail20lookback_scan_kernelILNS1_25lookback_scan_determinismE0ELb0ENS1_19wrapped_scan_configINS0_14default_configEhEEPKhPhSt4plusIhEhhNS1_19lookback_scan_stateIhLb0ELb1EEEEEvT2_T3_mT5_T4_T7_jPT6_SK_bb,"axG",@progbits,_ZN7rocprim17ROCPRIM_304000_NS6detail20lookback_scan_kernelILNS1_25lookback_scan_determinismE0ELb0ENS1_19wrapped_scan_configINS0_14default_configEhEEPKhPhSt4plusIhEhhNS1_19lookback_scan_stateIhLb0ELb1EEEEEvT2_T3_mT5_T4_T7_jPT6_SK_bb,comdat
	.protected	_ZN7rocprim17ROCPRIM_304000_NS6detail20lookback_scan_kernelILNS1_25lookback_scan_determinismE0ELb0ENS1_19wrapped_scan_configINS0_14default_configEhEEPKhPhSt4plusIhEhhNS1_19lookback_scan_stateIhLb0ELb1EEEEEvT2_T3_mT5_T4_T7_jPT6_SK_bb ; -- Begin function _ZN7rocprim17ROCPRIM_304000_NS6detail20lookback_scan_kernelILNS1_25lookback_scan_determinismE0ELb0ENS1_19wrapped_scan_configINS0_14default_configEhEEPKhPhSt4plusIhEhhNS1_19lookback_scan_stateIhLb0ELb1EEEEEvT2_T3_mT5_T4_T7_jPT6_SK_bb
	.globl	_ZN7rocprim17ROCPRIM_304000_NS6detail20lookback_scan_kernelILNS1_25lookback_scan_determinismE0ELb0ENS1_19wrapped_scan_configINS0_14default_configEhEEPKhPhSt4plusIhEhhNS1_19lookback_scan_stateIhLb0ELb1EEEEEvT2_T3_mT5_T4_T7_jPT6_SK_bb
	.p2align	8
	.type	_ZN7rocprim17ROCPRIM_304000_NS6detail20lookback_scan_kernelILNS1_25lookback_scan_determinismE0ELb0ENS1_19wrapped_scan_configINS0_14default_configEhEEPKhPhSt4plusIhEhhNS1_19lookback_scan_stateIhLb0ELb1EEEEEvT2_T3_mT5_T4_T7_jPT6_SK_bb,@function
_ZN7rocprim17ROCPRIM_304000_NS6detail20lookback_scan_kernelILNS1_25lookback_scan_determinismE0ELb0ENS1_19wrapped_scan_configINS0_14default_configEhEEPKhPhSt4plusIhEhhNS1_19lookback_scan_stateIhLb0ELb1EEEEEvT2_T3_mT5_T4_T7_jPT6_SK_bb: ; @_ZN7rocprim17ROCPRIM_304000_NS6detail20lookback_scan_kernelILNS1_25lookback_scan_determinismE0ELb0ENS1_19wrapped_scan_configINS0_14default_configEhEEPKhPhSt4plusIhEhhNS1_19lookback_scan_stateIhLb0ELb1EEEEEvT2_T3_mT5_T4_T7_jPT6_SK_bb
; %bb.0:
	s_clause 0x2
	s_load_b32 s4, s[0:1], 0x28
	s_load_b64 s[2:3], s[0:1], 0x10
	s_load_b128 s[8:11], s[0:1], 0x0
	s_mul_i32 s16, s15, 0x1800
	s_waitcnt lgkmcnt(0)
	s_add_i32 s4, s4, -1
	s_delay_alu instid0(SALU_CYCLE_1) | instskip(NEXT) | instid1(SALU_CYCLE_1)
	s_mul_i32 s5, s4, 0x1800
	s_sub_u32 s12, s2, s5
	s_subb_u32 s13, s3, 0
	s_cmp_lg_u32 s15, s4
	s_mov_b32 s3, -1
	s_cselect_b32 s14, -1, 0
	s_add_u32 s4, s8, s16
	s_addc_u32 s5, s9, 0
	s_and_b32 vcc_lo, exec_lo, s14
	s_cbranch_vccz .LBB5_2
; %bb.1:
	v_add_co_u32 v1, s2, s4, v0
	s_delay_alu instid0(VALU_DEP_1)
	v_add_co_ci_u32_e64 v2, null, s5, 0, s2
	s_clause 0x7
	global_load_u8 v3, v0, s[4:5]
	global_load_u8 v4, v0, s[4:5] offset:256
	global_load_u8 v5, v0, s[4:5] offset:512
	;; [unrolled: 1-line block ×7, first 2 shown]
	v_add_co_u32 v1, vcc_lo, 0x1000, v1
	v_add_co_ci_u32_e32 v2, vcc_lo, 0, v2, vcc_lo
	s_clause 0xf
	global_load_u8 v11, v0, s[4:5] offset:2048
	global_load_u8 v12, v0, s[4:5] offset:2304
	;; [unrolled: 1-line block ×8, first 2 shown]
	global_load_u8 v19, v[1:2], off
	global_load_u8 v20, v[1:2], off offset:256
	global_load_u8 v21, v[1:2], off offset:512
	;; [unrolled: 1-line block ×7, first 2 shown]
	s_mov_b32 s3, 0
	s_waitcnt vmcnt(23)
	ds_store_b8 v0, v3
	s_waitcnt vmcnt(22)
	ds_store_b8 v0, v4 offset:256
	s_waitcnt vmcnt(21)
	ds_store_b8 v0, v5 offset:512
	;; [unrolled: 2-line block ×23, first 2 shown]
	s_waitcnt lgkmcnt(0)
	s_barrier
.LBB5_2:
	v_cmp_gt_u32_e64 s2, s12, v0
	s_and_not1_b32 vcc_lo, exec_lo, s3
	s_cbranch_vccnz .LBB5_52
; %bb.3:
	v_mov_b32_e32 v1, 0
	global_load_u8 v3, v1, s[4:5]
	v_add_co_u32 v1, s3, s4, v0
	s_delay_alu instid0(VALU_DEP_1)
	v_add_co_ci_u32_e64 v2, null, s5, 0, s3
	s_waitcnt vmcnt(0)
	v_mov_b32_e32 v4, v3
	s_and_saveexec_b32 s3, s2
	s_cbranch_execz .LBB5_5
; %bb.4:
	global_load_u8 v4, v[1:2], off
.LBB5_5:
	s_or_b32 exec_lo, exec_lo, s3
	v_or_b32_e32 v5, 0x100, v0
	s_delay_alu instid0(VALU_DEP_1)
	v_cmp_gt_u32_e32 vcc_lo, s12, v5
	v_mov_b32_e32 v5, v3
	s_and_saveexec_b32 s2, vcc_lo
	s_cbranch_execz .LBB5_7
; %bb.6:
	global_load_u8 v5, v[1:2], off offset:256
.LBB5_7:
	s_or_b32 exec_lo, exec_lo, s2
	v_or_b32_e32 v6, 0x200, v0
	s_delay_alu instid0(VALU_DEP_1)
	v_cmp_gt_u32_e32 vcc_lo, s12, v6
	v_mov_b32_e32 v6, v3
	s_and_saveexec_b32 s2, vcc_lo
	s_cbranch_execz .LBB5_9
; %bb.8:
	global_load_u8 v6, v[1:2], off offset:512
.LBB5_9:
	;; [unrolled: 10-line block ×15, first 2 shown]
	s_or_b32 exec_lo, exec_lo, s2
	v_or_b32_e32 v20, 0x1000, v0
	s_delay_alu instid0(VALU_DEP_1)
	v_cmp_gt_u32_e32 vcc_lo, s12, v20
	v_mov_b32_e32 v20, v3
	s_and_saveexec_b32 s2, vcc_lo
	s_cbranch_execz .LBB5_37
; %bb.36:
	v_add_co_u32 v20, vcc_lo, 0x1000, v1
	v_add_co_ci_u32_e32 v21, vcc_lo, 0, v2, vcc_lo
	global_load_u8 v20, v[20:21], off
.LBB5_37:
	s_or_b32 exec_lo, exec_lo, s2
	v_or_b32_e32 v21, 0x1100, v0
	s_delay_alu instid0(VALU_DEP_1)
	v_cmp_gt_u32_e32 vcc_lo, s12, v21
	v_mov_b32_e32 v21, v3
	s_and_saveexec_b32 s2, vcc_lo
	s_cbranch_execz .LBB5_39
; %bb.38:
	v_add_co_u32 v21, vcc_lo, 0x1000, v1
	v_add_co_ci_u32_e32 v22, vcc_lo, 0, v2, vcc_lo
	global_load_u8 v21, v[21:22], off offset:256
.LBB5_39:
	s_or_b32 exec_lo, exec_lo, s2
	v_or_b32_e32 v22, 0x1200, v0
	s_delay_alu instid0(VALU_DEP_1)
	v_cmp_gt_u32_e32 vcc_lo, s12, v22
	v_mov_b32_e32 v22, v3
	s_and_saveexec_b32 s2, vcc_lo
	s_cbranch_execz .LBB5_41
; %bb.40:
	v_add_co_u32 v22, vcc_lo, 0x1000, v1
	v_add_co_ci_u32_e32 v23, vcc_lo, 0, v2, vcc_lo
	global_load_u8 v22, v[22:23], off offset:512
.LBB5_41:
	;; [unrolled: 12-line block ×6, first 2 shown]
	s_or_b32 exec_lo, exec_lo, s2
	v_or_b32_e32 v27, 0x1700, v0
	s_mov_b32 s2, exec_lo
	s_delay_alu instid0(VALU_DEP_1)
	v_cmpx_gt_u32_e64 s12, v27
	s_cbranch_execz .LBB5_51
; %bb.50:
	v_add_co_u32 v1, vcc_lo, 0x1000, v1
	v_add_co_ci_u32_e32 v2, vcc_lo, 0, v2, vcc_lo
	global_load_u8 v3, v[1:2], off offset:1792
.LBB5_51:
	s_or_b32 exec_lo, exec_lo, s2
	s_waitcnt vmcnt(0)
	ds_store_b8 v0, v4
	ds_store_b8 v0, v5 offset:256
	ds_store_b8 v0, v6 offset:512
	;; [unrolled: 1-line block ×23, first 2 shown]
	s_waitcnt lgkmcnt(0)
	s_barrier
.LBB5_52:
	v_mul_u32_u24_e32 v11, 24, v0
	buffer_gl0_inv
	s_load_b64 s[8:9], s[0:1], 0x20
	v_mbcnt_lo_u32_b32 v30, -1, 0
	v_lshrrev_b32_e32 v31, 5, v0
	ds_load_2addr_b64 v[1:4], v11 offset1:1
	ds_load_b64 v[5:6], v11 offset:16
	v_or_b32_e32 v32, 31, v0
	s_cmp_lg_u32 s15, 0
	s_waitcnt lgkmcnt(0)
	s_barrier
	buffer_gl0_inv
	v_lshrrev_b32_e32 v27, 8, v1
	v_lshrrev_b32_e32 v28, 16, v1
	;; [unrolled: 1-line block ×18, first 2 shown]
	s_cbranch_scc0 .LBB5_78
; %bb.53:
	v_add_nc_u16 v7, v27, v1
	s_mov_b32 s2, exec_lo
	s_delay_alu instid0(VALU_DEP_1) | instskip(NEXT) | instid1(VALU_DEP_1)
	v_add_nc_u16 v7, v7, v28
	v_add_nc_u16 v7, v7, v29
	s_delay_alu instid0(VALU_DEP_1) | instskip(NEXT) | instid1(VALU_DEP_1)
	v_add_nc_u16 v7, v7, v2
	v_add_nc_u16 v7, v7, v24
	;; [unrolled: 3-line block ×11, first 2 shown]
	s_delay_alu instid0(VALU_DEP_1) | instskip(NEXT) | instid1(VALU_DEP_1)
	v_and_b32_e32 v8, 0xff, v7
	v_mov_b32_dpp v8, v8 row_shr:1 row_mask:0xf bank_mask:0xf
	v_and_b32_e32 v9, 15, v30
	s_delay_alu instid0(VALU_DEP_1) | instskip(NEXT) | instid1(VALU_DEP_3)
	v_cmp_ne_u32_e32 vcc_lo, 0, v9
	v_cndmask_b32_e32 v8, 0, v8, vcc_lo
	v_cmp_lt_u32_e32 vcc_lo, 1, v9
	s_delay_alu instid0(VALU_DEP_2) | instskip(NEXT) | instid1(VALU_DEP_1)
	v_add_nc_u16 v7, v8, v7
	v_and_b32_e32 v8, 0xff, v7
	s_delay_alu instid0(VALU_DEP_1) | instskip(NEXT) | instid1(VALU_DEP_1)
	v_mov_b32_dpp v8, v8 row_shr:2 row_mask:0xf bank_mask:0xf
	v_cndmask_b32_e32 v8, 0, v8, vcc_lo
	v_cmp_lt_u32_e32 vcc_lo, 3, v9
	s_delay_alu instid0(VALU_DEP_2) | instskip(NEXT) | instid1(VALU_DEP_1)
	v_add_nc_u16 v7, v7, v8
	v_and_b32_e32 v8, 0xff, v7
	s_delay_alu instid0(VALU_DEP_1) | instskip(NEXT) | instid1(VALU_DEP_1)
	v_mov_b32_dpp v8, v8 row_shr:4 row_mask:0xf bank_mask:0xf
	v_cndmask_b32_e32 v8, 0, v8, vcc_lo
	v_cmp_lt_u32_e32 vcc_lo, 7, v9
	v_and_b32_e32 v9, 16, v30
	s_delay_alu instid0(VALU_DEP_3) | instskip(NEXT) | instid1(VALU_DEP_1)
	v_add_nc_u16 v7, v7, v8
	v_and_b32_e32 v8, 0xff, v7
	s_delay_alu instid0(VALU_DEP_1) | instskip(NEXT) | instid1(VALU_DEP_1)
	v_mov_b32_dpp v8, v8 row_shr:8 row_mask:0xf bank_mask:0xf
	v_cndmask_b32_e32 v8, 0, v8, vcc_lo
	v_cmp_ne_u32_e32 vcc_lo, 0, v9
	s_delay_alu instid0(VALU_DEP_2) | instskip(NEXT) | instid1(VALU_DEP_1)
	v_add_nc_u16 v7, v7, v8
	v_and_b32_e32 v8, 0xff, v7
	ds_swizzle_b32 v8, v8 offset:swizzle(BROADCAST,32,15)
	s_waitcnt lgkmcnt(0)
	v_cndmask_b32_e32 v8, 0, v8, vcc_lo
	s_delay_alu instid0(VALU_DEP_1)
	v_add_nc_u16 v7, v7, v8
	v_cmpx_eq_u32_e64 v32, v0
	s_cbranch_execz .LBB5_55
; %bb.54:
	ds_store_b8 v31, v7
.LBB5_55:
	s_or_b32 exec_lo, exec_lo, s2
	s_delay_alu instid0(SALU_CYCLE_1)
	s_mov_b32 s2, exec_lo
	s_waitcnt lgkmcnt(0)
	s_barrier
	buffer_gl0_inv
	v_cmpx_gt_u32_e32 8, v0
	s_cbranch_execz .LBB5_57
; %bb.56:
	ds_load_u8 v8, v0
	s_waitcnt lgkmcnt(0)
	v_and_b32_e32 v9, 0xff, v8
	s_delay_alu instid0(VALU_DEP_1) | instskip(SKIP_1) | instid1(VALU_DEP_1)
	v_mov_b32_dpp v9, v9 row_shr:1 row_mask:0xf bank_mask:0xf
	v_and_b32_e32 v10, 7, v30
	v_cmp_ne_u32_e32 vcc_lo, 0, v10
	s_delay_alu instid0(VALU_DEP_3) | instskip(SKIP_1) | instid1(VALU_DEP_2)
	v_cndmask_b32_e32 v9, 0, v9, vcc_lo
	v_cmp_lt_u32_e32 vcc_lo, 1, v10
	v_add_nc_u16 v8, v9, v8
	s_delay_alu instid0(VALU_DEP_1) | instskip(NEXT) | instid1(VALU_DEP_1)
	v_and_b32_e32 v9, 0xff, v8
	v_mov_b32_dpp v9, v9 row_shr:2 row_mask:0xf bank_mask:0xf
	s_delay_alu instid0(VALU_DEP_1) | instskip(SKIP_1) | instid1(VALU_DEP_2)
	v_cndmask_b32_e32 v9, 0, v9, vcc_lo
	v_cmp_lt_u32_e32 vcc_lo, 3, v10
	v_add_nc_u16 v8, v8, v9
	s_delay_alu instid0(VALU_DEP_1) | instskip(NEXT) | instid1(VALU_DEP_1)
	v_and_b32_e32 v9, 0xff, v8
	v_mov_b32_dpp v9, v9 row_shr:4 row_mask:0xf bank_mask:0xf
	s_delay_alu instid0(VALU_DEP_1) | instskip(NEXT) | instid1(VALU_DEP_1)
	v_cndmask_b32_e32 v9, 0, v9, vcc_lo
	v_add_nc_u16 v8, v8, v9
	ds_store_b8 v0, v8
.LBB5_57:
	s_or_b32 exec_lo, exec_lo, s2
	v_cmp_gt_u32_e32 vcc_lo, 32, v0
	s_mov_b32 s3, exec_lo
	s_waitcnt lgkmcnt(0)
	s_barrier
	buffer_gl0_inv
                                        ; implicit-def: $vgpr33
	v_cmpx_lt_u32_e32 31, v0
	s_cbranch_execz .LBB5_59
; %bb.58:
	v_add_nc_u32_e32 v8, -1, v31
	ds_load_u8 v33, v8
	s_waitcnt lgkmcnt(0)
	v_add_nc_u16 v7, v33, v7
.LBB5_59:
	s_or_b32 exec_lo, exec_lo, s3
	v_add_nc_u32_e32 v8, -1, v30
	s_delay_alu instid0(VALU_DEP_2) | instskip(NEXT) | instid1(VALU_DEP_2)
	v_and_b32_e32 v7, 0xff, v7
	v_cmp_gt_i32_e64 s2, 0, v8
	s_delay_alu instid0(VALU_DEP_1) | instskip(SKIP_1) | instid1(VALU_DEP_2)
	v_cndmask_b32_e64 v8, v8, v30, s2
	v_cmp_eq_u32_e64 s2, 0, v30
	v_lshlrev_b32_e32 v8, 2, v8
	ds_bpermute_b32 v34, v8, v7
	s_and_saveexec_b32 s7, vcc_lo
	s_cbranch_execz .LBB5_77
; %bb.60:
	v_mov_b32_e32 v9, 0
	ds_load_u8 v35, v9 offset:7
	s_and_saveexec_b32 s3, s2
	s_cbranch_execz .LBB5_62
; %bb.61:
	s_waitcnt lgkmcnt(0)
	v_and_b32_e32 v7, 0xff, v35
	s_add_i32 s4, s15, 32
	s_mov_b32 s5, 0
	s_delay_alu instid0(SALU_CYCLE_1) | instskip(NEXT) | instid1(VALU_DEP_1)
	s_lshl_b64 s[4:5], s[4:5], 1
	v_or_b32_e32 v7, 0x100, v7
	s_add_u32 s4, s8, s4
	s_addc_u32 s5, s9, s5
	global_store_b16 v9, v7, s[4:5]
.LBB5_62:
	s_or_b32 exec_lo, exec_lo, s3
	v_xad_u32 v7, v30, -1, s15
	s_mov_b32 s4, 0
	s_mov_b32 s3, exec_lo
	s_delay_alu instid0(VALU_DEP_1) | instskip(NEXT) | instid1(VALU_DEP_1)
	v_add_nc_u32_e32 v8, 32, v7
	v_lshlrev_b64 v[8:9], 1, v[8:9]
	s_delay_alu instid0(VALU_DEP_1) | instskip(NEXT) | instid1(VALU_DEP_2)
	v_add_co_u32 v8, vcc_lo, s8, v8
	v_add_co_ci_u32_e32 v9, vcc_lo, s9, v9, vcc_lo
	global_load_u16 v10, v[8:9], off glc
	s_waitcnt vmcnt(0)
	v_lshrrev_b16 v36, 8, v10
	s_delay_alu instid0(VALU_DEP_1)
	v_cmpx_eq_u16_e32 0, v36
	s_cbranch_execz .LBB5_65
.LBB5_63:                               ; =>This Inner Loop Header: Depth=1
	global_load_u16 v10, v[8:9], off glc
	s_waitcnt vmcnt(0)
	v_lshrrev_b16 v36, 8, v10
	s_delay_alu instid0(VALU_DEP_1) | instskip(SKIP_1) | instid1(SALU_CYCLE_1)
	v_cmp_ne_u16_e32 vcc_lo, 0, v36
	s_or_b32 s4, vcc_lo, s4
	s_and_not1_b32 exec_lo, exec_lo, s4
	s_cbranch_execnz .LBB5_63
; %bb.64:
	s_or_b32 exec_lo, exec_lo, s4
.LBB5_65:
	s_delay_alu instid0(SALU_CYCLE_1)
	s_or_b32 exec_lo, exec_lo, s3
	v_cmp_ne_u32_e32 vcc_lo, 31, v30
	v_lshlrev_b32_e64 v38, v30, -1
	v_add_nc_u32_e32 v39, 1, v30
	v_cmp_gt_u32_e64 s3, 30, v30
	v_cmp_gt_u32_e64 s4, 24, v30
	v_add_co_ci_u32_e32 v8, vcc_lo, 0, v30, vcc_lo
	v_cmp_eq_u16_e32 vcc_lo, 2, v36
	s_delay_alu instid0(VALU_DEP_4) | instskip(SKIP_1) | instid1(VALU_DEP_4)
	v_cndmask_b32_e64 v40, 0, 1, s3
	v_cmp_gt_u32_e64 s3, 28, v30
	v_lshlrev_b32_e32 v37, 2, v8
	v_cmp_gt_u32_e64 s5, 16, v30
	v_and_or_b32 v41, vcc_lo, v38, 0x80000000
	s_delay_alu instid0(VALU_DEP_4) | instskip(NEXT) | instid1(VALU_DEP_2)
	v_cndmask_b32_e64 v42, 0, 1, s3
	v_ctz_i32_b32_e32 v45, v41
	s_delay_alu instid0(VALU_DEP_2) | instskip(NEXT) | instid1(VALU_DEP_2)
	v_lshlrev_b32_e32 v42, 2, v42
	v_cmp_le_u32_e32 vcc_lo, v39, v45
	v_and_b32_e32 v9, 0xff, v10
	s_delay_alu instid0(VALU_DEP_3) | instskip(SKIP_3) | instid1(VALU_DEP_1)
	v_add_lshl_u32 v42, v42, v30, 2
	ds_bpermute_b32 v8, v37, v9
	s_waitcnt lgkmcnt(0)
	v_add_nc_u16 v8, v10, v8
	v_and_b32_e32 v41, 0xff, v8
	v_cndmask_b32_e32 v8, v10, v8, vcc_lo
	s_delay_alu instid0(VALU_DEP_2) | instskip(NEXT) | instid1(VALU_DEP_1)
	v_dual_cndmask_b32 v9, v9, v41 :: v_dual_lshlrev_b32 v40, 1, v40
	v_add_lshl_u32 v40, v40, v30, 2
	ds_bpermute_b32 v41, v40, v9
	s_waitcnt lgkmcnt(0)
	v_add_nc_u16 v43, v8, v41
	v_add_nc_u32_e32 v41, 2, v30
	s_delay_alu instid0(VALU_DEP_2) | instskip(NEXT) | instid1(VALU_DEP_2)
	v_and_b32_e32 v44, 0xff, v43
	v_cmp_le_u32_e64 s3, v41, v45
	s_delay_alu instid0(VALU_DEP_1)
	v_cndmask_b32_e64 v9, v9, v44, s3
	v_cndmask_b32_e64 v8, v8, v43, s3
	;; [unrolled: 1-line block ×3, first 2 shown]
	s_or_b32 s3, vcc_lo, s3
	ds_bpermute_b32 v44, v42, v9
	s_waitcnt lgkmcnt(0)
	v_add_nc_u16 v46, v8, v44
	v_lshlrev_b32_e32 v44, 3, v43
	v_add_nc_u32_e32 v43, 4, v30
	s_delay_alu instid0(VALU_DEP_3) | instskip(NEXT) | instid1(VALU_DEP_3)
	v_and_b32_e32 v47, 0xff, v46
	v_add_lshl_u32 v44, v44, v30, 2
	s_delay_alu instid0(VALU_DEP_3) | instskip(NEXT) | instid1(VALU_DEP_1)
	v_cmp_le_u32_e64 s4, v43, v45
	v_cndmask_b32_e64 v9, v9, v47, s4
	v_cndmask_b32_e64 v8, v8, v46, s4
	;; [unrolled: 1-line block ×3, first 2 shown]
	s_or_b32 s3, s4, s3
	ds_bpermute_b32 v47, v44, v9
	s_waitcnt lgkmcnt(0)
	v_add_nc_u16 v49, v8, v47
	v_lshlrev_b32_e32 v47, 4, v46
	v_add_nc_u32_e32 v46, 8, v30
	s_delay_alu instid0(VALU_DEP_3) | instskip(NEXT) | instid1(VALU_DEP_3)
	v_and_b32_e32 v48, 0xff, v49
	v_add_lshl_u32 v47, v47, v30, 2
	s_delay_alu instid0(VALU_DEP_3) | instskip(NEXT) | instid1(VALU_DEP_1)
	v_cmp_le_u32_e64 s5, v46, v45
	v_cndmask_b32_e64 v9, v9, v48, s5
	v_add_nc_u32_e32 v48, 16, v30
	v_cndmask_b32_e64 v8, v8, v49, s5
	s_or_b32 s3, s5, s3
	ds_bpermute_b32 v9, v47, v9
	v_cmp_le_u32_e64 s6, v48, v45
	s_delay_alu instid0(VALU_DEP_1) | instskip(SKIP_2) | instid1(VALU_DEP_1)
	s_or_b32 vcc_lo, s6, s3
	s_waitcnt lgkmcnt(0)
	v_cndmask_b32_e64 v9, 0, v9, s6
	v_add_nc_u16 v8, v8, v9
	s_delay_alu instid0(VALU_DEP_1)
	v_dual_cndmask_b32 v9, v10, v8 :: v_dual_mov_b32 v8, 0
	s_branch .LBB5_67
.LBB5_66:                               ;   in Loop: Header=BB5_67 Depth=1
	s_or_b32 exec_lo, exec_lo, s3
	v_cmp_eq_u16_e32 vcc_lo, 2, v36
	v_subrev_nc_u32_e32 v7, 32, v7
	v_and_or_b32 v50, vcc_lo, v38, 0x80000000
	s_delay_alu instid0(VALU_DEP_1) | instskip(NEXT) | instid1(VALU_DEP_1)
	v_ctz_i32_b32_e32 v50, v50
	v_cmp_le_u32_e32 vcc_lo, v39, v50
	v_and_b32_e32 v9, 0xff, v49
	v_cmp_le_u32_e64 s3, v41, v50
	v_cmp_le_u32_e64 s4, v43, v50
	;; [unrolled: 1-line block ×4, first 2 shown]
	ds_bpermute_b32 v10, v37, v9
	s_waitcnt lgkmcnt(0)
	v_add_nc_u16 v10, v49, v10
	s_delay_alu instid0(VALU_DEP_1) | instskip(SKIP_1) | instid1(VALU_DEP_2)
	v_and_b32_e32 v51, 0xff, v10
	v_cndmask_b32_e32 v10, v49, v10, vcc_lo
	v_cndmask_b32_e32 v9, v9, v51, vcc_lo
	ds_bpermute_b32 v51, v40, v9
	s_waitcnt lgkmcnt(0)
	v_add_nc_u16 v51, v10, v51
	s_delay_alu instid0(VALU_DEP_1) | instskip(SKIP_1) | instid1(VALU_DEP_2)
	v_and_b32_e32 v52, 0xff, v51
	v_cndmask_b32_e64 v10, v10, v51, s3
	v_cndmask_b32_e64 v9, v9, v52, s3
	s_or_b32 s3, vcc_lo, s3
	s_delay_alu instid0(SALU_CYCLE_1) | instskip(SKIP_2) | instid1(SALU_CYCLE_1)
	s_or_b32 s3, s4, s3
	ds_bpermute_b32 v52, v42, v9
	s_or_b32 s3, s5, s3
	s_or_b32 vcc_lo, s6, s3
	s_waitcnt lgkmcnt(0)
	v_add_nc_u16 v51, v10, v52
	s_delay_alu instid0(VALU_DEP_1) | instskip(SKIP_1) | instid1(VALU_DEP_2)
	v_and_b32_e32 v52, 0xff, v51
	v_cndmask_b32_e64 v10, v10, v51, s4
	v_cndmask_b32_e64 v9, v9, v52, s4
	ds_bpermute_b32 v52, v44, v9
	s_waitcnt lgkmcnt(0)
	v_add_nc_u16 v51, v10, v52
	s_delay_alu instid0(VALU_DEP_1) | instskip(SKIP_1) | instid1(VALU_DEP_2)
	v_and_b32_e32 v52, 0xff, v51
	v_cndmask_b32_e64 v10, v10, v51, s5
	v_cndmask_b32_e64 v9, v9, v52, s5
	ds_bpermute_b32 v9, v47, v9
	s_waitcnt lgkmcnt(0)
	v_cndmask_b32_e64 v9, 0, v9, s6
	s_delay_alu instid0(VALU_DEP_1) | instskip(NEXT) | instid1(VALU_DEP_1)
	v_add_nc_u16 v9, v10, v9
	v_cndmask_b32_e32 v9, v49, v9, vcc_lo
	s_delay_alu instid0(VALU_DEP_1)
	v_add_nc_u16 v9, v9, v45
.LBB5_67:                               ; =>This Loop Header: Depth=1
                                        ;     Child Loop BB5_70 Depth 2
	s_delay_alu instid0(VALU_DEP_1) | instskip(NEXT) | instid1(VALU_DEP_1)
	v_dual_mov_b32 v45, v9 :: v_dual_and_b32 v10, 0xff, v36
	v_cmp_ne_u16_e32 vcc_lo, 2, v10
	v_cndmask_b32_e64 v10, 0, 1, vcc_lo
	;;#ASMSTART
	;;#ASMEND
	s_delay_alu instid0(VALU_DEP_1)
	v_cmp_ne_u32_e32 vcc_lo, 0, v10
	s_cmp_lg_u32 vcc_lo, exec_lo
	s_cbranch_scc1 .LBB5_72
; %bb.68:                               ;   in Loop: Header=BB5_67 Depth=1
	v_lshlrev_b64 v[9:10], 1, v[7:8]
	s_mov_b32 s3, exec_lo
	s_delay_alu instid0(VALU_DEP_1) | instskip(NEXT) | instid1(VALU_DEP_2)
	v_add_co_u32 v9, vcc_lo, s8, v9
	v_add_co_ci_u32_e32 v10, vcc_lo, s9, v10, vcc_lo
	global_load_u16 v49, v[9:10], off glc
	s_waitcnt vmcnt(0)
	v_lshrrev_b16 v36, 8, v49
	s_delay_alu instid0(VALU_DEP_1)
	v_cmpx_eq_u16_e32 0, v36
	s_cbranch_execz .LBB5_66
; %bb.69:                               ;   in Loop: Header=BB5_67 Depth=1
	s_mov_b32 s4, 0
.LBB5_70:                               ;   Parent Loop BB5_67 Depth=1
                                        ; =>  This Inner Loop Header: Depth=2
	global_load_u16 v49, v[9:10], off glc
	s_waitcnt vmcnt(0)
	v_lshrrev_b16 v36, 8, v49
	s_delay_alu instid0(VALU_DEP_1) | instskip(SKIP_1) | instid1(SALU_CYCLE_1)
	v_cmp_ne_u16_e32 vcc_lo, 0, v36
	s_or_b32 s4, vcc_lo, s4
	s_and_not1_b32 exec_lo, exec_lo, s4
	s_cbranch_execnz .LBB5_70
; %bb.71:                               ;   in Loop: Header=BB5_67 Depth=1
	s_or_b32 exec_lo, exec_lo, s4
	s_branch .LBB5_66
.LBB5_72:                               ;   in Loop: Header=BB5_67 Depth=1
                                        ; implicit-def: $vgpr9
                                        ; implicit-def: $vgpr36
	s_cbranch_execz .LBB5_67
; %bb.73:
	s_and_saveexec_b32 s3, s2
	s_cbranch_execz .LBB5_75
; %bb.74:
	v_add_nc_u16 v7, v45, v35
	s_add_i32 s4, s15, 32
	s_mov_b32 s5, 0
	v_mov_b32_e32 v8, 0
	s_lshl_b64 s[4:5], s[4:5], 1
	v_and_b32_e32 v7, 0xff, v7
	s_add_u32 s4, s8, s4
	s_addc_u32 s5, s9, s5
	s_delay_alu instid0(VALU_DEP_1)
	v_or_b32_e32 v7, 0x200, v7
	global_store_b16 v8, v7, s[4:5]
.LBB5_75:
	s_or_b32 exec_lo, exec_lo, s3
	v_cmp_eq_u32_e32 vcc_lo, 0, v0
	s_and_b32 exec_lo, exec_lo, vcc_lo
	s_cbranch_execz .LBB5_77
; %bb.76:
	v_mov_b32_e32 v7, 0
	ds_store_b8 v7, v45 offset:7
.LBB5_77:
	s_or_b32 exec_lo, exec_lo, s7
	s_waitcnt lgkmcnt(0)
	v_cndmask_b32_e64 v8, v34, v33, s2
	v_cmp_ne_u32_e32 vcc_lo, 0, v0
	v_mov_b32_e32 v7, 0
	s_waitcnt_vscnt null, 0x0
	s_barrier
	buffer_gl0_inv
	v_cndmask_b32_e32 v8, 0, v8, vcc_lo
	ds_load_u8 v7, v7 offset:7
	v_add_nc_u16 v8, v8, v1
	s_waitcnt lgkmcnt(0)
	s_delay_alu instid0(VALU_DEP_1)
	v_add_nc_u16 v7, v8, v7
	s_load_b128 s[4:7], s[0:1], 0x30
	s_branch .LBB5_90
.LBB5_78:
                                        ; implicit-def: $vgpr7
	s_load_b128 s[4:7], s[0:1], 0x30
	s_cbranch_execz .LBB5_90
; %bb.79:
	s_load_b32 s2, s[0:1], 0x40
	v_cmp_eq_u32_e32 vcc_lo, 0, v0
	s_waitcnt lgkmcnt(0)
	s_bitcmp1_b32 s2, 0
	s_cselect_b32 s2, -1, 0
	s_delay_alu instid0(SALU_CYCLE_1) | instskip(NEXT) | instid1(SALU_CYCLE_1)
	s_and_b32 s3, vcc_lo, s2
	s_and_saveexec_b32 s2, s3
	s_cbranch_execz .LBB5_81
; %bb.80:
	v_mov_b32_e32 v7, 0
	global_load_u8 v7, v7, s[4:5]
	s_waitcnt vmcnt(0)
	v_add_nc_u16 v1, v7, v1
.LBB5_81:
	s_or_b32 exec_lo, exec_lo, s2
	v_add_nc_u16 v7, v28, v27
	v_and_b32_e32 v9, 15, v30
	s_mov_b32 s3, exec_lo
	s_delay_alu instid0(VALU_DEP_2) | instskip(NEXT) | instid1(VALU_DEP_2)
	v_add_nc_u16 v7, v7, v29
	v_cmp_ne_u32_e64 s2, 0, v9
	s_delay_alu instid0(VALU_DEP_2) | instskip(NEXT) | instid1(VALU_DEP_1)
	v_add_nc_u16 v7, v7, v2
	v_add_nc_u16 v7, v7, v24
	s_delay_alu instid0(VALU_DEP_1) | instskip(NEXT) | instid1(VALU_DEP_1)
	v_add_nc_u16 v7, v7, v25
	v_add_nc_u16 v7, v7, v26
	s_delay_alu instid0(VALU_DEP_1) | instskip(NEXT) | instid1(VALU_DEP_1)
	;; [unrolled: 3-line block ×10, first 2 shown]
	v_add_nc_u16 v7, v7, v1
	v_and_b32_e32 v8, 0xff, v7
	s_delay_alu instid0(VALU_DEP_1) | instskip(NEXT) | instid1(VALU_DEP_1)
	v_mov_b32_dpp v8, v8 row_shr:1 row_mask:0xf bank_mask:0xf
	v_cndmask_b32_e64 v8, 0, v8, s2
	v_cmp_lt_u32_e64 s2, 1, v9
	s_delay_alu instid0(VALU_DEP_2) | instskip(NEXT) | instid1(VALU_DEP_1)
	v_add_nc_u16 v7, v7, v8
	v_and_b32_e32 v8, 0xff, v7
	s_delay_alu instid0(VALU_DEP_1) | instskip(NEXT) | instid1(VALU_DEP_1)
	v_mov_b32_dpp v8, v8 row_shr:2 row_mask:0xf bank_mask:0xf
	v_cndmask_b32_e64 v8, 0, v8, s2
	v_cmp_lt_u32_e64 s2, 3, v9
	s_delay_alu instid0(VALU_DEP_2) | instskip(NEXT) | instid1(VALU_DEP_1)
	v_add_nc_u16 v7, v7, v8
	v_and_b32_e32 v8, 0xff, v7
	s_delay_alu instid0(VALU_DEP_1) | instskip(NEXT) | instid1(VALU_DEP_1)
	v_mov_b32_dpp v8, v8 row_shr:4 row_mask:0xf bank_mask:0xf
	v_cndmask_b32_e64 v8, 0, v8, s2
	v_cmp_lt_u32_e64 s2, 7, v9
	v_and_b32_e32 v9, 16, v30
	s_delay_alu instid0(VALU_DEP_3) | instskip(NEXT) | instid1(VALU_DEP_1)
	v_add_nc_u16 v7, v7, v8
	v_and_b32_e32 v8, 0xff, v7
	s_delay_alu instid0(VALU_DEP_1) | instskip(NEXT) | instid1(VALU_DEP_1)
	v_mov_b32_dpp v8, v8 row_shr:8 row_mask:0xf bank_mask:0xf
	v_cndmask_b32_e64 v8, 0, v8, s2
	v_cmp_ne_u32_e64 s2, 0, v9
	s_delay_alu instid0(VALU_DEP_2) | instskip(NEXT) | instid1(VALU_DEP_1)
	v_add_nc_u16 v7, v7, v8
	v_and_b32_e32 v8, 0xff, v7
	ds_swizzle_b32 v8, v8 offset:swizzle(BROADCAST,32,15)
	s_waitcnt lgkmcnt(0)
	v_cndmask_b32_e64 v8, 0, v8, s2
	s_delay_alu instid0(VALU_DEP_1)
	v_add_nc_u16 v7, v7, v8
	v_cmpx_eq_u32_e64 v32, v0
	s_cbranch_execz .LBB5_83
; %bb.82:
	ds_store_b8 v31, v7
.LBB5_83:
	s_or_b32 exec_lo, exec_lo, s3
	s_delay_alu instid0(SALU_CYCLE_1)
	s_mov_b32 s3, exec_lo
	s_waitcnt lgkmcnt(0)
	s_barrier
	buffer_gl0_inv
	v_cmpx_gt_u32_e32 8, v0
	s_cbranch_execz .LBB5_85
; %bb.84:
	ds_load_u8 v8, v0
	v_and_b32_e32 v10, 7, v30
	s_delay_alu instid0(VALU_DEP_1) | instskip(SKIP_2) | instid1(VALU_DEP_1)
	v_cmp_ne_u32_e64 s2, 0, v10
	s_waitcnt lgkmcnt(0)
	v_and_b32_e32 v9, 0xff, v8
	v_mov_b32_dpp v9, v9 row_shr:1 row_mask:0xf bank_mask:0xf
	s_delay_alu instid0(VALU_DEP_1) | instskip(SKIP_1) | instid1(VALU_DEP_2)
	v_cndmask_b32_e64 v9, 0, v9, s2
	v_cmp_lt_u32_e64 s2, 1, v10
	v_add_nc_u16 v8, v9, v8
	s_delay_alu instid0(VALU_DEP_1) | instskip(NEXT) | instid1(VALU_DEP_1)
	v_and_b32_e32 v9, 0xff, v8
	v_mov_b32_dpp v9, v9 row_shr:2 row_mask:0xf bank_mask:0xf
	s_delay_alu instid0(VALU_DEP_1) | instskip(SKIP_1) | instid1(VALU_DEP_2)
	v_cndmask_b32_e64 v9, 0, v9, s2
	v_cmp_lt_u32_e64 s2, 3, v10
	v_add_nc_u16 v8, v8, v9
	s_delay_alu instid0(VALU_DEP_1) | instskip(NEXT) | instid1(VALU_DEP_1)
	v_and_b32_e32 v9, 0xff, v8
	v_mov_b32_dpp v9, v9 row_shr:4 row_mask:0xf bank_mask:0xf
	s_delay_alu instid0(VALU_DEP_1) | instskip(NEXT) | instid1(VALU_DEP_1)
	v_cndmask_b32_e64 v9, 0, v9, s2
	v_add_nc_u16 v8, v8, v9
	ds_store_b8 v0, v8
.LBB5_85:
	s_or_b32 exec_lo, exec_lo, s3
	s_delay_alu instid0(SALU_CYCLE_1)
	s_mov_b32 s3, exec_lo
	s_waitcnt lgkmcnt(0)
	s_barrier
	buffer_gl0_inv
                                        ; implicit-def: $vgpr8
	v_cmpx_lt_u32_e32 31, v0
	s_cbranch_execz .LBB5_87
; %bb.86:
	v_add_nc_u32_e32 v8, -1, v31
	ds_load_u8 v8, v8
	s_waitcnt lgkmcnt(0)
	v_add_nc_u16 v7, v8, v7
.LBB5_87:
	s_or_b32 exec_lo, exec_lo, s3
	v_add_nc_u32_e32 v9, -1, v30
	s_delay_alu instid0(VALU_DEP_2) | instskip(NEXT) | instid1(VALU_DEP_2)
	v_and_b32_e32 v7, 0xff, v7
	v_cmp_gt_i32_e64 s2, 0, v9
	s_delay_alu instid0(VALU_DEP_1) | instskip(SKIP_1) | instid1(VALU_DEP_2)
	v_cndmask_b32_e64 v9, v9, v30, s2
	v_cmp_eq_u32_e64 s2, 0, v30
	v_lshlrev_b32_e32 v9, 2, v9
	ds_bpermute_b32 v7, v9, v7
	s_waitcnt lgkmcnt(0)
	v_cndmask_b32_e64 v7, v7, v8, s2
	s_delay_alu instid0(VALU_DEP_1)
	v_cndmask_b32_e64 v7, v7, 0, vcc_lo
	s_and_saveexec_b32 s2, vcc_lo
	s_cbranch_execz .LBB5_89
; %bb.88:
	v_mov_b32_e32 v8, 0
	ds_load_u8 v9, v8 offset:7
	s_waitcnt lgkmcnt(0)
	v_or_b32_e32 v9, 0x200, v9
	global_store_b16 v8, v9, s[8:9] offset:64
.LBB5_89:
	s_or_b32 exec_lo, exec_lo, s2
	s_delay_alu instid0(VALU_DEP_1)
	v_add_nc_u16 v7, v7, v1
.LBB5_90:
	s_delay_alu instid0(VALU_DEP_1)
	v_add_nc_u16 v1, v7, v27
	s_add_u32 s2, s10, s16
	s_addc_u32 s3, s11, 0
	s_and_b32 vcc_lo, exec_lo, s14
	s_waitcnt lgkmcnt(0)
	s_mov_b32 s4, -1
	v_add_nc_u16 v8, v1, v28
	s_waitcnt_vscnt null, 0x0
	s_barrier
	buffer_gl0_inv
	v_add_nc_u16 v9, v8, v29
	s_delay_alu instid0(VALU_DEP_1) | instskip(SKIP_1) | instid1(VALU_DEP_2)
	v_add_nc_u16 v10, v9, v2
	v_and_b32_e32 v2, 0xff, v7
	v_add_nc_u16 v24, v10, v24
	s_delay_alu instid0(VALU_DEP_1) | instskip(NEXT) | instid1(VALU_DEP_1)
	v_add_nc_u16 v25, v24, v25
	v_add_nc_u16 v26, v25, v26
	s_delay_alu instid0(VALU_DEP_1) | instskip(SKIP_2) | instid1(VALU_DEP_3)
	v_add_nc_u16 v27, v26, v3
	v_lshlrev_b16 v3, 8, v9
	v_lshlrev_b16 v9, 8, v24
	v_add_nc_u16 v21, v27, v21
	s_delay_alu instid0(VALU_DEP_1) | instskip(NEXT) | instid1(VALU_DEP_1)
	v_add_nc_u16 v22, v21, v22
	v_add_nc_u16 v23, v22, v23
	s_delay_alu instid0(VALU_DEP_1)
	v_add_nc_u16 v28, v23, v4
	v_lshlrev_b16 v4, 8, v1
	v_and_b32_e32 v1, 0xff, v8
	v_and_b32_e32 v8, 0xff, v10
	;; [unrolled: 1-line block ×3, first 2 shown]
	v_add_nc_u16 v29, v28, v18
	v_and_b32_e32 v18, 0xff, v27
	s_delay_alu instid0(VALU_DEP_2) | instskip(SKIP_3) | instid1(VALU_DEP_4)
	v_add_nc_u16 v30, v29, v19
	v_lshlrev_b16 v19, 8, v21
	v_lshlrev_b16 v21, 8, v23
	;; [unrolled: 1-line block ×3, first 2 shown]
	v_add_nc_u16 v31, v30, v20
	v_and_b32_e32 v20, 0xff, v22
	v_and_b32_e32 v22, 0xff, v28
	;; [unrolled: 1-line block ×3, first 2 shown]
	s_delay_alu instid0(VALU_DEP_4) | instskip(SKIP_1) | instid1(VALU_DEP_2)
	v_add_nc_u16 v5, v31, v5
	v_lshlrev_b16 v25, 8, v31
	v_add_nc_u16 v17, v5, v17
	v_and_b32_e32 v5, 0xff, v5
	s_delay_alu instid0(VALU_DEP_2) | instskip(NEXT) | instid1(VALU_DEP_1)
	v_add_nc_u16 v32, v17, v16
	v_add_nc_u16 v7, v32, v15
	v_lshlrev_b16 v15, 8, v26
	s_delay_alu instid0(VALU_DEP_2) | instskip(SKIP_2) | instid1(VALU_DEP_3)
	v_add_nc_u16 v16, v7, v6
	v_lshlrev_b16 v6, 8, v17
	v_lshlrev_b16 v7, 8, v7
	v_add_nc_u16 v14, v16, v14
	s_delay_alu instid0(VALU_DEP_1) | instskip(SKIP_2) | instid1(VALU_DEP_3)
	v_add_nc_u16 v26, v14, v13
	v_and_b32_e32 v13, 0xff, v16
	v_lshlrev_b16 v16, 8, v14
	v_add_nc_u16 v12, v26, v12
	v_and_b32_e32 v14, 0xff, v26
	s_delay_alu instid0(VALU_DEP_2)
	v_lshlrev_b16 v17, 8, v12
	v_and_b32_e32 v12, 0xff, v32
	s_cbranch_vccz .LBB5_92
; %bb.91:
	v_or_b32_e32 v26, v22, v23
	v_or_b32_e32 v27, v24, v25
	;; [unrolled: 1-line block ×5, first 2 shown]
	v_and_b32_e32 v26, 0xffff, v26
	v_lshlrev_b32_e32 v27, 16, v27
	v_or_b32_e32 v32, v2, v4
	v_or_b32_e32 v28, v18, v19
	;; [unrolled: 1-line block ×5, first 2 shown]
	v_lshlrev_b32_e32 v26, 16, v29
	v_and_b32_e32 v29, 0xffff, v30
	v_lshlrev_b32_e32 v30, 16, v31
	v_and_b32_e32 v31, 0xffff, v32
	v_or_b32_e32 v32, v1, v3
	v_or_b32_e32 v35, v5, v6
	;; [unrolled: 1-line block ×3, first 2 shown]
	v_and_b32_e32 v28, 0xffff, v28
	v_and_b32_e32 v33, 0xffff, v33
	v_lshlrev_b32_e32 v32, 16, v32
	v_lshlrev_b32_e32 v34, 16, v34
	v_and_b32_e32 v35, 0xffff, v35
	v_lshlrev_b32_e32 v36, 16, v36
	v_or_b32_e32 v26, v28, v26
	v_or_b32_e32 v29, v29, v30
	;; [unrolled: 1-line block ×5, first 2 shown]
	ds_store_2addr_b64 v11, v[28:29], v[26:27] offset1:1
	ds_store_b64 v11, v[30:31] offset:16
	s_waitcnt lgkmcnt(0)
	s_barrier
	buffer_gl0_inv
	ds_load_u8 v26, v0
	ds_load_u8 v27, v0 offset:256
	ds_load_u8 v28, v0 offset:512
	;; [unrolled: 1-line block ×23, first 2 shown]
	v_add_co_u32 v50, s5, s2, v0
	s_delay_alu instid0(VALU_DEP_1)
	v_add_co_ci_u32_e64 v51, null, s3, 0, s5
	s_waitcnt lgkmcnt(23)
	global_store_b8 v0, v26, s[2:3]
	s_waitcnt lgkmcnt(22)
	global_store_b8 v0, v27, s[2:3] offset:256
	s_waitcnt lgkmcnt(21)
	global_store_b8 v0, v28, s[2:3] offset:512
	;; [unrolled: 2-line block ×7, first 2 shown]
	v_add_co_u32 v26, vcc_lo, 0x1000, v50
	s_mov_b32 s4, 0
	v_add_co_ci_u32_e32 v27, vcc_lo, 0, v51, vcc_lo
	s_waitcnt lgkmcnt(15)
	global_store_b8 v0, v34, s[2:3] offset:2048
	s_waitcnt lgkmcnt(14)
	global_store_b8 v0, v35, s[2:3] offset:2304
	;; [unrolled: 2-line block ×8, first 2 shown]
	s_waitcnt lgkmcnt(7)
	global_store_b8 v[26:27], v42, off
	s_waitcnt lgkmcnt(6)
	global_store_b8 v[26:27], v43, off offset:256
	s_waitcnt lgkmcnt(5)
	global_store_b8 v[26:27], v44, off offset:512
	;; [unrolled: 2-line block ×7, first 2 shown]
.LBB5_92:
	s_and_not1_b32 vcc_lo, exec_lo, s4
	s_cbranch_vccnz .LBB5_149
; %bb.93:
	v_or_b32_e32 v18, v18, v19
	v_or_b32_e32 v4, v2, v4
	;; [unrolled: 1-line block ×8, first 2 shown]
	v_and_b32_e32 v10, 0xffff, v18
	v_and_b32_e32 v18, 0xffff, v4
	v_or_b32_e32 v3, v13, v16
	v_or_b32_e32 v4, v14, v17
	;; [unrolled: 1-line block ×4, first 2 shown]
	v_and_b32_e32 v20, 0xffff, v22
	v_lshlrev_b32_e32 v21, 16, v23
	v_lshlrev_b32_e32 v15, 16, v19
	v_and_b32_e32 v8, 0xffff, v8
	v_lshlrev_b32_e32 v9, 16, v9
	v_lshlrev_b32_e32 v7, 16, v1
	v_and_b32_e32 v12, 0xffff, v3
	v_lshlrev_b32_e32 v13, 16, v4
	v_and_b32_e32 v5, 0xffff, v5
	v_lshlrev_b32_e32 v14, 16, v6
	v_or_b32_e32 v2, v20, v21
	v_or_b32_e32 v1, v10, v15
	;; [unrolled: 1-line block ×6, first 2 shown]
	ds_store_2addr_b64 v11, v[3:4], v[1:2] offset1:1
	ds_store_b64 v11, v[5:6] offset:16
	v_mov_b32_e32 v1, 0
	s_waitcnt lgkmcnt(0)
	s_waitcnt_vscnt null, 0x0
	s_barrier
	buffer_gl0_inv
	ds_load_u8 v5, v0
	ds_load_u8 v4, v0 offset:256
	ds_load_u8 v7, v0 offset:512
	;; [unrolled: 1-line block ×23, first 2 shown]
	v_add_co_u32 v2, s2, s2, v0
	s_delay_alu instid0(VALU_DEP_1)
	v_add_co_ci_u32_e64 v3, null, s3, 0, s2
	s_mov_b32 s2, exec_lo
	v_cmpx_gt_u32_e64 s12, v0
	s_cbranch_execz .LBB5_95
; %bb.94:
	s_waitcnt lgkmcnt(23)
	global_store_b8 v[2:3], v5, off
.LBB5_95:
	s_or_b32 exec_lo, exec_lo, s2
	v_or_b32_e32 v29, 0x100, v0
	s_mov_b32 s2, exec_lo
	s_delay_alu instid0(VALU_DEP_1)
	v_cmpx_gt_u32_e64 s12, v29
	s_cbranch_execz .LBB5_97
; %bb.96:
	s_waitcnt lgkmcnt(22)
	global_store_b8 v[2:3], v4, off offset:256
.LBB5_97:
	s_or_b32 exec_lo, exec_lo, s2
	v_or_b32_e32 v29, 0x200, v0
	s_mov_b32 s2, exec_lo
	s_delay_alu instid0(VALU_DEP_1)
	v_cmpx_gt_u32_e64 s12, v29
	s_cbranch_execz .LBB5_99
; %bb.98:
	s_waitcnt lgkmcnt(21)
	global_store_b8 v[2:3], v7, off offset:512
.LBB5_99:
	;; [unrolled: 10-line block ×15, first 2 shown]
	s_or_b32 exec_lo, exec_lo, s2
	v_or_b32_e32 v29, 0x1000, v0
	s_mov_b32 s2, exec_lo
	s_delay_alu instid0(VALU_DEP_1)
	v_cmpx_gt_u32_e64 s12, v29
	s_cbranch_execz .LBB5_127
; %bb.126:
	v_add_co_u32 v29, vcc_lo, 0x1000, v2
	v_add_co_ci_u32_e32 v30, vcc_lo, 0, v3, vcc_lo
	s_waitcnt lgkmcnt(7)
	global_store_b8 v[29:30], v23, off
.LBB5_127:
	s_or_b32 exec_lo, exec_lo, s2
	v_or_b32_e32 v29, 0x1100, v0
	s_mov_b32 s2, exec_lo
	s_delay_alu instid0(VALU_DEP_1)
	v_cmpx_gt_u32_e64 s12, v29
	s_cbranch_execz .LBB5_129
; %bb.128:
	v_add_co_u32 v29, vcc_lo, 0x1000, v2
	v_add_co_ci_u32_e32 v30, vcc_lo, 0, v3, vcc_lo
	s_waitcnt lgkmcnt(6)
	global_store_b8 v[29:30], v26, off offset:256
.LBB5_129:
	s_or_b32 exec_lo, exec_lo, s2
	v_or_b32_e32 v29, 0x1200, v0
	s_mov_b32 s2, exec_lo
	s_delay_alu instid0(VALU_DEP_1)
	v_cmpx_gt_u32_e64 s12, v29
	s_cbranch_execz .LBB5_131
; %bb.130:
	v_add_co_u32 v29, vcc_lo, 0x1000, v2
	v_add_co_ci_u32_e32 v30, vcc_lo, 0, v3, vcc_lo
	s_waitcnt lgkmcnt(5)
	global_store_b8 v[29:30], v25, off offset:512
.LBB5_131:
	;; [unrolled: 12-line block ×7, first 2 shown]
	s_or_b32 exec_lo, exec_lo, s2
	s_load_b32 s0, s[0:1], 0x40
	s_waitcnt lgkmcnt(0)
	s_bfe_u32 s0, s0, 0x10008
	s_delay_alu instid0(SALU_CYCLE_1)
	s_cmp_eq_u32 s0, 0
	s_cbranch_scc1 .LBB5_149
; %bb.142:
	s_add_u32 s0, s12, -1
	s_addc_u32 s1, s13, -1
	s_add_u32 s2, 0, 0xaaaa0000
	s_addc_u32 s3, 0, 42
	s_mul_hi_u32 s5, s2, 0xffffffe8
	s_add_i32 s3, s3, 0xaaaaa80
	s_sub_i32 s5, s5, s2
	s_mul_i32 s8, s3, 0xffffffe8
	s_mul_i32 s4, s2, 0xffffffe8
	s_add_i32 s5, s5, s8
	s_mul_hi_u32 s9, s3, s4
	s_mul_i32 s8, s3, s4
	s_mul_i32 s10, s2, s5
	s_mul_hi_u32 s4, s2, s4
	s_mul_hi_u32 s11, s2, s5
	s_add_u32 s4, s4, s10
	s_addc_u32 s10, 0, s11
	s_mul_hi_u32 s11, s3, s5
	s_add_u32 s4, s4, s8
	s_addc_u32 s4, s10, s9
	s_mul_i32 s5, s3, s5
	s_addc_u32 s8, s11, 0
	s_add_u32 s4, s4, s5
	s_delay_alu instid0(SALU_CYCLE_1) | instskip(SKIP_2) | instid1(VALU_DEP_1)
	v_add_co_u32 v2, s2, s2, s4
	s_addc_u32 s4, 0, s8
	s_cmp_lg_u32 s2, 0
	v_readfirstlane_b32 s2, v2
	s_addc_u32 s3, s3, s4
	s_delay_alu instid0(SALU_CYCLE_1) | instskip(SKIP_1) | instid1(VALU_DEP_1)
	s_mul_i32 s4, s0, s3
	s_mul_hi_u32 s8, s0, s3
	s_mul_hi_u32 s5, s0, s2
	s_mul_i32 s9, s1, s2
	s_add_u32 s4, s5, s4
	s_addc_u32 s5, 0, s8
	s_mul_hi_u32 s2, s1, s2
	s_mul_hi_u32 s8, s1, s3
	s_add_u32 s4, s4, s9
	s_addc_u32 s2, s5, s2
	s_mul_i32 s3, s1, s3
	s_addc_u32 s4, s8, 0
	s_add_u32 s2, s2, s3
	s_addc_u32 s3, 0, s4
	s_mul_i32 s5, s2, 24
	s_add_u32 s4, s2, 1
	v_sub_co_u32 v2, s5, s0, s5
	s_addc_u32 s8, s3, 0
	s_mul_i32 s10, s3, 24
	s_mul_hi_u32 s12, s2, 24
	s_delay_alu instid0(VALU_DEP_1)
	v_sub_co_u32 v3, s11, v2, 24
	s_add_u32 s9, s2, 2
	s_addc_u32 s13, s3, 0
	s_add_i32 s12, s12, s10
	s_cmp_lg_u32 s5, 0
	v_readfirstlane_b32 s5, v3
	s_subb_u32 s10, s1, s12
	s_cmp_lg_u32 s11, 0
	s_subb_u32 s11, s10, 0
	s_delay_alu instid0(VALU_DEP_1) | instskip(SKIP_4) | instid1(SALU_CYCLE_1)
	s_cmp_gt_u32 s5, 23
	s_cselect_b32 s5, -1, 0
	s_cmp_eq_u32 s11, 0
	v_readfirstlane_b32 s11, v2
	s_cselect_b32 s5, s5, -1
	s_cmp_lg_u32 s5, 0
	s_cselect_b32 s4, s9, s4
	s_cselect_b32 s5, s13, s8
	s_cmp_gt_u32 s11, 23
	s_cselect_b32 s8, -1, 0
	s_cmp_eq_u32 s10, 0
	s_cselect_b32 s8, s8, -1
	s_delay_alu instid0(SALU_CYCLE_1) | instskip(SKIP_2) | instid1(SALU_CYCLE_1)
	s_cmp_lg_u32 s8, 0
	s_cselect_b32 s3, s5, s3
	s_cselect_b32 s2, s4, s2
	v_cmp_eq_u64_e32 vcc_lo, s[2:3], v[0:1]
	s_and_saveexec_b32 s2, vcc_lo
	s_cbranch_execz .LBB5_149
; %bb.143:
	v_mul_hi_u32_u24_e32 v1, 24, v0
	v_sub_co_u32 v0, vcc_lo, s0, v11
	s_mov_b32 s0, 0
	s_mov_b32 s4, 0
	s_delay_alu instid0(VALU_DEP_2) | instskip(SKIP_3) | instid1(VALU_DEP_1)
	v_sub_co_ci_u32_e32 v1, vcc_lo, s1, v1, vcc_lo
	s_mov_b32 s3, 0
	s_mov_b32 s2, 0
	s_mov_b32 s1, exec_lo
	v_cmpx_lt_i64_e32 11, v[0:1]
	s_xor_b32 s1, exec_lo, s1
	s_cbranch_execnz .LBB5_150
; %bb.144:
	s_and_not1_saveexec_b32 s1, s1
	s_cbranch_execnz .LBB5_195
.LBB5_145:
	s_or_b32 exec_lo, exec_lo, s1
	s_and_saveexec_b32 s1, s4
	s_cbranch_execnz .LBB5_212
.LBB5_146:
	s_or_b32 exec_lo, exec_lo, s1
	s_and_saveexec_b32 s1, s3
	s_cbranch_execnz .LBB5_213
.LBB5_147:
	s_or_b32 exec_lo, exec_lo, s1
	s_and_saveexec_b32 s1, s2
	s_delay_alu instid0(SALU_CYCLE_1)
	s_xor_b32 s1, exec_lo, s1
	s_cbranch_execnz .LBB5_214
.LBB5_148:
	s_or_b32 exec_lo, exec_lo, s1
	s_delay_alu instid0(SALU_CYCLE_1)
	s_and_b32 exec_lo, exec_lo, s0
	s_cbranch_execnz .LBB5_215
.LBB5_149:
	s_nop 0
	s_sendmsg sendmsg(MSG_DEALLOC_VGPRS)
	s_endpgm
.LBB5_150:
	s_mov_b32 s5, exec_lo
	v_cmpx_lt_i64_e32 17, v[0:1]
	s_xor_b32 s5, exec_lo, s5
	s_cbranch_execz .LBB5_172
; %bb.151:
	s_mov_b32 s8, exec_lo
                                        ; implicit-def: $vgpr10
	v_cmpx_lt_i64_e32 20, v[0:1]
	s_xor_b32 s8, exec_lo, s8
	s_cbranch_execz .LBB5_161
; %bb.152:
	s_mov_b32 s9, 0
	s_mov_b32 s2, exec_lo
                                        ; implicit-def: $vgpr10
	v_cmpx_lt_i64_e32 21, v[0:1]
	s_xor_b32 s2, exec_lo, s2
	s_cbranch_execz .LBB5_158
; %bb.153:
	s_mov_b32 s9, exec_lo
	v_cmpx_lt_i64_e32 22, v[0:1]
	s_xor_b32 s9, exec_lo, s9
	s_cbranch_execz .LBB5_155
; %bb.154:
	v_mov_b32_e32 v2, 0
                                        ; implicit-def: $vgpr27
	global_store_b8 v2, v28, s[6:7]
.LBB5_155:
	s_or_saveexec_b32 s9, s9
	s_mov_b32 s10, 0
	s_xor_b32 exec_lo, exec_lo, s9
; %bb.156:
	s_delay_alu instid0(SALU_CYCLE_1)
	s_mov_b32 s10, exec_lo
; %bb.157:
	s_or_b32 exec_lo, exec_lo, s9
	v_mov_b32_e32 v10, v27
	s_and_b32 s9, s10, exec_lo
                                        ; implicit-def: $vgpr12
.LBB5_158:
	s_and_not1_saveexec_b32 s2, s2
; %bb.159:
	s_mov_b32 s3, exec_lo
                                        ; implicit-def: $vgpr10
; %bb.160:
	s_or_b32 exec_lo, exec_lo, s2
	s_delay_alu instid0(SALU_CYCLE_1)
	s_and_b32 s2, s9, exec_lo
	s_and_b32 s3, s3, exec_lo
                                        ; implicit-def: $vgpr25
                                        ; implicit-def: $vgpr13
                                        ; implicit-def: $vgpr22
.LBB5_161:
	s_and_not1_saveexec_b32 s8, s8
	s_cbranch_execz .LBB5_171
; %bb.162:
	s_mov_b32 s9, 0
	s_mov_b32 s4, exec_lo
	v_cmpx_lt_i64_e32 18, v[0:1]
	s_xor_b32 s4, exec_lo, s4
	s_cbranch_execz .LBB5_168
; %bb.163:
	s_mov_b32 s10, exec_lo
	v_cmpx_lt_i64_e32 19, v[0:1]
	s_xor_b32 s10, exec_lo, s10
; %bb.164:
	s_mov_b32 s9, exec_lo
                                        ; implicit-def: $vgpr22
; %bb.165:
	s_and_not1_saveexec_b32 s10, s10
	s_cbranch_execz .LBB5_167
; %bb.166:
	v_mov_b32_e32 v2, 0
                                        ; implicit-def: $vgpr13
	global_store_b8 v2, v22, s[6:7]
.LBB5_167:
	s_or_b32 exec_lo, exec_lo, s10
	s_delay_alu instid0(SALU_CYCLE_1)
	s_and_b32 s9, s9, exec_lo
                                        ; implicit-def: $vgpr25
.LBB5_168:
	s_and_not1_saveexec_b32 s4, s4
	s_cbranch_execz .LBB5_170
; %bb.169:
	v_mov_b32_e32 v2, 0
                                        ; implicit-def: $vgpr13
	global_store_b8 v2, v25, s[6:7]
.LBB5_170:
	s_or_b32 exec_lo, exec_lo, s4
	s_delay_alu instid0(SALU_CYCLE_1)
	s_and_b32 s4, s9, exec_lo
                                        ; implicit-def: $vgpr10
                                        ; implicit-def: $vgpr12
.LBB5_171:
	s_or_b32 exec_lo, exec_lo, s8
	s_delay_alu instid0(SALU_CYCLE_1)
	s_and_b32 s2, s2, exec_lo
	s_and_b32 s3, s3, exec_lo
	s_and_b32 s4, s4, exec_lo
                                        ; implicit-def: $vgpr19
                                        ; implicit-def: $vgpr14
                                        ; implicit-def: $vgpr16
                                        ; implicit-def: $vgpr23
                                        ; implicit-def: $vgpr26
.LBB5_172:
	s_and_not1_saveexec_b32 s5, s5
	s_cbranch_execz .LBB5_194
; %bb.173:
	s_mov_b32 s8, s2
	s_mov_b32 s9, exec_lo
	v_cmpx_lt_i64_e32 14, v[0:1]
	s_xor_b32 s9, exec_lo, s9
	s_cbranch_execz .LBB5_183
; %bb.174:
	s_mov_b32 s8, exec_lo
	v_cmpx_lt_i64_e32 15, v[0:1]
	s_xor_b32 s8, exec_lo, s8
	s_cbranch_execz .LBB5_180
; %bb.175:
	;; [unrolled: 5-line block ×3, first 2 shown]
	v_mov_b32_e32 v2, 0
                                        ; implicit-def: $vgpr23
	global_store_b8 v2, v26, s[6:7]
.LBB5_177:
	s_and_not1_saveexec_b32 s10, s10
	s_cbranch_execz .LBB5_179
; %bb.178:
	v_mov_b32_e32 v2, 0
	global_store_b8 v2, v23, s[6:7]
.LBB5_179:
	s_or_b32 exec_lo, exec_lo, s10
                                        ; implicit-def: $vgpr10
.LBB5_180:
	s_or_saveexec_b32 s8, s8
	s_mov_b32 s10, s2
	s_xor_b32 exec_lo, exec_lo, s8
; %bb.181:
	s_delay_alu instid0(SALU_CYCLE_1)
	s_or_b32 s10, s2, exec_lo
; %bb.182:
	s_or_b32 exec_lo, exec_lo, s8
	s_delay_alu instid0(SALU_CYCLE_1) | instskip(SKIP_1) | instid1(SALU_CYCLE_1)
	s_and_not1_b32 s8, s2, exec_lo
	s_and_b32 s10, s10, exec_lo
                                        ; implicit-def: $vgpr19
                                        ; implicit-def: $vgpr14
                                        ; implicit-def: $vgpr16
	s_or_b32 s8, s8, s10
.LBB5_183:
	s_or_saveexec_b32 s9, s9
	s_mov_b32 s10, s3
                                        ; implicit-def: $vgpr12
	s_xor_b32 exec_lo, exec_lo, s9
	s_cbranch_execz .LBB5_193
; %bb.184:
	s_mov_b32 s11, s3
	s_mov_b32 s12, s8
	s_mov_b32 s10, exec_lo
                                        ; implicit-def: $vgpr10
                                        ; implicit-def: $vgpr12
	v_cmpx_lt_i64_e32 12, v[0:1]
	s_xor_b32 s10, exec_lo, s10
	s_cbranch_execz .LBB5_190
; %bb.185:
	s_mov_b32 s11, s8
	s_mov_b32 s12, exec_lo
	v_cmpx_lt_i64_e32 13, v[0:1]
	s_xor_b32 s12, exec_lo, s12
; %bb.186:
	s_or_b32 s11, s8, exec_lo
                                        ; implicit-def: $vgpr14
; %bb.187:
	s_or_saveexec_b32 s13, s12
	s_mov_b32 s12, s3
	s_xor_b32 exec_lo, exec_lo, s13
; %bb.188:
	s_delay_alu instid0(SALU_CYCLE_1)
	s_or_b32 s12, s3, exec_lo
                                        ; implicit-def: $vgpr16
; %bb.189:
	s_or_b32 exec_lo, exec_lo, s13
	v_mov_b32_e32 v10, v16
	v_mov_b32_e32 v12, v14
	s_and_not1_b32 s13, s8, exec_lo
	s_and_b32 s11, s11, exec_lo
	s_and_not1_b32 s14, s3, exec_lo
	s_and_b32 s15, s12, exec_lo
	s_or_b32 s12, s13, s11
	s_or_b32 s11, s14, s15
                                        ; implicit-def: $vgpr19
.LBB5_190:
	s_and_not1_saveexec_b32 s10, s10
; %bb.191:
	v_mov_b32_e32 v12, v19
	s_or_b32 s11, s11, exec_lo
                                        ; implicit-def: $vgpr10
; %bb.192:
	s_or_b32 exec_lo, exec_lo, s10
	s_delay_alu instid0(SALU_CYCLE_1)
	s_and_not1_b32 s8, s8, exec_lo
	s_and_b32 s10, s12, exec_lo
	s_and_not1_b32 s12, s3, exec_lo
	s_and_b32 s11, s11, exec_lo
	s_or_b32 s8, s8, s10
	s_or_b32 s10, s12, s11
.LBB5_193:
	s_or_b32 exec_lo, exec_lo, s9
	s_delay_alu instid0(SALU_CYCLE_1)
	s_and_not1_b32 s2, s2, exec_lo
	s_and_b32 s8, s8, exec_lo
	s_and_not1_b32 s3, s3, exec_lo
	s_and_b32 s9, s10, exec_lo
	s_or_b32 s2, s2, s8
	s_or_b32 s3, s3, s9
                                        ; implicit-def: $vgpr13
.LBB5_194:
	s_or_b32 exec_lo, exec_lo, s5
	s_delay_alu instid0(SALU_CYCLE_1)
	s_and_b32 s2, s2, exec_lo
	s_and_b32 s3, s3, exec_lo
	;; [unrolled: 1-line block ×3, first 2 shown]
                                        ; implicit-def: $vgpr18
                                        ; implicit-def: $vgpr15
                                        ; implicit-def: $vgpr17
                                        ; implicit-def: $vgpr24
                                        ; implicit-def: $vgpr21
                                        ; implicit-def: $vgpr20
	s_and_not1_saveexec_b32 s1, s1
	s_cbranch_execz .LBB5_145
.LBB5_195:
	s_mov_b32 s8, -1
	s_mov_b32 s5, s4
	s_mov_b32 s10, s3
	s_mov_b32 s9, s2
	s_mov_b32 s0, exec_lo
                                        ; implicit-def: $vgpr10
                                        ; implicit-def: $vgpr12
                                        ; implicit-def: $vgpr13
	v_cmpx_lt_i64_e32 5, v[0:1]
	s_cbranch_execz .LBB5_211
; %bb.196:
	s_mov_b32 s5, s4
	s_mov_b32 s8, exec_lo
                                        ; implicit-def: $vgpr13
	v_cmpx_lt_i64_e32 8, v[0:1]
	s_xor_b32 s8, exec_lo, s8
	s_cbranch_execz .LBB5_206
; %bb.197:
	s_mov_b32 s5, exec_lo
	v_cmpx_lt_i64_e32 9, v[0:1]
	s_xor_b32 s5, exec_lo, s5
	s_cbranch_execz .LBB5_203
; %bb.198:
	s_mov_b32 s9, exec_lo
	v_cmpx_lt_i64_e32 10, v[0:1]
	s_xor_b32 s9, exec_lo, s9
; %bb.199:
                                        ; implicit-def: $vgpr21
; %bb.200:
	s_delay_alu instid0(SALU_CYCLE_1)
	s_and_not1_saveexec_b32 s9, s9
; %bb.201:
	v_mov_b32_e32 v20, v21
; %bb.202:
	s_or_b32 exec_lo, exec_lo, s9
                                        ; implicit-def: $vgpr24
.LBB5_203:
	s_and_not1_saveexec_b32 s5, s5
; %bb.204:
	v_mov_b32_e32 v20, v24
; %bb.205:
	s_or_b32 exec_lo, exec_lo, s5
	s_delay_alu instid0(VALU_DEP_1)
	v_mov_b32_e32 v13, v20
	s_or_b32 s5, s4, exec_lo
                                        ; implicit-def: $vgpr18
                                        ; implicit-def: $vgpr15
                                        ; implicit-def: $vgpr17
.LBB5_206:
	s_or_saveexec_b32 s8, s8
	s_mov_b32 s11, s3
	s_mov_b32 s10, s2
                                        ; implicit-def: $vgpr10
                                        ; implicit-def: $vgpr12
	s_xor_b32 exec_lo, exec_lo, s8
	s_cbranch_execz .LBB5_210
; %bb.207:
	s_mov_b32 s10, -1
	s_mov_b32 s9, s5
	s_mov_b32 s11, s3
	s_mov_b32 s12, exec_lo
	v_cmpx_lt_i64_e32 6, v[0:1]
; %bb.208:
	v_cmp_lt_i64_e32 vcc_lo, 7, v[0:1]
	s_and_not1_b32 s9, s5, exec_lo
	s_xor_b32 s10, exec_lo, -1
	s_or_b32 s11, s3, exec_lo
                                        ; implicit-def: $vgpr18
	s_and_b32 s13, vcc_lo, exec_lo
	s_delay_alu instid0(SALU_CYCLE_1)
	s_or_b32 s9, s9, s13
; %bb.209:
	s_or_b32 exec_lo, exec_lo, s12
	s_delay_alu instid0(SALU_CYCLE_1)
	s_and_not1_b32 s12, s2, exec_lo
	s_and_b32 s10, s10, exec_lo
	v_dual_mov_b32 v10, v18 :: v_dual_mov_b32 v13, v17
	v_mov_b32_e32 v12, v15
	s_or_b32 s10, s12, s10
	s_and_not1_b32 s12, s3, exec_lo
	s_and_b32 s11, s11, exec_lo
	s_and_not1_b32 s5, s5, exec_lo
	s_and_b32 s9, s9, exec_lo
	s_or_b32 s11, s12, s11
	s_or_b32 s5, s5, s9
.LBB5_210:
	s_or_b32 exec_lo, exec_lo, s8
	s_delay_alu instid0(SALU_CYCLE_1)
	s_and_not1_b32 s9, s2, exec_lo
	s_and_b32 s10, s10, exec_lo
	s_and_b32 s11, s11, exec_lo
	s_or_b32 s9, s9, s10
	s_and_not1_b32 s10, s3, exec_lo
	s_and_not1_b32 s12, s4, exec_lo
	s_and_b32 s5, s5, exec_lo
	s_xor_b32 s8, exec_lo, -1
	s_or_b32 s10, s10, s11
	s_or_b32 s5, s12, s5
.LBB5_211:
	s_or_b32 exec_lo, exec_lo, s0
	s_delay_alu instid0(SALU_CYCLE_1)
	s_and_not1_b32 s2, s2, exec_lo
	s_and_b32 s9, s9, exec_lo
	s_and_b32 s0, s8, exec_lo
	s_and_not1_b32 s3, s3, exec_lo
	s_and_b32 s8, s10, exec_lo
	s_and_not1_b32 s4, s4, exec_lo
	s_and_b32 s5, s5, exec_lo
	s_or_b32 s2, s2, s9
	s_or_b32 s3, s3, s8
	;; [unrolled: 1-line block ×3, first 2 shown]
	s_or_b32 exec_lo, exec_lo, s1
	s_and_saveexec_b32 s1, s4
	s_cbranch_execz .LBB5_146
.LBB5_212:
	v_mov_b32_e32 v2, 0
	s_and_not1_b32 s3, s3, exec_lo
                                        ; implicit-def: $vgpr10
                                        ; implicit-def: $vgpr12
	global_store_b8 v2, v13, s[6:7]
	s_or_b32 exec_lo, exec_lo, s1
	s_and_saveexec_b32 s1, s3
	s_cbranch_execz .LBB5_147
.LBB5_213:
	v_mov_b32_e32 v2, 0
                                        ; implicit-def: $vgpr10
	global_store_b8 v2, v12, s[6:7]
	s_or_b32 exec_lo, exec_lo, s1
	s_and_saveexec_b32 s1, s2
	s_delay_alu instid0(SALU_CYCLE_1)
	s_xor_b32 s1, exec_lo, s1
	s_cbranch_execz .LBB5_148
.LBB5_214:
	v_mov_b32_e32 v2, 0
	global_store_b8 v2, v10, s[6:7]
	s_or_b32 exec_lo, exec_lo, s1
	s_delay_alu instid0(SALU_CYCLE_1)
	s_and_b32 exec_lo, exec_lo, s0
	s_cbranch_execz .LBB5_149
.LBB5_215:
	s_mov_b32 s0, exec_lo
	v_cmpx_lt_i64_e32 2, v[0:1]
	s_xor_b32 s0, exec_lo, s0
	s_cbranch_execz .LBB5_225
; %bb.216:
	s_mov_b32 s1, exec_lo
	v_cmpx_lt_i64_e32 3, v[0:1]
	s_xor_b32 s1, exec_lo, s1
	s_cbranch_execz .LBB5_222
; %bb.217:
	;; [unrolled: 5-line block ×3, first 2 shown]
	v_mov_b32_e32 v0, 0
                                        ; implicit-def: $vgpr6
	global_store_b8 v0, v9, s[6:7]
.LBB5_219:
	s_and_not1_saveexec_b32 s2, s2
	s_cbranch_execz .LBB5_221
; %bb.220:
	v_mov_b32_e32 v0, 0
	global_store_b8 v0, v6, s[6:7]
.LBB5_221:
	s_or_b32 exec_lo, exec_lo, s2
                                        ; implicit-def: $vgpr8
.LBB5_222:
	s_and_not1_saveexec_b32 s1, s1
	s_cbranch_execz .LBB5_224
; %bb.223:
	v_mov_b32_e32 v0, 0
	global_store_b8 v0, v8, s[6:7]
.LBB5_224:
	s_or_b32 exec_lo, exec_lo, s1
                                        ; implicit-def: $vgpr0_vgpr1
                                        ; implicit-def: $vgpr7
                                        ; implicit-def: $vgpr4
                                        ; implicit-def: $vgpr5
.LBB5_225:
	s_and_not1_saveexec_b32 s0, s0
	s_cbranch_execz .LBB5_149
; %bb.226:
	s_mov_b32 s0, exec_lo
	v_cmpx_lt_i64_e32 1, v[0:1]
	s_xor_b32 s0, exec_lo, s0
	s_cbranch_execz .LBB5_228
; %bb.227:
	v_mov_b32_e32 v0, 0
                                        ; implicit-def: $vgpr4
                                        ; implicit-def: $vgpr5
	global_store_b8 v0, v7, s[6:7]
                                        ; implicit-def: $vgpr0_vgpr1
.LBB5_228:
	s_and_not1_saveexec_b32 s0, s0
	s_cbranch_execz .LBB5_149
; %bb.229:
	s_mov_b32 s0, exec_lo
	v_cmpx_ne_u64_e32 1, v[0:1]
	s_xor_b32 s0, exec_lo, s0
	s_cbranch_execz .LBB5_231
; %bb.230:
	v_mov_b32_e32 v0, 0
                                        ; implicit-def: $vgpr4
	global_store_b8 v0, v5, s[6:7]
.LBB5_231:
	s_and_not1_saveexec_b32 s0, s0
	s_cbranch_execz .LBB5_149
; %bb.232:
	v_mov_b32_e32 v0, 0
	global_store_b8 v0, v4, s[6:7]
	s_nop 0
	s_sendmsg sendmsg(MSG_DEALLOC_VGPRS)
	s_endpgm
	.section	.rodata,"a",@progbits
	.p2align	6, 0x0
	.amdhsa_kernel _ZN7rocprim17ROCPRIM_304000_NS6detail20lookback_scan_kernelILNS1_25lookback_scan_determinismE0ELb0ENS1_19wrapped_scan_configINS0_14default_configEhEEPKhPhSt4plusIhEhhNS1_19lookback_scan_stateIhLb0ELb1EEEEEvT2_T3_mT5_T4_T7_jPT6_SK_bb
		.amdhsa_group_segment_fixed_size 6144
		.amdhsa_private_segment_fixed_size 0
		.amdhsa_kernarg_size 68
		.amdhsa_user_sgpr_count 15
		.amdhsa_user_sgpr_dispatch_ptr 0
		.amdhsa_user_sgpr_queue_ptr 0
		.amdhsa_user_sgpr_kernarg_segment_ptr 1
		.amdhsa_user_sgpr_dispatch_id 0
		.amdhsa_user_sgpr_private_segment_size 0
		.amdhsa_wavefront_size32 1
		.amdhsa_uses_dynamic_stack 0
		.amdhsa_enable_private_segment 0
		.amdhsa_system_sgpr_workgroup_id_x 1
		.amdhsa_system_sgpr_workgroup_id_y 0
		.amdhsa_system_sgpr_workgroup_id_z 0
		.amdhsa_system_sgpr_workgroup_info 0
		.amdhsa_system_vgpr_workitem_id 0
		.amdhsa_next_free_vgpr 53
		.amdhsa_next_free_sgpr 17
		.amdhsa_reserve_vcc 1
		.amdhsa_float_round_mode_32 0
		.amdhsa_float_round_mode_16_64 0
		.amdhsa_float_denorm_mode_32 3
		.amdhsa_float_denorm_mode_16_64 3
		.amdhsa_dx10_clamp 1
		.amdhsa_ieee_mode 1
		.amdhsa_fp16_overflow 0
		.amdhsa_workgroup_processor_mode 1
		.amdhsa_memory_ordered 1
		.amdhsa_forward_progress 0
		.amdhsa_shared_vgpr_count 0
		.amdhsa_exception_fp_ieee_invalid_op 0
		.amdhsa_exception_fp_denorm_src 0
		.amdhsa_exception_fp_ieee_div_zero 0
		.amdhsa_exception_fp_ieee_overflow 0
		.amdhsa_exception_fp_ieee_underflow 0
		.amdhsa_exception_fp_ieee_inexact 0
		.amdhsa_exception_int_div_zero 0
	.end_amdhsa_kernel
	.section	.text._ZN7rocprim17ROCPRIM_304000_NS6detail20lookback_scan_kernelILNS1_25lookback_scan_determinismE0ELb0ENS1_19wrapped_scan_configINS0_14default_configEhEEPKhPhSt4plusIhEhhNS1_19lookback_scan_stateIhLb0ELb1EEEEEvT2_T3_mT5_T4_T7_jPT6_SK_bb,"axG",@progbits,_ZN7rocprim17ROCPRIM_304000_NS6detail20lookback_scan_kernelILNS1_25lookback_scan_determinismE0ELb0ENS1_19wrapped_scan_configINS0_14default_configEhEEPKhPhSt4plusIhEhhNS1_19lookback_scan_stateIhLb0ELb1EEEEEvT2_T3_mT5_T4_T7_jPT6_SK_bb,comdat
.Lfunc_end5:
	.size	_ZN7rocprim17ROCPRIM_304000_NS6detail20lookback_scan_kernelILNS1_25lookback_scan_determinismE0ELb0ENS1_19wrapped_scan_configINS0_14default_configEhEEPKhPhSt4plusIhEhhNS1_19lookback_scan_stateIhLb0ELb1EEEEEvT2_T3_mT5_T4_T7_jPT6_SK_bb, .Lfunc_end5-_ZN7rocprim17ROCPRIM_304000_NS6detail20lookback_scan_kernelILNS1_25lookback_scan_determinismE0ELb0ENS1_19wrapped_scan_configINS0_14default_configEhEEPKhPhSt4plusIhEhhNS1_19lookback_scan_stateIhLb0ELb1EEEEEvT2_T3_mT5_T4_T7_jPT6_SK_bb
                                        ; -- End function
	.section	.AMDGPU.csdata,"",@progbits
; Kernel info:
; codeLenInByte = 9756
; NumSgprs: 19
; NumVgprs: 53
; ScratchSize: 0
; MemoryBound: 0
; FloatMode: 240
; IeeeMode: 1
; LDSByteSize: 6144 bytes/workgroup (compile time only)
; SGPRBlocks: 2
; VGPRBlocks: 6
; NumSGPRsForWavesPerEU: 19
; NumVGPRsForWavesPerEU: 53
; Occupancy: 16
; WaveLimiterHint : 1
; COMPUTE_PGM_RSRC2:SCRATCH_EN: 0
; COMPUTE_PGM_RSRC2:USER_SGPR: 15
; COMPUTE_PGM_RSRC2:TRAP_HANDLER: 0
; COMPUTE_PGM_RSRC2:TGID_X_EN: 1
; COMPUTE_PGM_RSRC2:TGID_Y_EN: 0
; COMPUTE_PGM_RSRC2:TGID_Z_EN: 0
; COMPUTE_PGM_RSRC2:TIDIG_COMP_CNT: 0
	.section	.text._ZN7rocprim17ROCPRIM_304000_NS6detail16transform_kernelINS1_24wrapped_transform_configINS0_14default_configEhEEhPhS6_NS0_8identityIhEEEEvT1_mT2_T3_,"axG",@progbits,_ZN7rocprim17ROCPRIM_304000_NS6detail16transform_kernelINS1_24wrapped_transform_configINS0_14default_configEhEEhPhS6_NS0_8identityIhEEEEvT1_mT2_T3_,comdat
	.protected	_ZN7rocprim17ROCPRIM_304000_NS6detail16transform_kernelINS1_24wrapped_transform_configINS0_14default_configEhEEhPhS6_NS0_8identityIhEEEEvT1_mT2_T3_ ; -- Begin function _ZN7rocprim17ROCPRIM_304000_NS6detail16transform_kernelINS1_24wrapped_transform_configINS0_14default_configEhEEhPhS6_NS0_8identityIhEEEEvT1_mT2_T3_
	.globl	_ZN7rocprim17ROCPRIM_304000_NS6detail16transform_kernelINS1_24wrapped_transform_configINS0_14default_configEhEEhPhS6_NS0_8identityIhEEEEvT1_mT2_T3_
	.p2align	8
	.type	_ZN7rocprim17ROCPRIM_304000_NS6detail16transform_kernelINS1_24wrapped_transform_configINS0_14default_configEhEEhPhS6_NS0_8identityIhEEEEvT1_mT2_T3_,@function
_ZN7rocprim17ROCPRIM_304000_NS6detail16transform_kernelINS1_24wrapped_transform_configINS0_14default_configEhEEhPhS6_NS0_8identityIhEEEEvT1_mT2_T3_: ; @_ZN7rocprim17ROCPRIM_304000_NS6detail16transform_kernelINS1_24wrapped_transform_configINS0_14default_configEhEEhPhS6_NS0_8identityIhEEEEvT1_mT2_T3_
; %bb.0:
	s_clause 0x2
	s_load_b32 s2, s[0:1], 0x20
	s_load_b128 s[4:7], s[0:1], 0x0
	s_load_b64 s[8:9], s[0:1], 0x10
	s_lshl_b32 s3, s15, 12
	s_waitcnt lgkmcnt(0)
	s_add_i32 s2, s2, -1
	s_add_u32 s0, s4, s3
	s_addc_u32 s1, s5, 0
	v_add_co_u32 v1, s0, s0, v0
	s_delay_alu instid0(VALU_DEP_1)
	v_add_co_ci_u32_e64 v2, null, s1, 0, s0
	s_mov_b32 s4, 0
	s_cmp_lg_u32 s15, s2
	s_mov_b32 s0, -1
	s_cbranch_scc0 .LBB6_2
; %bb.1:
	s_clause 0x3
	global_load_u8 v6, v[1:2], off
	global_load_u8 v7, v[1:2], off offset:1024
	global_load_u8 v8, v[1:2], off offset:2048
	global_load_u8 v3, v[1:2], off offset:3072
	s_add_u32 s0, s8, s3
	s_addc_u32 s1, s9, 0
	v_add_co_u32 v4, s0, s0, v0
	s_delay_alu instid0(VALU_DEP_1)
	v_add_co_ci_u32_e64 v5, null, s1, 0, s0
	s_mov_b32 s4, -1
	s_waitcnt vmcnt(3)
	global_store_b8 v[4:5], v6, off
	s_waitcnt vmcnt(2)
	global_store_b8 v[4:5], v7, off offset:1024
	s_waitcnt vmcnt(1)
	global_store_b8 v[4:5], v8, off offset:2048
	s_cbranch_execz .LBB6_3
	s_branch .LBB6_17
.LBB6_2:
                                        ; implicit-def: $vgpr3
	s_and_not1_b32 vcc_lo, exec_lo, s0
	s_cbranch_vccnz .LBB6_17
.LBB6_3:
	s_sub_i32 s2, s6, s3
                                        ; implicit-def: $vgpr4
	s_delay_alu instid0(SALU_CYCLE_1)
	v_cmp_gt_u32_e32 vcc_lo, s2, v0
	s_and_saveexec_b32 s0, vcc_lo
	s_cbranch_execz .LBB6_5
; %bb.4:
	global_load_u8 v4, v[1:2], off
.LBB6_5:
	s_or_b32 exec_lo, exec_lo, s0
	s_waitcnt vmcnt(0)
	v_or_b32_e32 v3, 0x400, v0
                                        ; implicit-def: $vgpr6
	s_delay_alu instid0(VALU_DEP_1) | instskip(NEXT) | instid1(VALU_DEP_1)
	v_cmp_gt_u32_e64 s0, s2, v3
	s_and_saveexec_b32 s1, s0
	s_cbranch_execz .LBB6_7
; %bb.6:
	global_load_u8 v6, v[1:2], off offset:1024
.LBB6_7:
	s_or_b32 exec_lo, exec_lo, s1
	v_or_b32_e32 v3, 0x800, v0
	s_delay_alu instid0(VALU_DEP_1) | instskip(NEXT) | instid1(VALU_DEP_1)
	v_cmp_gt_u32_e64 s1, s2, v3
                                        ; implicit-def: $vgpr3
	s_and_saveexec_b32 s5, s1
	s_cbranch_execz .LBB6_9
; %bb.8:
	global_load_u8 v3, v[1:2], off offset:2048
.LBB6_9:
	s_or_b32 exec_lo, exec_lo, s5
	v_or_b32_e32 v5, 0xc00, v0
	s_delay_alu instid0(VALU_DEP_1) | instskip(NEXT) | instid1(VALU_DEP_1)
	v_cmp_gt_u32_e64 s2, s2, v5
                                        ; implicit-def: $vgpr5
	s_and_saveexec_b32 s5, s2
	s_cbranch_execz .LBB6_11
; %bb.10:
	global_load_u8 v5, v[1:2], off offset:3072
.LBB6_11:
	s_or_b32 exec_lo, exec_lo, s5
	v_and_b32_e32 v1, 0xff, v4
	s_waitcnt vmcnt(0)
	v_lshlrev_b16 v2, 8, v6
	v_and_b32_e32 v4, 0xff, v3
	v_lshlrev_b16 v6, 8, v5
	s_add_u32 s5, s8, s3
	s_addc_u32 s6, s9, 0
	v_or_b32_e32 v1, v1, v2
	s_delay_alu instid0(VALU_DEP_2) | instskip(NEXT) | instid1(VALU_DEP_2)
	v_or_b32_e32 v2, v4, v6
	v_and_b32_e32 v1, 0xffff, v1
	s_delay_alu instid0(VALU_DEP_2) | instskip(NEXT) | instid1(VALU_DEP_1)
	v_lshlrev_b32_e32 v2, 16, v2
	v_or_b32_e32 v4, v1, v2
	v_add_co_u32 v1, s5, s5, v0
	s_delay_alu instid0(VALU_DEP_1)
	v_add_co_ci_u32_e64 v2, null, s6, 0, s5
	s_and_saveexec_b32 s5, vcc_lo
	s_cbranch_execnz .LBB6_20
; %bb.12:
	s_or_b32 exec_lo, exec_lo, s5
	s_and_saveexec_b32 s5, s0
	s_cbranch_execnz .LBB6_21
.LBB6_13:
	s_or_b32 exec_lo, exec_lo, s5
	v_perm_b32 v4, v4, v4, 0x7060104
	s_and_saveexec_b32 s0, s1
	s_cbranch_execnz .LBB6_22
.LBB6_14:
	s_or_b32 exec_lo, exec_lo, s0
                                        ; implicit-def: $vgpr3
	s_and_saveexec_b32 s0, s2
.LBB6_15:
	v_lshlrev_b32_e32 v1, 24, v5
	s_or_b32 s4, s4, exec_lo
	s_delay_alu instid0(VALU_DEP_1) | instskip(NEXT) | instid1(VALU_DEP_1)
	v_cndmask_b32_e64 v1, v4, v1, s2
	v_lshrrev_b32_e32 v3, 24, v1
.LBB6_16:
	s_or_b32 exec_lo, exec_lo, s0
.LBB6_17:
	s_and_saveexec_b32 s0, s4
	s_cbranch_execnz .LBB6_19
; %bb.18:
	s_nop 0
	s_sendmsg sendmsg(MSG_DEALLOC_VGPRS)
	s_endpgm
.LBB6_19:
	s_add_u32 s0, s8, s3
	s_addc_u32 s1, s9, 0
	v_add_co_u32 v0, s0, s0, v0
	s_delay_alu instid0(VALU_DEP_1)
	v_add_co_ci_u32_e64 v1, null, s1, 0, s0
	s_waitcnt vmcnt(0)
	global_store_b8 v[0:1], v3, off offset:3072
	s_nop 0
	s_sendmsg sendmsg(MSG_DEALLOC_VGPRS)
	s_endpgm
.LBB6_20:
	global_store_b8 v[1:2], v4, off
	s_or_b32 exec_lo, exec_lo, s5
	s_and_saveexec_b32 s5, s0
	s_cbranch_execz .LBB6_13
.LBB6_21:
	v_lshrrev_b32_e32 v6, 8, v4
	global_store_b8 v[1:2], v6, off offset:1024
	s_or_b32 exec_lo, exec_lo, s5
	v_perm_b32 v4, v4, v4, 0x7060104
	s_and_saveexec_b32 s0, s1
	s_cbranch_execz .LBB6_14
.LBB6_22:
	v_lshlrev_b32_e32 v3, 16, v3
	s_delay_alu instid0(VALU_DEP_1)
	v_cndmask_b32_e64 v3, v4, v3, s1
	global_store_d16_hi_b8 v[1:2], v3, off offset:2048
	s_or_b32 exec_lo, exec_lo, s0
                                        ; implicit-def: $vgpr3
	s_and_saveexec_b32 s0, s2
	s_cbranch_execnz .LBB6_15
	s_branch .LBB6_16
	.section	.rodata,"a",@progbits
	.p2align	6, 0x0
	.amdhsa_kernel _ZN7rocprim17ROCPRIM_304000_NS6detail16transform_kernelINS1_24wrapped_transform_configINS0_14default_configEhEEhPhS6_NS0_8identityIhEEEEvT1_mT2_T3_
		.amdhsa_group_segment_fixed_size 0
		.amdhsa_private_segment_fixed_size 0
		.amdhsa_kernarg_size 288
		.amdhsa_user_sgpr_count 15
		.amdhsa_user_sgpr_dispatch_ptr 0
		.amdhsa_user_sgpr_queue_ptr 0
		.amdhsa_user_sgpr_kernarg_segment_ptr 1
		.amdhsa_user_sgpr_dispatch_id 0
		.amdhsa_user_sgpr_private_segment_size 0
		.amdhsa_wavefront_size32 1
		.amdhsa_uses_dynamic_stack 0
		.amdhsa_enable_private_segment 0
		.amdhsa_system_sgpr_workgroup_id_x 1
		.amdhsa_system_sgpr_workgroup_id_y 0
		.amdhsa_system_sgpr_workgroup_id_z 0
		.amdhsa_system_sgpr_workgroup_info 0
		.amdhsa_system_vgpr_workitem_id 0
		.amdhsa_next_free_vgpr 9
		.amdhsa_next_free_sgpr 16
		.amdhsa_reserve_vcc 1
		.amdhsa_float_round_mode_32 0
		.amdhsa_float_round_mode_16_64 0
		.amdhsa_float_denorm_mode_32 3
		.amdhsa_float_denorm_mode_16_64 3
		.amdhsa_dx10_clamp 1
		.amdhsa_ieee_mode 1
		.amdhsa_fp16_overflow 0
		.amdhsa_workgroup_processor_mode 1
		.amdhsa_memory_ordered 1
		.amdhsa_forward_progress 0
		.amdhsa_shared_vgpr_count 0
		.amdhsa_exception_fp_ieee_invalid_op 0
		.amdhsa_exception_fp_denorm_src 0
		.amdhsa_exception_fp_ieee_div_zero 0
		.amdhsa_exception_fp_ieee_overflow 0
		.amdhsa_exception_fp_ieee_underflow 0
		.amdhsa_exception_fp_ieee_inexact 0
		.amdhsa_exception_int_div_zero 0
	.end_amdhsa_kernel
	.section	.text._ZN7rocprim17ROCPRIM_304000_NS6detail16transform_kernelINS1_24wrapped_transform_configINS0_14default_configEhEEhPhS6_NS0_8identityIhEEEEvT1_mT2_T3_,"axG",@progbits,_ZN7rocprim17ROCPRIM_304000_NS6detail16transform_kernelINS1_24wrapped_transform_configINS0_14default_configEhEEhPhS6_NS0_8identityIhEEEEvT1_mT2_T3_,comdat
.Lfunc_end6:
	.size	_ZN7rocprim17ROCPRIM_304000_NS6detail16transform_kernelINS1_24wrapped_transform_configINS0_14default_configEhEEhPhS6_NS0_8identityIhEEEEvT1_mT2_T3_, .Lfunc_end6-_ZN7rocprim17ROCPRIM_304000_NS6detail16transform_kernelINS1_24wrapped_transform_configINS0_14default_configEhEEhPhS6_NS0_8identityIhEEEEvT1_mT2_T3_
                                        ; -- End function
	.section	.AMDGPU.csdata,"",@progbits
; Kernel info:
; codeLenInByte = 704
; NumSgprs: 18
; NumVgprs: 9
; ScratchSize: 0
; MemoryBound: 0
; FloatMode: 240
; IeeeMode: 1
; LDSByteSize: 0 bytes/workgroup (compile time only)
; SGPRBlocks: 2
; VGPRBlocks: 1
; NumSGPRsForWavesPerEU: 18
; NumVGPRsForWavesPerEU: 9
; Occupancy: 16
; WaveLimiterHint : 1
; COMPUTE_PGM_RSRC2:SCRATCH_EN: 0
; COMPUTE_PGM_RSRC2:USER_SGPR: 15
; COMPUTE_PGM_RSRC2:TRAP_HANDLER: 0
; COMPUTE_PGM_RSRC2:TGID_X_EN: 1
; COMPUTE_PGM_RSRC2:TGID_Y_EN: 0
; COMPUTE_PGM_RSRC2:TGID_Z_EN: 0
; COMPUTE_PGM_RSRC2:TIDIG_COMP_CNT: 0
	.section	.text._ZN7rocprim17ROCPRIM_304000_NS6detail18single_scan_kernelILb0ENS1_19wrapped_scan_configINS0_14default_configEhEEPKhPhSt4plusIhEhhEEvT1_mT4_T2_T3_,"axG",@progbits,_ZN7rocprim17ROCPRIM_304000_NS6detail18single_scan_kernelILb0ENS1_19wrapped_scan_configINS0_14default_configEhEEPKhPhSt4plusIhEhhEEvT1_mT4_T2_T3_,comdat
	.protected	_ZN7rocprim17ROCPRIM_304000_NS6detail18single_scan_kernelILb0ENS1_19wrapped_scan_configINS0_14default_configEhEEPKhPhSt4plusIhEhhEEvT1_mT4_T2_T3_ ; -- Begin function _ZN7rocprim17ROCPRIM_304000_NS6detail18single_scan_kernelILb0ENS1_19wrapped_scan_configINS0_14default_configEhEEPKhPhSt4plusIhEhhEEvT1_mT4_T2_T3_
	.globl	_ZN7rocprim17ROCPRIM_304000_NS6detail18single_scan_kernelILb0ENS1_19wrapped_scan_configINS0_14default_configEhEEPKhPhSt4plusIhEhhEEvT1_mT4_T2_T3_
	.p2align	8
	.type	_ZN7rocprim17ROCPRIM_304000_NS6detail18single_scan_kernelILb0ENS1_19wrapped_scan_configINS0_14default_configEhEEPKhPhSt4plusIhEhhEEvT1_mT4_T2_T3_,@function
_ZN7rocprim17ROCPRIM_304000_NS6detail18single_scan_kernelILb0ENS1_19wrapped_scan_configINS0_14default_configEhEEPKhPhSt4plusIhEhhEEvT1_mT4_T2_T3_: ; @_ZN7rocprim17ROCPRIM_304000_NS6detail18single_scan_kernelILb0ENS1_19wrapped_scan_configINS0_14default_configEhEEPKhPhSt4plusIhEhhEEvT1_mT4_T2_T3_
; %bb.0:
	s_load_b128 s[24:27], s[0:1], 0x0
	v_mov_b32_e32 v1, 0
	s_waitcnt lgkmcnt(0)
	global_load_u8 v3, v1, s[24:25]
	v_add_co_u32 v1, s2, s24, v0
	s_delay_alu instid0(VALU_DEP_1)
	v_add_co_ci_u32_e64 v2, null, s25, 0, s2
	v_cmp_gt_u32_e32 vcc_lo, s26, v0
	s_waitcnt vmcnt(0)
	v_mov_b32_e32 v4, v3
	s_and_saveexec_b32 s2, vcc_lo
	s_cbranch_execz .LBB7_2
; %bb.1:
	global_load_u8 v4, v[1:2], off
.LBB7_2:
	s_or_b32 exec_lo, exec_lo, s2
	v_or_b32_e32 v5, 0x100, v0
	s_delay_alu instid0(VALU_DEP_1) | instskip(SKIP_1) | instid1(VALU_DEP_2)
	v_cmp_gt_u32_e64 s2, s26, v5
	v_mov_b32_e32 v5, v3
	s_and_saveexec_b32 s3, s2
	s_cbranch_execz .LBB7_4
; %bb.3:
	global_load_u8 v5, v[1:2], off offset:256
.LBB7_4:
	s_or_b32 exec_lo, exec_lo, s3
	v_or_b32_e32 v6, 0x200, v0
	s_delay_alu instid0(VALU_DEP_1) | instskip(SKIP_1) | instid1(VALU_DEP_2)
	v_cmp_gt_u32_e64 s3, s26, v6
	v_mov_b32_e32 v6, v3
	s_and_saveexec_b32 s4, s3
	s_cbranch_execz .LBB7_6
; %bb.5:
	global_load_u8 v6, v[1:2], off offset:512
.LBB7_6:
	s_or_b32 exec_lo, exec_lo, s4
	v_or_b32_e32 v7, 0x300, v0
	s_delay_alu instid0(VALU_DEP_1) | instskip(SKIP_1) | instid1(VALU_DEP_2)
	v_cmp_gt_u32_e64 s4, s26, v7
	v_mov_b32_e32 v7, v3
	s_and_saveexec_b32 s5, s4
	s_cbranch_execz .LBB7_8
; %bb.7:
	global_load_u8 v7, v[1:2], off offset:768
.LBB7_8:
	s_or_b32 exec_lo, exec_lo, s5
	v_or_b32_e32 v8, 0x400, v0
	s_delay_alu instid0(VALU_DEP_1) | instskip(SKIP_1) | instid1(VALU_DEP_2)
	v_cmp_gt_u32_e64 s5, s26, v8
	v_mov_b32_e32 v8, v3
	s_and_saveexec_b32 s6, s5
	s_cbranch_execz .LBB7_10
; %bb.9:
	global_load_u8 v8, v[1:2], off offset:1024
.LBB7_10:
	s_or_b32 exec_lo, exec_lo, s6
	v_or_b32_e32 v9, 0x500, v0
	s_delay_alu instid0(VALU_DEP_1) | instskip(SKIP_1) | instid1(VALU_DEP_2)
	v_cmp_gt_u32_e64 s6, s26, v9
	v_mov_b32_e32 v9, v3
	s_and_saveexec_b32 s7, s6
	s_cbranch_execz .LBB7_12
; %bb.11:
	global_load_u8 v9, v[1:2], off offset:1280
.LBB7_12:
	s_or_b32 exec_lo, exec_lo, s7
	v_or_b32_e32 v10, 0x600, v0
	s_delay_alu instid0(VALU_DEP_1) | instskip(SKIP_1) | instid1(VALU_DEP_2)
	v_cmp_gt_u32_e64 s7, s26, v10
	v_mov_b32_e32 v10, v3
	s_and_saveexec_b32 s8, s7
	s_cbranch_execz .LBB7_14
; %bb.13:
	global_load_u8 v10, v[1:2], off offset:1536
.LBB7_14:
	s_or_b32 exec_lo, exec_lo, s8
	v_or_b32_e32 v11, 0x700, v0
	s_delay_alu instid0(VALU_DEP_1) | instskip(SKIP_1) | instid1(VALU_DEP_2)
	v_cmp_gt_u32_e64 s8, s26, v11
	v_mov_b32_e32 v11, v3
	s_and_saveexec_b32 s9, s8
	s_cbranch_execz .LBB7_16
; %bb.15:
	global_load_u8 v11, v[1:2], off offset:1792
.LBB7_16:
	s_or_b32 exec_lo, exec_lo, s9
	v_or_b32_e32 v12, 0x800, v0
	s_delay_alu instid0(VALU_DEP_1) | instskip(SKIP_1) | instid1(VALU_DEP_2)
	v_cmp_gt_u32_e64 s9, s26, v12
	v_mov_b32_e32 v12, v3
	s_and_saveexec_b32 s10, s9
	s_cbranch_execz .LBB7_18
; %bb.17:
	global_load_u8 v12, v[1:2], off offset:2048
.LBB7_18:
	s_or_b32 exec_lo, exec_lo, s10
	v_or_b32_e32 v13, 0x900, v0
	s_delay_alu instid0(VALU_DEP_1) | instskip(SKIP_1) | instid1(VALU_DEP_2)
	v_cmp_gt_u32_e64 s10, s26, v13
	v_mov_b32_e32 v13, v3
	s_and_saveexec_b32 s11, s10
	s_cbranch_execz .LBB7_20
; %bb.19:
	global_load_u8 v13, v[1:2], off offset:2304
.LBB7_20:
	s_or_b32 exec_lo, exec_lo, s11
	v_or_b32_e32 v14, 0xa00, v0
	s_delay_alu instid0(VALU_DEP_1) | instskip(SKIP_1) | instid1(VALU_DEP_2)
	v_cmp_gt_u32_e64 s11, s26, v14
	v_mov_b32_e32 v14, v3
	s_and_saveexec_b32 s12, s11
	s_cbranch_execz .LBB7_22
; %bb.21:
	global_load_u8 v14, v[1:2], off offset:2560
.LBB7_22:
	s_or_b32 exec_lo, exec_lo, s12
	v_or_b32_e32 v15, 0xb00, v0
	s_delay_alu instid0(VALU_DEP_1) | instskip(SKIP_1) | instid1(VALU_DEP_2)
	v_cmp_gt_u32_e64 s12, s26, v15
	v_mov_b32_e32 v15, v3
	s_and_saveexec_b32 s13, s12
	s_cbranch_execz .LBB7_24
; %bb.23:
	global_load_u8 v15, v[1:2], off offset:2816
.LBB7_24:
	s_or_b32 exec_lo, exec_lo, s13
	v_or_b32_e32 v16, 0xc00, v0
	s_delay_alu instid0(VALU_DEP_1) | instskip(SKIP_1) | instid1(VALU_DEP_2)
	v_cmp_gt_u32_e64 s13, s26, v16
	v_mov_b32_e32 v16, v3
	s_and_saveexec_b32 s14, s13
	s_cbranch_execz .LBB7_26
; %bb.25:
	global_load_u8 v16, v[1:2], off offset:3072
.LBB7_26:
	s_or_b32 exec_lo, exec_lo, s14
	v_or_b32_e32 v17, 0xd00, v0
	s_delay_alu instid0(VALU_DEP_1) | instskip(SKIP_1) | instid1(VALU_DEP_2)
	v_cmp_gt_u32_e64 s14, s26, v17
	v_mov_b32_e32 v17, v3
	s_and_saveexec_b32 s15, s14
	s_cbranch_execz .LBB7_28
; %bb.27:
	global_load_u8 v17, v[1:2], off offset:3328
.LBB7_28:
	s_or_b32 exec_lo, exec_lo, s15
	v_or_b32_e32 v18, 0xe00, v0
	s_delay_alu instid0(VALU_DEP_1) | instskip(SKIP_1) | instid1(VALU_DEP_2)
	v_cmp_gt_u32_e64 s15, s26, v18
	v_mov_b32_e32 v18, v3
	s_and_saveexec_b32 s16, s15
	s_cbranch_execz .LBB7_30
; %bb.29:
	global_load_u8 v18, v[1:2], off offset:3584
.LBB7_30:
	s_or_b32 exec_lo, exec_lo, s16
	v_or_b32_e32 v19, 0xf00, v0
	s_delay_alu instid0(VALU_DEP_1) | instskip(SKIP_1) | instid1(VALU_DEP_2)
	v_cmp_gt_u32_e64 s16, s26, v19
	v_mov_b32_e32 v19, v3
	s_and_saveexec_b32 s17, s16
	s_cbranch_execz .LBB7_32
; %bb.31:
	global_load_u8 v19, v[1:2], off offset:3840
.LBB7_32:
	s_or_b32 exec_lo, exec_lo, s17
	v_or_b32_e32 v20, 0x1000, v0
	s_delay_alu instid0(VALU_DEP_1) | instskip(SKIP_1) | instid1(VALU_DEP_2)
	v_cmp_gt_u32_e64 s17, s26, v20
	v_mov_b32_e32 v20, v3
	s_and_saveexec_b32 s19, s17
	s_cbranch_execz .LBB7_34
; %bb.33:
	v_add_co_u32 v20, s18, 0x1000, v1
	s_delay_alu instid0(VALU_DEP_1)
	v_add_co_ci_u32_e64 v21, s18, 0, v2, s18
	global_load_u8 v20, v[20:21], off
.LBB7_34:
	s_or_b32 exec_lo, exec_lo, s19
	v_or_b32_e32 v21, 0x1100, v0
	s_delay_alu instid0(VALU_DEP_1) | instskip(SKIP_1) | instid1(VALU_DEP_2)
	v_cmp_gt_u32_e64 s18, s26, v21
	v_mov_b32_e32 v21, v3
	s_and_saveexec_b32 s20, s18
	s_cbranch_execz .LBB7_36
; %bb.35:
	v_add_co_u32 v21, s19, 0x1000, v1
	s_delay_alu instid0(VALU_DEP_1)
	v_add_co_ci_u32_e64 v22, s19, 0, v2, s19
	global_load_u8 v21, v[21:22], off offset:256
.LBB7_36:
	s_or_b32 exec_lo, exec_lo, s20
	v_or_b32_e32 v22, 0x1200, v0
	s_delay_alu instid0(VALU_DEP_1) | instskip(SKIP_1) | instid1(VALU_DEP_2)
	v_cmp_gt_u32_e64 s19, s26, v22
	v_mov_b32_e32 v22, v3
	s_and_saveexec_b32 s21, s19
	s_cbranch_execz .LBB7_38
; %bb.37:
	v_add_co_u32 v22, s20, 0x1000, v1
	s_delay_alu instid0(VALU_DEP_1)
	v_add_co_ci_u32_e64 v23, s20, 0, v2, s20
	global_load_u8 v22, v[22:23], off offset:512
.LBB7_38:
	s_or_b32 exec_lo, exec_lo, s21
	v_or_b32_e32 v23, 0x1300, v0
	s_delay_alu instid0(VALU_DEP_1) | instskip(SKIP_1) | instid1(VALU_DEP_2)
	v_cmp_gt_u32_e64 s20, s26, v23
	v_mov_b32_e32 v23, v3
	s_and_saveexec_b32 s22, s20
	s_cbranch_execz .LBB7_40
; %bb.39:
	v_add_co_u32 v23, s21, 0x1000, v1
	s_delay_alu instid0(VALU_DEP_1)
	v_add_co_ci_u32_e64 v24, s21, 0, v2, s21
	global_load_u8 v23, v[23:24], off offset:768
.LBB7_40:
	s_or_b32 exec_lo, exec_lo, s22
	v_or_b32_e32 v24, 0x1400, v0
	s_delay_alu instid0(VALU_DEP_1) | instskip(SKIP_1) | instid1(VALU_DEP_2)
	v_cmp_gt_u32_e64 s21, s26, v24
	v_mov_b32_e32 v24, v3
	s_and_saveexec_b32 s23, s21
	s_cbranch_execz .LBB7_42
; %bb.41:
	v_add_co_u32 v24, s22, 0x1000, v1
	s_delay_alu instid0(VALU_DEP_1)
	v_add_co_ci_u32_e64 v25, s22, 0, v2, s22
	global_load_u8 v24, v[24:25], off offset:1024
.LBB7_42:
	s_or_b32 exec_lo, exec_lo, s23
	v_or_b32_e32 v25, 0x1500, v0
	s_delay_alu instid0(VALU_DEP_1) | instskip(SKIP_1) | instid1(VALU_DEP_2)
	v_cmp_gt_u32_e64 s22, s26, v25
	v_mov_b32_e32 v25, v3
	s_and_saveexec_b32 s24, s22
	s_cbranch_execz .LBB7_44
; %bb.43:
	v_add_co_u32 v25, s23, 0x1000, v1
	s_delay_alu instid0(VALU_DEP_1)
	v_add_co_ci_u32_e64 v26, s23, 0, v2, s23
	global_load_u8 v25, v[25:26], off offset:1280
.LBB7_44:
	s_or_b32 exec_lo, exec_lo, s24
	v_or_b32_e32 v26, 0x1600, v0
	s_delay_alu instid0(VALU_DEP_1) | instskip(SKIP_1) | instid1(VALU_DEP_2)
	v_cmp_gt_u32_e64 s23, s26, v26
	v_mov_b32_e32 v26, v3
	s_and_saveexec_b32 s25, s23
	s_cbranch_execz .LBB7_46
; %bb.45:
	v_add_co_u32 v26, s24, 0x1000, v1
	s_delay_alu instid0(VALU_DEP_1)
	v_add_co_ci_u32_e64 v27, s24, 0, v2, s24
	global_load_u8 v26, v[26:27], off offset:1536
.LBB7_46:
	s_or_b32 exec_lo, exec_lo, s25
	v_or_b32_e32 v27, 0x1700, v0
	s_delay_alu instid0(VALU_DEP_1) | instskip(NEXT) | instid1(VALU_DEP_1)
	v_cmp_gt_u32_e64 s24, s26, v27
	s_and_saveexec_b32 s26, s24
	s_cbranch_execz .LBB7_48
; %bb.47:
	v_add_co_u32 v1, s25, 0x1000, v1
	s_delay_alu instid0(VALU_DEP_1)
	v_add_co_ci_u32_e64 v2, s25, 0, v2, s25
	global_load_u8 v3, v[1:2], off offset:1792
.LBB7_48:
	s_or_b32 exec_lo, exec_lo, s26
	s_waitcnt vmcnt(0)
	ds_store_b8 v0, v4
	ds_store_b8 v0, v5 offset:256
	ds_store_b8 v0, v6 offset:512
	;; [unrolled: 1-line block ×15, first 2 shown]
	v_mad_u32_u24 v5, v0, 23, v0
	ds_store_b8 v0, v20 offset:4096
	ds_store_b8 v0, v21 offset:4352
	;; [unrolled: 1-line block ×8, first 2 shown]
	s_waitcnt lgkmcnt(0)
	s_barrier
	buffer_gl0_inv
	ds_load_2addr_b64 v[1:4], v5 offset1:1
	ds_load_b64 v[5:6], v5 offset:16
	v_or_b32_e32 v29, 31, v0
	s_mov_b32 s26, exec_lo
	s_waitcnt lgkmcnt(0)
	s_barrier
	buffer_gl0_inv
	v_lshrrev_b32_e32 v14, 8, v1
	v_lshrrev_b32_e32 v15, 16, v1
	;; [unrolled: 1-line block ×5, first 2 shown]
	v_add_nc_u16 v7, v14, v1
	v_lshrrev_b32_e32 v20, 24, v2
	v_lshrrev_b32_e32 v21, 8, v3
	v_lshrrev_b32_e32 v22, 16, v3
	v_lshrrev_b32_e32 v23, 24, v3
	v_add_nc_u16 v7, v7, v15
	v_lshrrev_b32_e32 v24, 8, v4
	v_lshrrev_b32_e32 v16, 16, v4
	v_lshrrev_b32_e32 v13, 24, v4
	v_lshrrev_b32_e32 v12, 8, v5
	;; [unrolled: 5-line block ×3, first 2 shown]
	v_add_nc_u16 v7, v7, v2
	s_delay_alu instid0(VALU_DEP_1) | instskip(NEXT) | instid1(VALU_DEP_1)
	v_add_nc_u16 v7, v7, v18
	v_add_nc_u16 v7, v7, v19
	s_delay_alu instid0(VALU_DEP_1) | instskip(NEXT) | instid1(VALU_DEP_1)
	v_add_nc_u16 v7, v7, v20
	;; [unrolled: 3-line block ×8, first 2 shown]
	v_add_nc_u16 v7, v7, v6
	s_delay_alu instid0(VALU_DEP_1) | instskip(SKIP_1) | instid1(VALU_DEP_2)
	v_add_nc_u16 v25, v7, v9
	v_lshrrev_b32_e32 v7, 24, v6
	v_add_nc_u16 v25, v25, v8
	s_delay_alu instid0(VALU_DEP_1) | instskip(SKIP_1) | instid1(VALU_DEP_2)
	v_add_nc_u16 v26, v25, v7
	v_mbcnt_lo_u32_b32 v25, -1, 0
	v_and_b32_e32 v27, 0xff, v26
	s_delay_alu instid0(VALU_DEP_2) | instskip(NEXT) | instid1(VALU_DEP_2)
	v_and_b32_e32 v28, 15, v25
	v_mov_b32_dpp v27, v27 row_shr:1 row_mask:0xf bank_mask:0xf
	s_delay_alu instid0(VALU_DEP_2) | instskip(NEXT) | instid1(VALU_DEP_1)
	v_cmp_ne_u32_e64 s25, 0, v28
	v_cndmask_b32_e64 v27, 0, v27, s25
	v_cmp_lt_u32_e64 s25, 1, v28
	s_delay_alu instid0(VALU_DEP_2) | instskip(NEXT) | instid1(VALU_DEP_1)
	v_add_nc_u16 v26, v27, v26
	v_and_b32_e32 v27, 0xff, v26
	s_delay_alu instid0(VALU_DEP_1) | instskip(NEXT) | instid1(VALU_DEP_1)
	v_mov_b32_dpp v27, v27 row_shr:2 row_mask:0xf bank_mask:0xf
	v_cndmask_b32_e64 v27, 0, v27, s25
	v_cmp_lt_u32_e64 s25, 3, v28
	s_delay_alu instid0(VALU_DEP_2) | instskip(NEXT) | instid1(VALU_DEP_1)
	v_add_nc_u16 v26, v26, v27
	v_and_b32_e32 v27, 0xff, v26
	s_delay_alu instid0(VALU_DEP_1) | instskip(NEXT) | instid1(VALU_DEP_1)
	v_mov_b32_dpp v27, v27 row_shr:4 row_mask:0xf bank_mask:0xf
	v_cndmask_b32_e64 v27, 0, v27, s25
	v_cmp_lt_u32_e64 s25, 7, v28
	v_and_b32_e32 v28, 16, v25
	s_delay_alu instid0(VALU_DEP_3) | instskip(NEXT) | instid1(VALU_DEP_1)
	v_add_nc_u16 v26, v26, v27
	v_and_b32_e32 v27, 0xff, v26
	s_delay_alu instid0(VALU_DEP_1) | instskip(NEXT) | instid1(VALU_DEP_1)
	v_mov_b32_dpp v27, v27 row_shr:8 row_mask:0xf bank_mask:0xf
	v_cndmask_b32_e64 v27, 0, v27, s25
	v_cmp_ne_u32_e64 s25, 0, v28
	v_lshrrev_b32_e32 v28, 5, v0
	s_delay_alu instid0(VALU_DEP_3) | instskip(NEXT) | instid1(VALU_DEP_1)
	v_add_nc_u16 v26, v26, v27
	v_and_b32_e32 v27, 0xff, v26
	ds_swizzle_b32 v27, v27 offset:swizzle(BROADCAST,32,15)
	s_waitcnt lgkmcnt(0)
	v_cndmask_b32_e64 v27, 0, v27, s25
	s_delay_alu instid0(VALU_DEP_1)
	v_add_nc_u16 v27, v26, v27
	v_cmpx_eq_u32_e64 v29, v0
	s_cbranch_execz .LBB7_50
; %bb.49:
	ds_store_b8 v28, v27
.LBB7_50:
	s_or_b32 exec_lo, exec_lo, s26
	s_delay_alu instid0(SALU_CYCLE_1)
	s_mov_b32 s26, exec_lo
	s_waitcnt lgkmcnt(0)
	s_barrier
	buffer_gl0_inv
	v_cmpx_gt_u32_e32 8, v0
	s_cbranch_execz .LBB7_52
; %bb.51:
	ds_load_u8 v26, v0
	v_and_b32_e32 v30, 7, v25
	s_delay_alu instid0(VALU_DEP_1) | instskip(SKIP_2) | instid1(VALU_DEP_1)
	v_cmp_ne_u32_e64 s25, 0, v30
	s_waitcnt lgkmcnt(0)
	v_and_b32_e32 v29, 0xff, v26
	v_mov_b32_dpp v29, v29 row_shr:1 row_mask:0xf bank_mask:0xf
	s_delay_alu instid0(VALU_DEP_1) | instskip(SKIP_1) | instid1(VALU_DEP_2)
	v_cndmask_b32_e64 v29, 0, v29, s25
	v_cmp_lt_u32_e64 s25, 1, v30
	v_add_nc_u16 v26, v29, v26
	s_delay_alu instid0(VALU_DEP_1) | instskip(NEXT) | instid1(VALU_DEP_1)
	v_and_b32_e32 v29, 0xff, v26
	v_mov_b32_dpp v29, v29 row_shr:2 row_mask:0xf bank_mask:0xf
	s_delay_alu instid0(VALU_DEP_1) | instskip(SKIP_1) | instid1(VALU_DEP_2)
	v_cndmask_b32_e64 v29, 0, v29, s25
	v_cmp_lt_u32_e64 s25, 3, v30
	v_add_nc_u16 v26, v26, v29
	s_delay_alu instid0(VALU_DEP_1) | instskip(NEXT) | instid1(VALU_DEP_1)
	v_and_b32_e32 v29, 0xff, v26
	v_mov_b32_dpp v29, v29 row_shr:4 row_mask:0xf bank_mask:0xf
	s_delay_alu instid0(VALU_DEP_1) | instskip(NEXT) | instid1(VALU_DEP_1)
	v_cndmask_b32_e64 v29, 0, v29, s25
	v_add_nc_u16 v26, v26, v29
	ds_store_b8 v0, v26
.LBB7_52:
	s_or_b32 exec_lo, exec_lo, s26
	v_mul_u32_u24_e32 v26, 23, v0
	s_mov_b32 s26, exec_lo
	s_waitcnt lgkmcnt(0)
	s_barrier
	buffer_gl0_inv
                                        ; implicit-def: $vgpr29
	v_cmpx_lt_u32_e32 31, v0
	s_cbranch_execz .LBB7_54
; %bb.53:
	v_add_nc_u32_e32 v28, -1, v28
	ds_load_u8 v29, v28
	s_waitcnt lgkmcnt(0)
	v_add_nc_u16 v27, v29, v27
.LBB7_54:
	s_or_b32 exec_lo, exec_lo, s26
	v_add_nc_u32_e32 v28, -1, v25
	s_delay_alu instid0(VALU_DEP_2) | instskip(SKIP_4) | instid1(VALU_DEP_1)
	v_and_b32_e32 v27, 0xff, v27
	s_barrier
	buffer_gl0_inv
	v_cmp_gt_i32_e64 s25, 0, v28
	s_load_b64 s[0:1], s[0:1], 0x18
	v_cndmask_b32_e64 v28, v28, v25, s25
	v_cmp_eq_u32_e64 s25, 0, v25
	s_delay_alu instid0(VALU_DEP_2) | instskip(SKIP_4) | instid1(VALU_DEP_1)
	v_lshlrev_b32_e32 v28, 2, v28
	ds_bpermute_b32 v27, v28, v27
	s_waitcnt lgkmcnt(0)
	v_cndmask_b32_e64 v25, v27, v29, s25
	v_cmp_ne_u32_e64 s25, 0, v0
	v_cndmask_b32_e64 v25, 0, v25, s25
	s_delay_alu instid0(VALU_DEP_1) | instskip(NEXT) | instid1(VALU_DEP_1)
	v_add_nc_u16 v1, v25, v1
	v_add_nc_u16 v14, v1, v14
	v_and_b32_e32 v1, 0xff, v1
	s_delay_alu instid0(VALU_DEP_2) | instskip(SKIP_1) | instid1(VALU_DEP_2)
	v_add_nc_u16 v15, v14, v15
	v_lshlrev_b16 v14, 8, v14
	v_add_nc_u16 v17, v15, v17
	v_and_b32_e32 v15, 0xff, v15
	s_delay_alu instid0(VALU_DEP_3) | instskip(NEXT) | instid1(VALU_DEP_3)
	v_or_b32_e32 v1, v1, v14
	v_add_nc_u16 v2, v17, v2
	v_lshlrev_b16 v17, 8, v17
	s_delay_alu instid0(VALU_DEP_3) | instskip(NEXT) | instid1(VALU_DEP_3)
	v_and_b32_e32 v1, 0xffff, v1
	v_add_nc_u16 v18, v2, v18
	s_delay_alu instid0(VALU_DEP_3) | instskip(SKIP_1) | instid1(VALU_DEP_3)
	v_or_b32_e32 v14, v15, v17
	v_and_b32_e32 v2, 0xff, v2
	v_add_nc_u16 v19, v18, v19
	v_lshlrev_b16 v15, 8, v18
	s_delay_alu instid0(VALU_DEP_4) | instskip(SKIP_1) | instid1(VALU_DEP_4)
	v_lshlrev_b32_e32 v14, 16, v14
	v_add_nc_u32_e32 v18, v0, v26
	v_add_nc_u16 v20, v19, v20
	s_delay_alu instid0(VALU_DEP_4) | instskip(SKIP_2) | instid1(VALU_DEP_4)
	v_or_b32_e32 v2, v2, v15
	v_and_b32_e32 v15, 0xff, v19
	v_or_b32_e32 v1, v1, v14
	v_add_nc_u16 v3, v20, v3
	v_lshlrev_b16 v17, 8, v20
	v_and_b32_e32 v2, 0xffff, v2
	s_delay_alu instid0(VALU_DEP_3) | instskip(NEXT) | instid1(VALU_DEP_3)
	v_add_nc_u16 v21, v3, v21
	v_or_b32_e32 v14, v15, v17
	v_and_b32_e32 v3, 0xff, v3
	s_delay_alu instid0(VALU_DEP_3) | instskip(SKIP_1) | instid1(VALU_DEP_4)
	v_add_nc_u16 v22, v21, v22
	v_lshlrev_b16 v15, 8, v21
	v_lshlrev_b32_e32 v14, 16, v14
	s_delay_alu instid0(VALU_DEP_3) | instskip(SKIP_1) | instid1(VALU_DEP_4)
	v_add_nc_u16 v23, v22, v23
	v_and_b32_e32 v17, 0xff, v22
	v_or_b32_e32 v3, v3, v15
	s_delay_alu instid0(VALU_DEP_4) | instskip(NEXT) | instid1(VALU_DEP_4)
	v_or_b32_e32 v2, v2, v14
	v_add_nc_u16 v4, v23, v4
	v_lshlrev_b16 v19, 8, v23
	s_delay_alu instid0(VALU_DEP_4) | instskip(NEXT) | instid1(VALU_DEP_3)
	v_and_b32_e32 v3, 0xffff, v3
	v_add_nc_u16 v24, v4, v24
	v_and_b32_e32 v4, 0xff, v4
	s_delay_alu instid0(VALU_DEP_4) | instskip(NEXT) | instid1(VALU_DEP_3)
	v_or_b32_e32 v15, v17, v19
	v_add_nc_u16 v16, v24, v16
	v_lshlrev_b16 v20, 8, v24
	s_delay_alu instid0(VALU_DEP_3) | instskip(NEXT) | instid1(VALU_DEP_3)
	v_lshlrev_b32_e32 v15, 16, v15
	v_add_nc_u16 v13, v16, v13
	v_and_b32_e32 v16, 0xff, v16
	s_delay_alu instid0(VALU_DEP_4) | instskip(NEXT) | instid1(VALU_DEP_4)
	v_or_b32_e32 v4, v4, v20
	v_or_b32_e32 v3, v3, v15
	s_delay_alu instid0(VALU_DEP_4) | instskip(SKIP_1) | instid1(VALU_DEP_4)
	v_add_nc_u16 v5, v13, v5
	v_lshlrev_b16 v13, 8, v13
	v_and_b32_e32 v4, 0xffff, v4
	s_delay_alu instid0(VALU_DEP_3) | instskip(SKIP_1) | instid1(VALU_DEP_4)
	v_add_nc_u16 v12, v5, v12
	v_and_b32_e32 v5, 0xff, v5
	v_or_b32_e32 v13, v16, v13
	s_delay_alu instid0(VALU_DEP_3) | instskip(SKIP_1) | instid1(VALU_DEP_2)
	v_add_nc_u16 v11, v12, v11
	v_lshlrev_b16 v12, 8, v12
	v_add_nc_u16 v10, v11, v10
	v_and_b32_e32 v11, 0xff, v11
	s_delay_alu instid0(VALU_DEP_3) | instskip(NEXT) | instid1(VALU_DEP_3)
	v_or_b32_e32 v5, v5, v12
	v_add_nc_u16 v6, v10, v6
	v_lshlrev_b16 v10, 8, v10
	s_delay_alu instid0(VALU_DEP_3) | instskip(NEXT) | instid1(VALU_DEP_3)
	v_and_b32_e32 v5, 0xffff, v5
	v_add_nc_u16 v9, v6, v9
	v_and_b32_e32 v6, 0xff, v6
	s_delay_alu instid0(VALU_DEP_4) | instskip(NEXT) | instid1(VALU_DEP_3)
	v_or_b32_e32 v10, v11, v10
	v_add_nc_u16 v8, v9, v8
	v_lshlrev_b16 v9, 8, v9
	s_delay_alu instid0(VALU_DEP_2) | instskip(SKIP_1) | instid1(VALU_DEP_3)
	v_add_nc_u16 v7, v8, v7
	v_and_b32_e32 v8, 0xff, v8
	v_or_b32_e32 v6, v6, v9
	v_lshlrev_b32_e32 v9, 16, v10
	s_delay_alu instid0(VALU_DEP_4) | instskip(NEXT) | instid1(VALU_DEP_3)
	v_lshlrev_b16 v7, 8, v7
	v_and_b32_e32 v6, 0xffff, v6
	s_delay_alu instid0(VALU_DEP_3) | instskip(NEXT) | instid1(VALU_DEP_3)
	v_or_b32_e32 v5, v5, v9
	v_or_b32_e32 v7, v8, v7
	v_lshlrev_b32_e32 v8, 16, v13
	s_delay_alu instid0(VALU_DEP_2) | instskip(NEXT) | instid1(VALU_DEP_2)
	v_lshlrev_b32_e32 v7, 16, v7
	v_or_b32_e32 v4, v4, v8
	s_delay_alu instid0(VALU_DEP_2)
	v_or_b32_e32 v6, v6, v7
	ds_store_2addr_b64 v18, v[1:2], v[3:4] offset1:1
	ds_store_b64 v18, v[5:6] offset:16
	s_waitcnt lgkmcnt(0)
	s_barrier
	buffer_gl0_inv
	ds_load_u8 v25, v0 offset:256
	ds_load_u8 v24, v0 offset:512
	;; [unrolled: 1-line block ×23, first 2 shown]
	v_add_co_u32 v1, s0, s0, v0
	s_delay_alu instid0(VALU_DEP_1)
	v_add_co_ci_u32_e64 v2, null, s1, 0, s0
	s_and_saveexec_b32 s0, vcc_lo
	s_cbranch_execnz .LBB7_79
; %bb.55:
	s_or_b32 exec_lo, exec_lo, s0
	s_and_saveexec_b32 s0, s2
	s_cbranch_execnz .LBB7_80
.LBB7_56:
	s_or_b32 exec_lo, exec_lo, s0
	s_and_saveexec_b32 s0, s3
	s_cbranch_execnz .LBB7_81
.LBB7_57:
	s_or_b32 exec_lo, exec_lo, s0
	s_and_saveexec_b32 s0, s4
	s_cbranch_execnz .LBB7_82
.LBB7_58:
	s_or_b32 exec_lo, exec_lo, s0
	s_and_saveexec_b32 s0, s5
	s_cbranch_execnz .LBB7_83
.LBB7_59:
	s_or_b32 exec_lo, exec_lo, s0
	s_and_saveexec_b32 s0, s6
	s_cbranch_execnz .LBB7_84
.LBB7_60:
	s_or_b32 exec_lo, exec_lo, s0
	s_and_saveexec_b32 s0, s7
	s_cbranch_execnz .LBB7_85
.LBB7_61:
	s_or_b32 exec_lo, exec_lo, s0
	s_and_saveexec_b32 s0, s8
	s_cbranch_execnz .LBB7_86
.LBB7_62:
	s_or_b32 exec_lo, exec_lo, s0
	s_and_saveexec_b32 s0, s9
	s_cbranch_execnz .LBB7_87
.LBB7_63:
	s_or_b32 exec_lo, exec_lo, s0
	s_and_saveexec_b32 s0, s10
	s_cbranch_execnz .LBB7_88
.LBB7_64:
	s_or_b32 exec_lo, exec_lo, s0
	s_and_saveexec_b32 s0, s11
	s_cbranch_execnz .LBB7_89
.LBB7_65:
	s_or_b32 exec_lo, exec_lo, s0
	s_and_saveexec_b32 s0, s12
	s_cbranch_execnz .LBB7_90
.LBB7_66:
	s_or_b32 exec_lo, exec_lo, s0
	s_and_saveexec_b32 s0, s13
	s_cbranch_execnz .LBB7_91
.LBB7_67:
	s_or_b32 exec_lo, exec_lo, s0
	s_and_saveexec_b32 s0, s14
	s_cbranch_execnz .LBB7_92
.LBB7_68:
	s_or_b32 exec_lo, exec_lo, s0
	s_and_saveexec_b32 s0, s15
	s_cbranch_execnz .LBB7_93
.LBB7_69:
	s_or_b32 exec_lo, exec_lo, s0
	s_and_saveexec_b32 s0, s16
	s_cbranch_execnz .LBB7_94
.LBB7_70:
	s_or_b32 exec_lo, exec_lo, s0
	s_and_saveexec_b32 s0, s17
	s_cbranch_execnz .LBB7_95
.LBB7_71:
	s_or_b32 exec_lo, exec_lo, s0
	s_and_saveexec_b32 s0, s18
	s_cbranch_execnz .LBB7_96
.LBB7_72:
	s_or_b32 exec_lo, exec_lo, s0
	s_and_saveexec_b32 s0, s19
	s_cbranch_execnz .LBB7_97
.LBB7_73:
	s_or_b32 exec_lo, exec_lo, s0
	s_and_saveexec_b32 s0, s20
	s_cbranch_execnz .LBB7_98
.LBB7_74:
	s_or_b32 exec_lo, exec_lo, s0
	s_and_saveexec_b32 s0, s21
	s_cbranch_execnz .LBB7_99
.LBB7_75:
	s_or_b32 exec_lo, exec_lo, s0
	s_and_saveexec_b32 s0, s22
	s_cbranch_execnz .LBB7_100
.LBB7_76:
	s_or_b32 exec_lo, exec_lo, s0
	s_and_saveexec_b32 s0, s23
	s_cbranch_execnz .LBB7_101
.LBB7_77:
	s_or_b32 exec_lo, exec_lo, s0
	s_and_saveexec_b32 s0, s24
	s_cbranch_execnz .LBB7_102
.LBB7_78:
	s_nop 0
	s_sendmsg sendmsg(MSG_DEALLOC_VGPRS)
	s_endpgm
.LBB7_79:
	ds_load_u8 v0, v0
	s_waitcnt lgkmcnt(0)
	global_store_b8 v[1:2], v0, off
	s_or_b32 exec_lo, exec_lo, s0
	s_and_saveexec_b32 s0, s2
	s_cbranch_execz .LBB7_56
.LBB7_80:
	s_waitcnt lgkmcnt(22)
	global_store_b8 v[1:2], v25, off offset:256
	s_or_b32 exec_lo, exec_lo, s0
	s_and_saveexec_b32 s0, s3
	s_cbranch_execz .LBB7_57
.LBB7_81:
	s_waitcnt lgkmcnt(21)
	global_store_b8 v[1:2], v24, off offset:512
	s_or_b32 exec_lo, exec_lo, s0
	s_and_saveexec_b32 s0, s4
	s_cbranch_execz .LBB7_58
.LBB7_82:
	s_waitcnt lgkmcnt(20)
	global_store_b8 v[1:2], v23, off offset:768
	s_or_b32 exec_lo, exec_lo, s0
	s_and_saveexec_b32 s0, s5
	s_cbranch_execz .LBB7_59
.LBB7_83:
	s_waitcnt lgkmcnt(19)
	global_store_b8 v[1:2], v22, off offset:1024
	s_or_b32 exec_lo, exec_lo, s0
	s_and_saveexec_b32 s0, s6
	s_cbranch_execz .LBB7_60
.LBB7_84:
	s_waitcnt lgkmcnt(18)
	global_store_b8 v[1:2], v21, off offset:1280
	s_or_b32 exec_lo, exec_lo, s0
	s_and_saveexec_b32 s0, s7
	s_cbranch_execz .LBB7_61
.LBB7_85:
	s_waitcnt lgkmcnt(17)
	global_store_b8 v[1:2], v20, off offset:1536
	s_or_b32 exec_lo, exec_lo, s0
	s_and_saveexec_b32 s0, s8
	s_cbranch_execz .LBB7_62
.LBB7_86:
	s_waitcnt lgkmcnt(16)
	global_store_b8 v[1:2], v19, off offset:1792
	s_or_b32 exec_lo, exec_lo, s0
	s_and_saveexec_b32 s0, s9
	s_cbranch_execz .LBB7_63
.LBB7_87:
	s_waitcnt lgkmcnt(15)
	global_store_b8 v[1:2], v18, off offset:2048
	s_or_b32 exec_lo, exec_lo, s0
	s_and_saveexec_b32 s0, s10
	s_cbranch_execz .LBB7_64
.LBB7_88:
	s_waitcnt lgkmcnt(14)
	global_store_b8 v[1:2], v17, off offset:2304
	s_or_b32 exec_lo, exec_lo, s0
	s_and_saveexec_b32 s0, s11
	s_cbranch_execz .LBB7_65
.LBB7_89:
	s_waitcnt lgkmcnt(13)
	global_store_b8 v[1:2], v16, off offset:2560
	s_or_b32 exec_lo, exec_lo, s0
	s_and_saveexec_b32 s0, s12
	s_cbranch_execz .LBB7_66
.LBB7_90:
	s_waitcnt lgkmcnt(12)
	global_store_b8 v[1:2], v15, off offset:2816
	s_or_b32 exec_lo, exec_lo, s0
	s_and_saveexec_b32 s0, s13
	s_cbranch_execz .LBB7_67
.LBB7_91:
	s_waitcnt lgkmcnt(11)
	global_store_b8 v[1:2], v14, off offset:3072
	s_or_b32 exec_lo, exec_lo, s0
	s_and_saveexec_b32 s0, s14
	s_cbranch_execz .LBB7_68
.LBB7_92:
	s_waitcnt lgkmcnt(10)
	global_store_b8 v[1:2], v13, off offset:3328
	s_or_b32 exec_lo, exec_lo, s0
	s_and_saveexec_b32 s0, s15
	s_cbranch_execz .LBB7_69
.LBB7_93:
	s_waitcnt lgkmcnt(9)
	global_store_b8 v[1:2], v12, off offset:3584
	s_or_b32 exec_lo, exec_lo, s0
	s_and_saveexec_b32 s0, s16
	s_cbranch_execz .LBB7_70
.LBB7_94:
	s_waitcnt lgkmcnt(8)
	global_store_b8 v[1:2], v11, off offset:3840
	s_or_b32 exec_lo, exec_lo, s0
	s_and_saveexec_b32 s0, s17
	s_cbranch_execz .LBB7_71
.LBB7_95:
	s_waitcnt lgkmcnt(8)
	v_add_co_u32 v11, vcc_lo, 0x1000, v1
	v_add_co_ci_u32_e32 v12, vcc_lo, 0, v2, vcc_lo
	s_waitcnt lgkmcnt(7)
	global_store_b8 v[11:12], v10, off
	s_or_b32 exec_lo, exec_lo, s0
	s_and_saveexec_b32 s0, s18
	s_cbranch_execz .LBB7_72
.LBB7_96:
	s_waitcnt lgkmcnt(7)
	v_add_co_u32 v10, vcc_lo, 0x1000, v1
	v_add_co_ci_u32_e32 v11, vcc_lo, 0, v2, vcc_lo
	s_waitcnt lgkmcnt(6)
	global_store_b8 v[10:11], v9, off offset:256
	s_or_b32 exec_lo, exec_lo, s0
	s_and_saveexec_b32 s0, s19
	s_cbranch_execz .LBB7_73
.LBB7_97:
	s_waitcnt lgkmcnt(6)
	v_add_co_u32 v9, vcc_lo, 0x1000, v1
	v_add_co_ci_u32_e32 v10, vcc_lo, 0, v2, vcc_lo
	s_waitcnt lgkmcnt(5)
	global_store_b8 v[9:10], v8, off offset:512
	s_or_b32 exec_lo, exec_lo, s0
	s_and_saveexec_b32 s0, s20
	s_cbranch_execz .LBB7_74
.LBB7_98:
	s_waitcnt lgkmcnt(5)
	v_add_co_u32 v8, vcc_lo, 0x1000, v1
	v_add_co_ci_u32_e32 v9, vcc_lo, 0, v2, vcc_lo
	s_waitcnt lgkmcnt(4)
	global_store_b8 v[8:9], v7, off offset:768
	s_or_b32 exec_lo, exec_lo, s0
	s_and_saveexec_b32 s0, s21
	s_cbranch_execz .LBB7_75
.LBB7_99:
	s_waitcnt lgkmcnt(4)
	v_add_co_u32 v7, vcc_lo, 0x1000, v1
	v_add_co_ci_u32_e32 v8, vcc_lo, 0, v2, vcc_lo
	s_waitcnt lgkmcnt(3)
	global_store_b8 v[7:8], v6, off offset:1024
	s_or_b32 exec_lo, exec_lo, s0
	s_and_saveexec_b32 s0, s22
	s_cbranch_execz .LBB7_76
.LBB7_100:
	s_waitcnt lgkmcnt(3)
	v_add_co_u32 v6, vcc_lo, 0x1000, v1
	v_add_co_ci_u32_e32 v7, vcc_lo, 0, v2, vcc_lo
	s_waitcnt lgkmcnt(2)
	global_store_b8 v[6:7], v5, off offset:1280
	s_or_b32 exec_lo, exec_lo, s0
	s_and_saveexec_b32 s0, s23
	s_cbranch_execz .LBB7_77
.LBB7_101:
	s_waitcnt lgkmcnt(2)
	v_add_co_u32 v5, vcc_lo, 0x1000, v1
	v_add_co_ci_u32_e32 v6, vcc_lo, 0, v2, vcc_lo
	s_waitcnt lgkmcnt(1)
	global_store_b8 v[5:6], v4, off offset:1536
	s_or_b32 exec_lo, exec_lo, s0
	s_and_saveexec_b32 s0, s24
	s_cbranch_execz .LBB7_78
.LBB7_102:
	v_add_co_u32 v0, vcc_lo, 0x1000, v1
	v_add_co_ci_u32_e32 v1, vcc_lo, 0, v2, vcc_lo
	s_waitcnt lgkmcnt(0)
	global_store_b8 v[0:1], v3, off offset:1792
	s_nop 0
	s_sendmsg sendmsg(MSG_DEALLOC_VGPRS)
	s_endpgm
	.section	.rodata,"a",@progbits
	.p2align	6, 0x0
	.amdhsa_kernel _ZN7rocprim17ROCPRIM_304000_NS6detail18single_scan_kernelILb0ENS1_19wrapped_scan_configINS0_14default_configEhEEPKhPhSt4plusIhEhhEEvT1_mT4_T2_T3_
		.amdhsa_group_segment_fixed_size 6144
		.amdhsa_private_segment_fixed_size 0
		.amdhsa_kernarg_size 36
		.amdhsa_user_sgpr_count 15
		.amdhsa_user_sgpr_dispatch_ptr 0
		.amdhsa_user_sgpr_queue_ptr 0
		.amdhsa_user_sgpr_kernarg_segment_ptr 1
		.amdhsa_user_sgpr_dispatch_id 0
		.amdhsa_user_sgpr_private_segment_size 0
		.amdhsa_wavefront_size32 1
		.amdhsa_uses_dynamic_stack 0
		.amdhsa_enable_private_segment 0
		.amdhsa_system_sgpr_workgroup_id_x 1
		.amdhsa_system_sgpr_workgroup_id_y 0
		.amdhsa_system_sgpr_workgroup_id_z 0
		.amdhsa_system_sgpr_workgroup_info 0
		.amdhsa_system_vgpr_workitem_id 0
		.amdhsa_next_free_vgpr 31
		.amdhsa_next_free_sgpr 28
		.amdhsa_reserve_vcc 1
		.amdhsa_float_round_mode_32 0
		.amdhsa_float_round_mode_16_64 0
		.amdhsa_float_denorm_mode_32 3
		.amdhsa_float_denorm_mode_16_64 3
		.amdhsa_dx10_clamp 1
		.amdhsa_ieee_mode 1
		.amdhsa_fp16_overflow 0
		.amdhsa_workgroup_processor_mode 1
		.amdhsa_memory_ordered 1
		.amdhsa_forward_progress 0
		.amdhsa_shared_vgpr_count 0
		.amdhsa_exception_fp_ieee_invalid_op 0
		.amdhsa_exception_fp_denorm_src 0
		.amdhsa_exception_fp_ieee_div_zero 0
		.amdhsa_exception_fp_ieee_overflow 0
		.amdhsa_exception_fp_ieee_underflow 0
		.amdhsa_exception_fp_ieee_inexact 0
		.amdhsa_exception_int_div_zero 0
	.end_amdhsa_kernel
	.section	.text._ZN7rocprim17ROCPRIM_304000_NS6detail18single_scan_kernelILb0ENS1_19wrapped_scan_configINS0_14default_configEhEEPKhPhSt4plusIhEhhEEvT1_mT4_T2_T3_,"axG",@progbits,_ZN7rocprim17ROCPRIM_304000_NS6detail18single_scan_kernelILb0ENS1_19wrapped_scan_configINS0_14default_configEhEEPKhPhSt4plusIhEhhEEvT1_mT4_T2_T3_,comdat
.Lfunc_end7:
	.size	_ZN7rocprim17ROCPRIM_304000_NS6detail18single_scan_kernelILb0ENS1_19wrapped_scan_configINS0_14default_configEhEEPKhPhSt4plusIhEhhEEvT1_mT4_T2_T3_, .Lfunc_end7-_ZN7rocprim17ROCPRIM_304000_NS6detail18single_scan_kernelILb0ENS1_19wrapped_scan_configINS0_14default_configEhEEPKhPhSt4plusIhEhhEEvT1_mT4_T2_T3_
                                        ; -- End function
	.section	.AMDGPU.csdata,"",@progbits
; Kernel info:
; codeLenInByte = 4396
; NumSgprs: 30
; NumVgprs: 31
; ScratchSize: 0
; MemoryBound: 0
; FloatMode: 240
; IeeeMode: 1
; LDSByteSize: 6144 bytes/workgroup (compile time only)
; SGPRBlocks: 3
; VGPRBlocks: 3
; NumSGPRsForWavesPerEU: 30
; NumVGPRsForWavesPerEU: 31
; Occupancy: 16
; WaveLimiterHint : 0
; COMPUTE_PGM_RSRC2:SCRATCH_EN: 0
; COMPUTE_PGM_RSRC2:USER_SGPR: 15
; COMPUTE_PGM_RSRC2:TRAP_HANDLER: 0
; COMPUTE_PGM_RSRC2:TGID_X_EN: 1
; COMPUTE_PGM_RSRC2:TGID_Y_EN: 0
; COMPUTE_PGM_RSRC2:TGID_Z_EN: 0
; COMPUTE_PGM_RSRC2:TIDIG_COMP_CNT: 0
	.section	.text._ZN2at6native32tensor_kernel_scan_innermost_dimIhSt4plusIhEEEvPT_PKS4_jjjS4_T0_,"axG",@progbits,_ZN2at6native32tensor_kernel_scan_innermost_dimIhSt4plusIhEEEvPT_PKS4_jjjS4_T0_,comdat
	.protected	_ZN2at6native32tensor_kernel_scan_innermost_dimIhSt4plusIhEEEvPT_PKS4_jjjS4_T0_ ; -- Begin function _ZN2at6native32tensor_kernel_scan_innermost_dimIhSt4plusIhEEEvPT_PKS4_jjjS4_T0_
	.globl	_ZN2at6native32tensor_kernel_scan_innermost_dimIhSt4plusIhEEEvPT_PKS4_jjjS4_T0_
	.p2align	8
	.type	_ZN2at6native32tensor_kernel_scan_innermost_dimIhSt4plusIhEEEvPT_PKS4_jjjS4_T0_,@function
_ZN2at6native32tensor_kernel_scan_innermost_dimIhSt4plusIhEEEvPT_PKS4_jjjS4_T0_: ; @_ZN2at6native32tensor_kernel_scan_innermost_dimIhSt4plusIhEEEvPT_PKS4_jjjS4_T0_
; %bb.0:
	s_load_b256 s[16:23], s[0:1], 0x0
	v_bfe_u32 v15, v0, 10, 10
	s_mov_b32 s2, 0
	s_waitcnt lgkmcnt(0)
	s_lshl_b32 s5, 2, s22
	s_mov_b32 s6, s20
	v_mad_u64_u32 v[1:2], null, s5, v15, s[2:3]
	s_mul_hi_u32 s2, s20, s21
	s_delay_alu instid0(SALU_CYCLE_1)
	s_cmp_lg_u32 s2, 0
	s_mov_b32 s2, -1
	s_cbranch_scc1 .LBB8_26
; %bb.1:
	s_load_b32 s4, s[0:1], 0x2c
	s_add_u32 s2, s0, 32
	s_addc_u32 s3, s1, 0
	s_waitcnt lgkmcnt(0)
	s_lshr_b32 s4, s4, 16
	s_delay_alu instid0(SALU_CYCLE_1) | instskip(NEXT) | instid1(SALU_CYCLE_1)
	s_mul_i32 s7, s15, s4
	s_cmp_ge_u32 s7, s20
	s_cbranch_scc1 .LBB8_25
; %bb.2:
	s_load_b32 s9, s[2:3], 0x0
	v_and_b32_e32 v2, 0x3ff, v0
	v_add_nc_u32_e32 v3, -1, v1
	s_cmp_lg_u32 s21, 0
	s_cselect_b32 s8, -1, 0
	s_delay_alu instid0(VALU_DEP_2)
	v_lshl_add_u32 v4, 1, s22, v2
	v_cmp_eq_u32_e64 s2, 0, v2
	v_add_nc_u32_e32 v5, s5, v3
	v_add_nc_u32_e32 v6, v1, v2
	s_add_i32 s10, s22, 1
	v_add_nc_u32_e32 v7, v1, v4
	s_waitcnt lgkmcnt(0)
	s_mul_i32 s9, s9, s4
	s_branch .LBB8_4
.LBB8_3:                                ;   in Loop: Header=BB8_4 Depth=1
	s_add_i32 s7, s7, s9
	s_delay_alu instid0(SALU_CYCLE_1)
	s_cmp_ge_u32 s7, s20
	s_cbranch_scc1 .LBB8_25
.LBB8_4:                                ; =>This Loop Header: Depth=1
                                        ;     Child Loop BB8_7 Depth 2
                                        ;       Child Loop BB8_16 Depth 3
	s_and_not1_b32 vcc_lo, exec_lo, s8
	s_cbranch_vccnz .LBB8_3
; %bb.5:                                ;   in Loop: Header=BB8_4 Depth=1
	v_add_nc_u32_e32 v8, s7, v15
	v_mov_b32_e32 v14, s23
	s_mov_b32 s11, 0
	s_delay_alu instid0(VALU_DEP_2) | instskip(SKIP_2) | instid1(VALU_DEP_3)
	v_mul_lo_u32 v10, v8, s21
	v_cmp_gt_u32_e32 vcc_lo, s20, v8
	v_cmp_le_u32_e64 s3, s20, v8
	v_add_co_u32 v8, s4, s18, v10
	s_delay_alu instid0(VALU_DEP_1) | instskip(SKIP_1) | instid1(VALU_DEP_1)
	v_add_co_ci_u32_e64 v9, null, s19, 0, s4
	v_add_co_u32 v10, s4, s16, v10
	v_add_co_ci_u32_e64 v11, null, s17, 0, s4
	s_branch .LBB8_7
.LBB8_6:                                ;   in Loop: Header=BB8_7 Depth=2
	s_or_b32 exec_lo, exec_lo, s12
	ds_load_u8 v14, v5
	s_add_i32 s11, s11, s5
	s_waitcnt lgkmcnt(0)
	s_waitcnt_vscnt null, 0x0
	s_cmp_ge_u32 s11, s21
	s_barrier
	buffer_gl0_inv
	s_cbranch_scc1 .LBB8_3
.LBB8_7:                                ;   Parent Loop BB8_4 Depth=1
                                        ; =>  This Loop Header: Depth=2
                                        ;       Child Loop BB8_16 Depth 3
	v_add_nc_u32_e32 v13, s11, v2
	v_add_nc_u32_e32 v12, s11, v4
	s_and_saveexec_b32 s12, vcc_lo
	s_cbranch_execz .LBB8_14
; %bb.8:                                ;   in Loop: Header=BB8_7 Depth=2
	v_mov_b32_e32 v16, s23
	s_mov_b32 s13, exec_lo
	v_cmpx_gt_u32_e64 s21, v13
	s_cbranch_execz .LBB8_10
; %bb.9:                                ;   in Loop: Header=BB8_7 Depth=2
	v_add_co_u32 v16, s4, v8, v13
	s_delay_alu instid0(VALU_DEP_1)
	v_add_co_ci_u32_e64 v17, s4, 0, v9, s4
	global_load_u8 v16, v[16:17], off
.LBB8_10:                               ;   in Loop: Header=BB8_7 Depth=2
	s_or_b32 exec_lo, exec_lo, s13
	v_mov_b32_e32 v17, s23
	s_mov_b32 s13, exec_lo
	s_waitcnt vmcnt(0)
	ds_store_b8 v6, v16
	v_cmpx_gt_u32_e64 s21, v12
	s_cbranch_execz .LBB8_12
; %bb.11:                               ;   in Loop: Header=BB8_7 Depth=2
	v_add_co_u32 v16, s4, v8, v12
	s_delay_alu instid0(VALU_DEP_1)
	v_add_co_ci_u32_e64 v17, s4, 0, v9, s4
	global_load_u8 v17, v[16:17], off
.LBB8_12:                               ;   in Loop: Header=BB8_7 Depth=2
	s_or_b32 exec_lo, exec_lo, s13
	s_waitcnt vmcnt(0)
	ds_store_b8 v7, v17
	s_and_b32 exec_lo, exec_lo, s2
	s_cbranch_execz .LBB8_14
; %bb.13:                               ;   in Loop: Header=BB8_7 Depth=2
	ds_load_u8 v16, v1
	s_waitcnt lgkmcnt(0)
	v_add_nc_u16 v14, v16, v14
	ds_store_b8 v1, v14
.LBB8_14:                               ;   in Loop: Header=BB8_7 Depth=2
	s_or_b32 exec_lo, exec_lo, s12
	v_mov_b32_e32 v14, 0
	s_mov_b32 s12, 0
	s_waitcnt lgkmcnt(0)
	s_barrier
	buffer_gl0_inv
	s_set_inst_prefetch_distance 0x1
	s_branch .LBB8_16
	.p2align	6
.LBB8_15:                               ;   in Loop: Header=BB8_16 Depth=3
	s_or_b32 exec_lo, exec_lo, s4
	s_delay_alu instid0(VALU_DEP_1) | instskip(SKIP_4) | instid1(SALU_CYCLE_1)
	v_cmp_eq_u32_e64 s4, s10, v14
	s_waitcnt lgkmcnt(0)
	s_barrier
	buffer_gl0_inv
	s_or_b32 s12, s4, s12
	s_and_not1_b32 exec_lo, exec_lo, s12
	s_cbranch_execz .LBB8_20
.LBB8_16:                               ;   Parent Loop BB8_4 Depth=1
                                        ;     Parent Loop BB8_7 Depth=2
                                        ; =>    This Inner Loop Header: Depth=3
	v_add_nc_u32_e32 v16, 1, v14
	s_and_saveexec_b32 s4, s3
	s_delay_alu instid0(SALU_CYCLE_1)
	s_xor_b32 s4, exec_lo, s4
; %bb.17:                               ;   in Loop: Header=BB8_16 Depth=3
	v_add_nc_u32_e32 v14, 1, v14
                                        ; implicit-def: $vgpr16
; %bb.18:                               ;   in Loop: Header=BB8_16 Depth=3
	s_and_not1_saveexec_b32 s4, s4
	s_cbranch_execz .LBB8_15
; %bb.19:                               ;   in Loop: Header=BB8_16 Depth=3
	s_delay_alu instid0(VALU_DEP_1) | instskip(SKIP_2) | instid1(VALU_DEP_2)
	v_lshlrev_b32_e64 v17, v14, 1
	v_lshrrev_b32_e32 v18, v14, v2
	v_bfm_b32 v14, v14, 0
	v_lshl_or_b32 v17, v18, v16, v17
	s_delay_alu instid0(VALU_DEP_2) | instskip(NEXT) | instid1(VALU_DEP_1)
	v_and_b32_e32 v14, v14, v2
	v_add3_u32 v18, v1, v17, v14
	v_add_nc_u32_e32 v14, v3, v17
	ds_load_u8 v17, v18
	ds_load_u8 v14, v14
	s_waitcnt lgkmcnt(0)
	v_add_nc_u16 v17, v14, v17
	v_mov_b32_e32 v14, v16
	ds_store_b8 v18, v17
	s_branch .LBB8_15
.LBB8_20:                               ;   in Loop: Header=BB8_7 Depth=2
	s_set_inst_prefetch_distance 0x2
	s_or_b32 exec_lo, exec_lo, s12
	s_and_saveexec_b32 s12, vcc_lo
	s_cbranch_execz .LBB8_6
; %bb.21:                               ;   in Loop: Header=BB8_7 Depth=2
	s_mov_b32 s13, exec_lo
	v_cmpx_gt_u32_e64 s21, v13
	s_cbranch_execz .LBB8_23
; %bb.22:                               ;   in Loop: Header=BB8_7 Depth=2
	ds_load_u8 v16, v6
	v_add_co_u32 v13, s4, v10, v13
	s_delay_alu instid0(VALU_DEP_1)
	v_add_co_ci_u32_e64 v14, s4, 0, v11, s4
	s_waitcnt lgkmcnt(0)
	global_store_b8 v[13:14], v16, off
.LBB8_23:                               ;   in Loop: Header=BB8_7 Depth=2
	s_or_b32 exec_lo, exec_lo, s13
	v_cmp_gt_u32_e64 s4, s21, v12
	s_delay_alu instid0(VALU_DEP_1)
	s_and_b32 exec_lo, exec_lo, s4
	s_cbranch_execz .LBB8_6
; %bb.24:                               ;   in Loop: Header=BB8_7 Depth=2
	ds_load_u8 v14, v7
	v_add_co_u32 v12, s4, v10, v12
	s_delay_alu instid0(VALU_DEP_1)
	v_add_co_ci_u32_e64 v13, s4, 0, v11, s4
	s_waitcnt lgkmcnt(0)
	global_store_b8 v[12:13], v14, off
	s_branch .LBB8_6
.LBB8_25:
	s_mov_b32 s2, 0
.LBB8_26:
	s_delay_alu instid0(SALU_CYCLE_1)
	s_and_not1_b32 vcc_lo, exec_lo, s2
	s_cbranch_vccnz .LBB8_53
; %bb.27:
	s_load_b32 s2, s[0:1], 0x2c
	s_add_u32 s0, s0, 32
	s_addc_u32 s1, s1, 0
	s_mov_b32 s7, 0
	s_waitcnt lgkmcnt(0)
	s_lshr_b32 s2, s2, 16
	s_delay_alu instid0(SALU_CYCLE_1) | instskip(SKIP_1) | instid1(SALU_CYCLE_1)
	s_mul_hi_u32 s5, s2, s15
	s_mul_i32 s4, s2, s15
	v_cmp_ge_u64_e64 s3, s[4:5], s[6:7]
	s_delay_alu instid0(VALU_DEP_1)
	s_and_b32 vcc_lo, exec_lo, s3
	s_cbranch_vccnz .LBB8_53
; %bb.28:
	s_load_b32 s1, s[0:1], 0x0
	s_lshl_b32 s8, 1, s22
	s_and_b32 s2, 0xffff, s2
	v_dual_mov_b32 v3, 0 :: v_dual_and_b32 v2, 0x3ff, v0
	v_add_nc_u32_e32 v4, -1, v1
	s_ashr_i32 s9, s8, 31
	v_add_nc_u32_e32 v5, s8, v1
	s_cmp_lg_u32 s21, 0
	v_cmp_eq_u32_e64 s0, 0, v2
	s_cselect_b32 s3, -1, 0
	s_lshl_b64 s[12:13], s[8:9], 1
	v_add_nc_u32_e32 v0, v1, v2
	v_add_nc_u32_e32 v16, s12, v4
	;; [unrolled: 1-line block ×3, first 2 shown]
	s_mov_b32 s10, s21
	s_mov_b32 s11, s7
	s_add_i32 s21, s22, 1
	s_waitcnt lgkmcnt(0)
	s_mul_i32 s20, s1, s2
	s_branch .LBB8_30
.LBB8_29:                               ;   in Loop: Header=BB8_30 Depth=1
	s_add_u32 s4, s4, s20
	s_addc_u32 s5, s5, 0
	s_delay_alu instid0(SALU_CYCLE_1) | instskip(NEXT) | instid1(VALU_DEP_1)
	v_cmp_ge_u64_e64 s1, s[4:5], s[6:7]
	s_and_b32 vcc_lo, exec_lo, s1
	s_cbranch_vccnz .LBB8_53
.LBB8_30:                               ; =>This Loop Header: Depth=1
                                        ;     Child Loop BB8_33 Depth 2
                                        ;       Child Loop BB8_43 Depth 3
	s_and_not1_b32 vcc_lo, exec_lo, s3
	s_cbranch_vccnz .LBB8_29
; %bb.31:                               ;   in Loop: Header=BB8_30 Depth=1
	v_add_co_u32 v8, s1, s4, v15
	s_delay_alu instid0(VALU_DEP_1) | instskip(SKIP_1) | instid1(VALU_DEP_2)
	v_add_co_ci_u32_e64 v9, null, s5, 0, s1
	s_mov_b64 s[14:15], 0
	v_mad_u64_u32 v[4:5], null, v8, s10, s[18:19]
	s_delay_alu instid0(VALU_DEP_2) | instskip(SKIP_3) | instid1(VALU_DEP_4)
	v_mul_lo_u32 v10, v9, s10
	v_mad_u64_u32 v[6:7], null, v8, s10, s[16:17]
	v_cmp_gt_u64_e64 s1, s[6:7], v[8:9]
	v_cmp_le_u64_e64 s2, s[6:7], v[8:9]
	v_dual_mov_b32 v12, s23 :: v_dual_add_nc_u32 v5, v10, v5
	s_delay_alu instid0(VALU_DEP_4)
	v_add_nc_u32_e32 v7, v10, v7
	s_branch .LBB8_33
.LBB8_32:                               ;   in Loop: Header=BB8_33 Depth=2
	s_or_b32 exec_lo, exec_lo, s22
	ds_load_u8 v12, v16
	s_add_u32 s14, s14, s12
	s_addc_u32 s15, s15, s13
	s_waitcnt lgkmcnt(0)
	s_waitcnt_vscnt null, 0x0
	v_cmp_ge_u64_e64 s22, s[14:15], s[10:11]
	s_barrier
	buffer_gl0_inv
	s_and_b32 vcc_lo, exec_lo, s22
	s_cbranch_vccnz .LBB8_29
.LBB8_33:                               ;   Parent Loop BB8_30 Depth=1
                                        ; =>  This Loop Header: Depth=2
                                        ;       Child Loop BB8_43 Depth 3
	v_add_co_u32 v10, s22, s14, v2
	s_delay_alu instid0(VALU_DEP_1) | instskip(NEXT) | instid1(VALU_DEP_2)
	v_add_co_ci_u32_e64 v11, null, s15, 0, s22
	v_add_co_u32 v8, vcc_lo, v10, s8
	s_delay_alu instid0(VALU_DEP_2)
	v_add_co_ci_u32_e32 v9, vcc_lo, s9, v11, vcc_lo
	s_and_saveexec_b32 s22, s1
	s_cbranch_execz .LBB8_40
; %bb.34:                               ;   in Loop: Header=BB8_33 Depth=2
	v_mov_b32_e32 v13, s23
	s_mov_b32 s24, exec_lo
	v_cmpx_gt_u64_e64 s[10:11], v[10:11]
	s_cbranch_execz .LBB8_36
; %bb.35:                               ;   in Loop: Header=BB8_33 Depth=2
	v_add_co_u32 v13, vcc_lo, v4, v10
	v_add_co_ci_u32_e32 v14, vcc_lo, v5, v11, vcc_lo
	global_load_u8 v13, v[13:14], off
.LBB8_36:                               ;   in Loop: Header=BB8_33 Depth=2
	s_or_b32 exec_lo, exec_lo, s24
	v_mov_b32_e32 v14, s23
	s_mov_b32 s24, exec_lo
	s_waitcnt vmcnt(0)
	ds_store_b8 v0, v13
	v_cmpx_gt_u64_e64 s[10:11], v[8:9]
	s_cbranch_execz .LBB8_38
; %bb.37:                               ;   in Loop: Header=BB8_33 Depth=2
	v_add_co_u32 v13, vcc_lo, v4, v8
	v_add_co_ci_u32_e32 v14, vcc_lo, v5, v9, vcc_lo
	global_load_u8 v14, v[13:14], off
.LBB8_38:                               ;   in Loop: Header=BB8_33 Depth=2
	s_or_b32 exec_lo, exec_lo, s24
	s_waitcnt vmcnt(0)
	ds_store_b8 v17, v14
	s_and_b32 exec_lo, exec_lo, s0
	s_cbranch_execz .LBB8_40
; %bb.39:                               ;   in Loop: Header=BB8_33 Depth=2
	ds_load_u8 v13, v1
	s_waitcnt lgkmcnt(0)
	v_add_nc_u16 v12, v13, v12
	ds_store_b8 v1, v12
.LBB8_40:                               ;   in Loop: Header=BB8_33 Depth=2
	s_or_b32 exec_lo, exec_lo, s22
	v_mov_b32_e32 v19, 0
	s_mov_b32 s22, 0
	s_waitcnt lgkmcnt(0)
	s_barrier
	buffer_gl0_inv
	s_branch .LBB8_43
.LBB8_41:                               ;   in Loop: Header=BB8_43 Depth=3
	s_or_b32 exec_lo, exec_lo, s25
	v_lshrrev_b32_e32 v14, v19, v2
	s_delay_alu instid0(VALU_DEP_1) | instskip(NEXT) | instid1(VALU_DEP_1)
	v_lshl_or_b32 v12, v14, v18, v12
	v_add_nc_u32_e32 v12, v1, v12
	s_delay_alu instid0(VALU_DEP_1)
	v_add_nc_u32_e32 v13, v12, v13
	v_add_nc_u32_e32 v12, -1, v12
	ds_load_u8 v14, v13
	ds_load_u8 v12, v12
	s_waitcnt lgkmcnt(0)
	v_add_nc_u16 v12, v12, v14
	ds_store_b8 v13, v12
.LBB8_42:                               ;   in Loop: Header=BB8_43 Depth=3
	s_or_b32 exec_lo, exec_lo, s24
	s_delay_alu instid0(VALU_DEP_1)
	v_cmp_eq_u32_e32 vcc_lo, s21, v18
	v_mov_b32_e32 v19, v18
	s_waitcnt lgkmcnt(0)
	s_barrier
	buffer_gl0_inv
	s_or_b32 s22, vcc_lo, s22
	s_delay_alu instid0(SALU_CYCLE_1)
	s_and_not1_b32 exec_lo, exec_lo, s22
	s_cbranch_execz .LBB8_48
.LBB8_43:                               ;   Parent Loop BB8_30 Depth=1
                                        ;     Parent Loop BB8_33 Depth=2
                                        ; =>    This Inner Loop Header: Depth=3
	v_add_nc_u32_e32 v18, 1, v19
	s_and_saveexec_b32 s24, s2
	s_delay_alu instid0(SALU_CYCLE_1)
	s_xor_b32 s24, exec_lo, s24
; %bb.44:                               ;   in Loop: Header=BB8_43 Depth=3
	v_add_nc_u32_e32 v18, 1, v19
                                        ; implicit-def: $vgpr19
; %bb.45:                               ;   in Loop: Header=BB8_43 Depth=3
	s_and_not1_saveexec_b32 s24, s24
	s_cbranch_execz .LBB8_42
; %bb.46:                               ;   in Loop: Header=BB8_43 Depth=3
	v_lshlrev_b32_e64 v12, v19, 1
	s_delay_alu instid0(VALU_DEP_1) | instskip(NEXT) | instid1(VALU_DEP_1)
	v_ashrrev_i32_e32 v13, 31, v12
	v_cmp_ge_u64_e32 vcc_lo, v[2:3], v[12:13]
	v_dual_mov_b32 v14, v3 :: v_dual_mov_b32 v13, v2
	s_and_saveexec_b32 s25, vcc_lo
	s_cbranch_execz .LBB8_41
; %bb.47:                               ;   in Loop: Header=BB8_43 Depth=3
	v_cvt_f32_u32_e32 v13, v12
	v_sub_nc_u32_e32 v14, 0, v12
	s_delay_alu instid0(VALU_DEP_2) | instskip(SKIP_2) | instid1(VALU_DEP_1)
	v_rcp_iflag_f32_e32 v13, v13
	s_waitcnt_depctr 0xfff
	v_mul_f32_e32 v13, 0x4f7ffffe, v13
	v_cvt_u32_f32_e32 v13, v13
	s_delay_alu instid0(VALU_DEP_1) | instskip(NEXT) | instid1(VALU_DEP_1)
	v_mul_lo_u32 v14, v14, v13
	v_mul_hi_u32 v14, v13, v14
	s_delay_alu instid0(VALU_DEP_1) | instskip(NEXT) | instid1(VALU_DEP_1)
	v_add_nc_u32_e32 v13, v13, v14
	v_mul_hi_u32 v13, v2, v13
	s_delay_alu instid0(VALU_DEP_1) | instskip(NEXT) | instid1(VALU_DEP_1)
	v_mul_lo_u32 v13, v13, v12
	v_sub_nc_u32_e32 v13, v2, v13
	s_delay_alu instid0(VALU_DEP_1) | instskip(SKIP_1) | instid1(VALU_DEP_2)
	v_sub_nc_u32_e32 v14, v13, v12
	v_cmp_ge_u32_e32 vcc_lo, v13, v12
	v_cndmask_b32_e32 v13, v13, v14, vcc_lo
	s_delay_alu instid0(VALU_DEP_1) | instskip(SKIP_1) | instid1(VALU_DEP_2)
	v_sub_nc_u32_e32 v14, v13, v12
	v_cmp_ge_u32_e32 vcc_lo, v13, v12
	v_cndmask_b32_e32 v13, v13, v14, vcc_lo
	s_branch .LBB8_41
.LBB8_48:                               ;   in Loop: Header=BB8_33 Depth=2
	s_or_b32 exec_lo, exec_lo, s22
	s_and_saveexec_b32 s22, s1
	s_cbranch_execz .LBB8_32
; %bb.49:                               ;   in Loop: Header=BB8_33 Depth=2
	s_mov_b32 s24, exec_lo
	v_cmpx_gt_u64_e64 s[10:11], v[10:11]
	s_cbranch_execz .LBB8_51
; %bb.50:                               ;   in Loop: Header=BB8_33 Depth=2
	ds_load_u8 v12, v0
	v_add_co_u32 v10, vcc_lo, v6, v10
	v_add_co_ci_u32_e32 v11, vcc_lo, v7, v11, vcc_lo
	s_waitcnt lgkmcnt(0)
	global_store_b8 v[10:11], v12, off
.LBB8_51:                               ;   in Loop: Header=BB8_33 Depth=2
	s_or_b32 exec_lo, exec_lo, s24
	v_cmp_gt_u64_e32 vcc_lo, s[10:11], v[8:9]
	s_and_b32 exec_lo, exec_lo, vcc_lo
	s_cbranch_execz .LBB8_32
; %bb.52:                               ;   in Loop: Header=BB8_33 Depth=2
	ds_load_u8 v10, v17
	v_add_co_u32 v8, vcc_lo, v6, v8
	v_add_co_ci_u32_e32 v9, vcc_lo, v7, v9, vcc_lo
	s_waitcnt lgkmcnt(0)
	global_store_b8 v[8:9], v10, off
	s_branch .LBB8_32
.LBB8_53:
	s_endpgm
	.section	.rodata,"a",@progbits
	.p2align	6, 0x0
	.amdhsa_kernel _ZN2at6native32tensor_kernel_scan_innermost_dimIhSt4plusIhEEEvPT_PKS4_jjjS4_T0_
		.amdhsa_group_segment_fixed_size 0
		.amdhsa_private_segment_fixed_size 0
		.amdhsa_kernarg_size 288
		.amdhsa_user_sgpr_count 15
		.amdhsa_user_sgpr_dispatch_ptr 0
		.amdhsa_user_sgpr_queue_ptr 0
		.amdhsa_user_sgpr_kernarg_segment_ptr 1
		.amdhsa_user_sgpr_dispatch_id 0
		.amdhsa_user_sgpr_private_segment_size 0
		.amdhsa_wavefront_size32 1
		.amdhsa_uses_dynamic_stack 0
		.amdhsa_enable_private_segment 0
		.amdhsa_system_sgpr_workgroup_id_x 1
		.amdhsa_system_sgpr_workgroup_id_y 0
		.amdhsa_system_sgpr_workgroup_id_z 0
		.amdhsa_system_sgpr_workgroup_info 0
		.amdhsa_system_vgpr_workitem_id 1
		.amdhsa_next_free_vgpr 20
		.amdhsa_next_free_sgpr 26
		.amdhsa_reserve_vcc 1
		.amdhsa_float_round_mode_32 0
		.amdhsa_float_round_mode_16_64 0
		.amdhsa_float_denorm_mode_32 3
		.amdhsa_float_denorm_mode_16_64 3
		.amdhsa_dx10_clamp 1
		.amdhsa_ieee_mode 1
		.amdhsa_fp16_overflow 0
		.amdhsa_workgroup_processor_mode 1
		.amdhsa_memory_ordered 1
		.amdhsa_forward_progress 0
		.amdhsa_shared_vgpr_count 0
		.amdhsa_exception_fp_ieee_invalid_op 0
		.amdhsa_exception_fp_denorm_src 0
		.amdhsa_exception_fp_ieee_div_zero 0
		.amdhsa_exception_fp_ieee_overflow 0
		.amdhsa_exception_fp_ieee_underflow 0
		.amdhsa_exception_fp_ieee_inexact 0
		.amdhsa_exception_int_div_zero 0
	.end_amdhsa_kernel
	.section	.text._ZN2at6native32tensor_kernel_scan_innermost_dimIhSt4plusIhEEEvPT_PKS4_jjjS4_T0_,"axG",@progbits,_ZN2at6native32tensor_kernel_scan_innermost_dimIhSt4plusIhEEEvPT_PKS4_jjjS4_T0_,comdat
.Lfunc_end8:
	.size	_ZN2at6native32tensor_kernel_scan_innermost_dimIhSt4plusIhEEEvPT_PKS4_jjjS4_T0_, .Lfunc_end8-_ZN2at6native32tensor_kernel_scan_innermost_dimIhSt4plusIhEEEvPT_PKS4_jjjS4_T0_
                                        ; -- End function
	.section	.AMDGPU.csdata,"",@progbits
; Kernel info:
; codeLenInByte = 1844
; NumSgprs: 28
; NumVgprs: 20
; ScratchSize: 0
; MemoryBound: 0
; FloatMode: 240
; IeeeMode: 1
; LDSByteSize: 0 bytes/workgroup (compile time only)
; SGPRBlocks: 3
; VGPRBlocks: 2
; NumSGPRsForWavesPerEU: 28
; NumVGPRsForWavesPerEU: 20
; Occupancy: 16
; WaveLimiterHint : 0
; COMPUTE_PGM_RSRC2:SCRATCH_EN: 0
; COMPUTE_PGM_RSRC2:USER_SGPR: 15
; COMPUTE_PGM_RSRC2:TRAP_HANDLER: 0
; COMPUTE_PGM_RSRC2:TGID_X_EN: 1
; COMPUTE_PGM_RSRC2:TGID_Y_EN: 0
; COMPUTE_PGM_RSRC2:TGID_Z_EN: 0
; COMPUTE_PGM_RSRC2:TIDIG_COMP_CNT: 1
	.section	.text._ZN2at6native28tensor_kernel_scan_outer_dimIhjSt4plusIhEEEvPT_PKS4_jjjS4_T1_,"axG",@progbits,_ZN2at6native28tensor_kernel_scan_outer_dimIhjSt4plusIhEEEvPT_PKS4_jjjS4_T1_,comdat
	.protected	_ZN2at6native28tensor_kernel_scan_outer_dimIhjSt4plusIhEEEvPT_PKS4_jjjS4_T1_ ; -- Begin function _ZN2at6native28tensor_kernel_scan_outer_dimIhjSt4plusIhEEEvPT_PKS4_jjjS4_T1_
	.globl	_ZN2at6native28tensor_kernel_scan_outer_dimIhjSt4plusIhEEEvPT_PKS4_jjjS4_T1_
	.p2align	8
	.type	_ZN2at6native28tensor_kernel_scan_outer_dimIhjSt4plusIhEEEvPT_PKS4_jjjS4_T1_,@function
_ZN2at6native28tensor_kernel_scan_outer_dimIhjSt4plusIhEEEvPT_PKS4_jjjS4_T1_: ; @_ZN2at6native28tensor_kernel_scan_outer_dimIhjSt4plusIhEEEvPT_PKS4_jjjS4_T1_
; %bb.0:
	s_load_b128 s[4:7], s[0:1], 0x10
	s_waitcnt lgkmcnt(0)
	s_cmp_ge_u32 s14, s4
	s_cbranch_scc1 .LBB9_9
; %bb.1:
	s_clause 0x2
	s_load_b32 s13, s[0:1], 0x2c
	s_load_b32 s12, s[0:1], 0x20
	s_load_b128 s[8:11], s[0:1], 0x0
	s_add_u32 s2, s0, 32
	s_addc_u32 s3, s1, 0
	s_mul_i32 s16, s14, s6
	s_delay_alu instid0(SALU_CYCLE_1)
	s_mul_i32 s16, s16, s5
	s_waitcnt lgkmcnt(0)
	s_and_b32 s1, s13, 0xffff
	s_cmp_lg_u32 s6, 0
	v_mad_u64_u32 v[1:2], null, s15, s1, v[0:1]
	s_mul_i32 s17, s12, s6
	s_mov_b32 s13, s5
	s_cselect_b32 s15, -1, 0
	s_mul_i32 s17, s17, s5
	s_delay_alu instid0(VALU_DEP_1)
	v_cmp_gt_u32_e64 s0, s5, v1
	s_set_inst_prefetch_distance 0x1
	s_branch .LBB9_3
	.p2align	6
.LBB9_2:                                ;   in Loop: Header=BB9_3 Depth=1
	s_or_b32 exec_lo, exec_lo, s18
	s_add_i32 s14, s12, s14
	s_add_i32 s16, s16, s17
	s_cmp_ge_u32 s14, s4
	s_cbranch_scc1 .LBB9_9
.LBB9_3:                                ; =>This Loop Header: Depth=1
                                        ;     Child Loop BB9_6 Depth 2
                                        ;       Child Loop BB9_8 Depth 3
	s_delay_alu instid0(VALU_DEP_1)
	s_and_saveexec_b32 s18, s0
	s_cbranch_execz .LBB9_2
; %bb.4:                                ;   in Loop: Header=BB9_3 Depth=1
	s_load_b32 s19, s[2:3], 0x4
	v_mov_b32_e32 v0, v1
	s_mov_b32 s20, 0
	s_waitcnt lgkmcnt(0)
	s_mul_i32 s19, s19, s1
	s_branch .LBB9_6
	.p2align	6
.LBB9_5:                                ;   in Loop: Header=BB9_6 Depth=2
	v_add_nc_u32_e32 v0, s19, v0
	s_delay_alu instid0(VALU_DEP_1) | instskip(SKIP_1) | instid1(SALU_CYCLE_1)
	v_cmp_le_u32_e32 vcc_lo, s5, v0
	s_or_b32 s20, vcc_lo, s20
	s_and_not1_b32 exec_lo, exec_lo, s20
	s_cbranch_execz .LBB9_2
.LBB9_6:                                ;   Parent Loop BB9_3 Depth=1
                                        ; =>  This Loop Header: Depth=2
                                        ;       Child Loop BB9_8 Depth 3
	s_and_not1_b32 vcc_lo, exec_lo, s15
	s_cbranch_vccnz .LBB9_5
; %bb.7:                                ;   in Loop: Header=BB9_6 Depth=2
	v_add_co_u32 v2, s21, s16, v0
	s_delay_alu instid0(VALU_DEP_1)
	v_add_co_ci_u32_e64 v3, null, 0, 0, s21
	v_mov_b32_e32 v4, s7
	s_mov_b32 s21, s6
	.p2align	6
.LBB9_8:                                ;   Parent Loop BB9_3 Depth=1
                                        ;     Parent Loop BB9_6 Depth=2
                                        ; =>    This Inner Loop Header: Depth=3
	s_delay_alu instid0(VALU_DEP_3) | instskip(NEXT) | instid1(VALU_DEP_3)
	v_add_co_u32 v5, vcc_lo, s10, v2
	v_add_co_ci_u32_e32 v6, vcc_lo, s11, v3, vcc_lo
	s_add_i32 s21, s21, -1
	s_delay_alu instid0(SALU_CYCLE_1)
	s_cmp_eq_u32 s21, 0
	global_load_u8 v7, v[5:6], off
	v_add_co_u32 v5, vcc_lo, s8, v2
	v_add_co_ci_u32_e32 v6, vcc_lo, s9, v3, vcc_lo
	v_add_co_u32 v2, vcc_lo, v2, s13
	v_add_co_ci_u32_e32 v3, vcc_lo, 0, v3, vcc_lo
	s_waitcnt vmcnt(0)
	v_add_nc_u16 v4, v7, v4
	global_store_b8 v[5:6], v4, off
	s_cbranch_scc0 .LBB9_8
	s_branch .LBB9_5
.LBB9_9:
	s_set_inst_prefetch_distance 0x2
	s_nop 0
	s_sendmsg sendmsg(MSG_DEALLOC_VGPRS)
	s_endpgm
	.section	.rodata,"a",@progbits
	.p2align	6, 0x0
	.amdhsa_kernel _ZN2at6native28tensor_kernel_scan_outer_dimIhjSt4plusIhEEEvPT_PKS4_jjjS4_T1_
		.amdhsa_group_segment_fixed_size 0
		.amdhsa_private_segment_fixed_size 0
		.amdhsa_kernarg_size 288
		.amdhsa_user_sgpr_count 14
		.amdhsa_user_sgpr_dispatch_ptr 0
		.amdhsa_user_sgpr_queue_ptr 0
		.amdhsa_user_sgpr_kernarg_segment_ptr 1
		.amdhsa_user_sgpr_dispatch_id 0
		.amdhsa_user_sgpr_private_segment_size 0
		.amdhsa_wavefront_size32 1
		.amdhsa_uses_dynamic_stack 0
		.amdhsa_enable_private_segment 0
		.amdhsa_system_sgpr_workgroup_id_x 1
		.amdhsa_system_sgpr_workgroup_id_y 1
		.amdhsa_system_sgpr_workgroup_id_z 0
		.amdhsa_system_sgpr_workgroup_info 0
		.amdhsa_system_vgpr_workitem_id 0
		.amdhsa_next_free_vgpr 8
		.amdhsa_next_free_sgpr 22
		.amdhsa_reserve_vcc 1
		.amdhsa_float_round_mode_32 0
		.amdhsa_float_round_mode_16_64 0
		.amdhsa_float_denorm_mode_32 3
		.amdhsa_float_denorm_mode_16_64 3
		.amdhsa_dx10_clamp 1
		.amdhsa_ieee_mode 1
		.amdhsa_fp16_overflow 0
		.amdhsa_workgroup_processor_mode 1
		.amdhsa_memory_ordered 1
		.amdhsa_forward_progress 0
		.amdhsa_shared_vgpr_count 0
		.amdhsa_exception_fp_ieee_invalid_op 0
		.amdhsa_exception_fp_denorm_src 0
		.amdhsa_exception_fp_ieee_div_zero 0
		.amdhsa_exception_fp_ieee_overflow 0
		.amdhsa_exception_fp_ieee_underflow 0
		.amdhsa_exception_fp_ieee_inexact 0
		.amdhsa_exception_int_div_zero 0
	.end_amdhsa_kernel
	.section	.text._ZN2at6native28tensor_kernel_scan_outer_dimIhjSt4plusIhEEEvPT_PKS4_jjjS4_T1_,"axG",@progbits,_ZN2at6native28tensor_kernel_scan_outer_dimIhjSt4plusIhEEEvPT_PKS4_jjjS4_T1_,comdat
.Lfunc_end9:
	.size	_ZN2at6native28tensor_kernel_scan_outer_dimIhjSt4plusIhEEEvPT_PKS4_jjjS4_T1_, .Lfunc_end9-_ZN2at6native28tensor_kernel_scan_outer_dimIhjSt4plusIhEEEvPT_PKS4_jjjS4_T1_
                                        ; -- End function
	.section	.AMDGPU.csdata,"",@progbits
; Kernel info:
; codeLenInByte = 352
; NumSgprs: 24
; NumVgprs: 8
; ScratchSize: 0
; MemoryBound: 0
; FloatMode: 240
; IeeeMode: 1
; LDSByteSize: 0 bytes/workgroup (compile time only)
; SGPRBlocks: 2
; VGPRBlocks: 0
; NumSGPRsForWavesPerEU: 24
; NumVGPRsForWavesPerEU: 8
; Occupancy: 16
; WaveLimiterHint : 0
; COMPUTE_PGM_RSRC2:SCRATCH_EN: 0
; COMPUTE_PGM_RSRC2:USER_SGPR: 14
; COMPUTE_PGM_RSRC2:TRAP_HANDLER: 0
; COMPUTE_PGM_RSRC2:TGID_X_EN: 1
; COMPUTE_PGM_RSRC2:TGID_Y_EN: 1
; COMPUTE_PGM_RSRC2:TGID_Z_EN: 0
; COMPUTE_PGM_RSRC2:TIDIG_COMP_CNT: 0
	.section	.text._ZN2at6native28tensor_kernel_scan_outer_dimIhmSt4plusIhEEEvPT_PKS4_jjjS4_T1_,"axG",@progbits,_ZN2at6native28tensor_kernel_scan_outer_dimIhmSt4plusIhEEEvPT_PKS4_jjjS4_T1_,comdat
	.protected	_ZN2at6native28tensor_kernel_scan_outer_dimIhmSt4plusIhEEEvPT_PKS4_jjjS4_T1_ ; -- Begin function _ZN2at6native28tensor_kernel_scan_outer_dimIhmSt4plusIhEEEvPT_PKS4_jjjS4_T1_
	.globl	_ZN2at6native28tensor_kernel_scan_outer_dimIhmSt4plusIhEEEvPT_PKS4_jjjS4_T1_
	.p2align	8
	.type	_ZN2at6native28tensor_kernel_scan_outer_dimIhmSt4plusIhEEEvPT_PKS4_jjjS4_T1_,@function
_ZN2at6native28tensor_kernel_scan_outer_dimIhmSt4plusIhEEEvPT_PKS4_jjjS4_T1_: ; @_ZN2at6native28tensor_kernel_scan_outer_dimIhmSt4plusIhEEEvPT_PKS4_jjjS4_T1_
; %bb.0:
	s_load_b128 s[4:7], s[0:1], 0x10
	s_waitcnt lgkmcnt(0)
	s_cmp_ge_u32 s14, s4
	s_cbranch_scc1 .LBB10_9
; %bb.1:
	s_clause 0x2
	s_load_b32 s13, s[0:1], 0x2c
	s_load_b128 s[8:11], s[0:1], 0x0
	s_load_b32 s12, s[0:1], 0x20
	s_add_u32 s2, s0, 32
	s_addc_u32 s3, s1, 0
	s_mul_hi_u32 s16, s6, s5
	s_mul_i32 s17, s6, s5
	s_waitcnt lgkmcnt(0)
	s_and_b32 s1, s13, 0xffff
	s_cmp_lg_u32 s6, 0
	v_mad_u64_u32 v[1:2], null, s15, s1, v[0:1]
	s_cselect_b32 s13, -1, 0
	s_mov_b32 s15, s5
	s_delay_alu instid0(VALU_DEP_1)
	v_cmp_gt_u32_e64 s0, s5, v1
	s_set_inst_prefetch_distance 0x1
	s_branch .LBB10_3
	.p2align	6
.LBB10_2:                               ;   in Loop: Header=BB10_3 Depth=1
	s_or_b32 exec_lo, exec_lo, s18
	s_add_i32 s14, s14, s12
	s_delay_alu instid0(SALU_CYCLE_1)
	s_cmp_ge_u32 s14, s4
	s_cbranch_scc1 .LBB10_9
.LBB10_3:                               ; =>This Loop Header: Depth=1
                                        ;     Child Loop BB10_6 Depth 2
                                        ;       Child Loop BB10_8 Depth 3
	s_delay_alu instid0(VALU_DEP_1)
	s_and_saveexec_b32 s18, s0
	s_cbranch_execz .LBB10_2
; %bb.4:                                ;   in Loop: Header=BB10_3 Depth=1
	s_load_b32 s21, s[2:3], 0x4
	v_mov_b32_e32 v0, v1
	s_mul_i32 s20, s16, s14
	s_mul_hi_u32 s22, s17, s14
	s_mul_i32 s19, s17, s14
	s_add_i32 s20, s22, s20
	s_mov_b32 s22, 0
	s_waitcnt lgkmcnt(0)
	s_mul_i32 s21, s21, s1
	s_branch .LBB10_6
	.p2align	6
.LBB10_5:                               ;   in Loop: Header=BB10_6 Depth=2
	v_add_nc_u32_e32 v0, s21, v0
	s_delay_alu instid0(VALU_DEP_1) | instskip(SKIP_1) | instid1(SALU_CYCLE_1)
	v_cmp_le_u32_e32 vcc_lo, s5, v0
	s_or_b32 s22, vcc_lo, s22
	s_and_not1_b32 exec_lo, exec_lo, s22
	s_cbranch_execz .LBB10_2
.LBB10_6:                               ;   Parent Loop BB10_3 Depth=1
                                        ; =>  This Loop Header: Depth=2
                                        ;       Child Loop BB10_8 Depth 3
	s_and_not1_b32 vcc_lo, exec_lo, s13
	s_cbranch_vccnz .LBB10_5
; %bb.7:                                ;   in Loop: Header=BB10_6 Depth=2
	v_add_co_u32 v2, s23, s19, v0
	s_delay_alu instid0(VALU_DEP_1)
	v_add_co_ci_u32_e64 v3, null, s20, 0, s23
	v_mov_b32_e32 v4, s7
	s_mov_b32 s23, s6
	.p2align	6
.LBB10_8:                               ;   Parent Loop BB10_3 Depth=1
                                        ;     Parent Loop BB10_6 Depth=2
                                        ; =>    This Inner Loop Header: Depth=3
	s_delay_alu instid0(VALU_DEP_3) | instskip(NEXT) | instid1(VALU_DEP_3)
	v_add_co_u32 v5, vcc_lo, s10, v2
	v_add_co_ci_u32_e32 v6, vcc_lo, s11, v3, vcc_lo
	s_add_i32 s23, s23, -1
	s_delay_alu instid0(SALU_CYCLE_1)
	s_cmp_eq_u32 s23, 0
	global_load_u8 v7, v[5:6], off
	v_add_co_u32 v5, vcc_lo, s8, v2
	v_add_co_ci_u32_e32 v6, vcc_lo, s9, v3, vcc_lo
	v_add_co_u32 v2, vcc_lo, v2, s15
	v_add_co_ci_u32_e32 v3, vcc_lo, 0, v3, vcc_lo
	s_waitcnt vmcnt(0)
	v_add_nc_u16 v4, v7, v4
	global_store_b8 v[5:6], v4, off
	s_cbranch_scc0 .LBB10_8
	s_branch .LBB10_5
.LBB10_9:
	s_set_inst_prefetch_distance 0x2
	s_nop 0
	s_sendmsg sendmsg(MSG_DEALLOC_VGPRS)
	s_endpgm
	.section	.rodata,"a",@progbits
	.p2align	6, 0x0
	.amdhsa_kernel _ZN2at6native28tensor_kernel_scan_outer_dimIhmSt4plusIhEEEvPT_PKS4_jjjS4_T1_
		.amdhsa_group_segment_fixed_size 0
		.amdhsa_private_segment_fixed_size 0
		.amdhsa_kernarg_size 288
		.amdhsa_user_sgpr_count 14
		.amdhsa_user_sgpr_dispatch_ptr 0
		.amdhsa_user_sgpr_queue_ptr 0
		.amdhsa_user_sgpr_kernarg_segment_ptr 1
		.amdhsa_user_sgpr_dispatch_id 0
		.amdhsa_user_sgpr_private_segment_size 0
		.amdhsa_wavefront_size32 1
		.amdhsa_uses_dynamic_stack 0
		.amdhsa_enable_private_segment 0
		.amdhsa_system_sgpr_workgroup_id_x 1
		.amdhsa_system_sgpr_workgroup_id_y 1
		.amdhsa_system_sgpr_workgroup_id_z 0
		.amdhsa_system_sgpr_workgroup_info 0
		.amdhsa_system_vgpr_workitem_id 0
		.amdhsa_next_free_vgpr 8
		.amdhsa_next_free_sgpr 24
		.amdhsa_reserve_vcc 1
		.amdhsa_float_round_mode_32 0
		.amdhsa_float_round_mode_16_64 0
		.amdhsa_float_denorm_mode_32 3
		.amdhsa_float_denorm_mode_16_64 3
		.amdhsa_dx10_clamp 1
		.amdhsa_ieee_mode 1
		.amdhsa_fp16_overflow 0
		.amdhsa_workgroup_processor_mode 1
		.amdhsa_memory_ordered 1
		.amdhsa_forward_progress 0
		.amdhsa_shared_vgpr_count 0
		.amdhsa_exception_fp_ieee_invalid_op 0
		.amdhsa_exception_fp_denorm_src 0
		.amdhsa_exception_fp_ieee_div_zero 0
		.amdhsa_exception_fp_ieee_overflow 0
		.amdhsa_exception_fp_ieee_underflow 0
		.amdhsa_exception_fp_ieee_inexact 0
		.amdhsa_exception_int_div_zero 0
	.end_amdhsa_kernel
	.section	.text._ZN2at6native28tensor_kernel_scan_outer_dimIhmSt4plusIhEEEvPT_PKS4_jjjS4_T1_,"axG",@progbits,_ZN2at6native28tensor_kernel_scan_outer_dimIhmSt4plusIhEEEvPT_PKS4_jjjS4_T1_,comdat
.Lfunc_end10:
	.size	_ZN2at6native28tensor_kernel_scan_outer_dimIhmSt4plusIhEEEvPT_PKS4_jjjS4_T1_, .Lfunc_end10-_ZN2at6native28tensor_kernel_scan_outer_dimIhmSt4plusIhEEEvPT_PKS4_jjjS4_T1_
                                        ; -- End function
	.section	.AMDGPU.csdata,"",@progbits
; Kernel info:
; codeLenInByte = 356
; NumSgprs: 26
; NumVgprs: 8
; ScratchSize: 0
; MemoryBound: 0
; FloatMode: 240
; IeeeMode: 1
; LDSByteSize: 0 bytes/workgroup (compile time only)
; SGPRBlocks: 3
; VGPRBlocks: 0
; NumSGPRsForWavesPerEU: 26
; NumVGPRsForWavesPerEU: 8
; Occupancy: 16
; WaveLimiterHint : 0
; COMPUTE_PGM_RSRC2:SCRATCH_EN: 0
; COMPUTE_PGM_RSRC2:USER_SGPR: 14
; COMPUTE_PGM_RSRC2:TRAP_HANDLER: 0
; COMPUTE_PGM_RSRC2:TGID_X_EN: 1
; COMPUTE_PGM_RSRC2:TGID_Y_EN: 1
; COMPUTE_PGM_RSRC2:TGID_Z_EN: 0
; COMPUTE_PGM_RSRC2:TIDIG_COMP_CNT: 0
	.section	.text._ZN2at4cuda3cub15calc_block_sumsILi512ELi16ELb0EaaEEvPKT2_PT3_li,"axG",@progbits,_ZN2at4cuda3cub15calc_block_sumsILi512ELi16ELb0EaaEEvPKT2_PT3_li,comdat
	.protected	_ZN2at4cuda3cub15calc_block_sumsILi512ELi16ELb0EaaEEvPKT2_PT3_li ; -- Begin function _ZN2at4cuda3cub15calc_block_sumsILi512ELi16ELb0EaaEEvPKT2_PT3_li
	.globl	_ZN2at4cuda3cub15calc_block_sumsILi512ELi16ELb0EaaEEvPKT2_PT3_li
	.p2align	8
	.type	_ZN2at4cuda3cub15calc_block_sumsILi512ELi16ELb0EaaEEvPKT2_PT3_li,@function
_ZN2at4cuda3cub15calc_block_sumsILi512ELi16ELb0EaaEEvPKT2_PT3_li: ; @_ZN2at4cuda3cub15calc_block_sumsILi512ELi16ELb0EaaEEvPKT2_PT3_li
; %bb.0:
	s_clause 0x1
	s_load_b32 s12, s[0:1], 0x18
	s_load_b64 s[4:5], s[0:1], 0x10
	s_waitcnt lgkmcnt(0)
	s_lshl_b32 s2, s12, 13
	s_delay_alu instid0(SALU_CYCLE_1)
	s_ashr_i32 s3, s2, 31
	s_mul_hi_u32 s7, s2, s15
	s_mul_i32 s3, s3, s15
	s_mul_i32 s6, s2, s15
	s_add_i32 s7, s7, s3
	s_sub_u32 s8, s4, s6
	s_subb_u32 s9, s5, s7
	s_delay_alu instid0(SALU_CYCLE_1) | instskip(NEXT) | instid1(VALU_DEP_1)
	v_cmp_lt_i64_e64 s2, s[8:9], 1
	s_and_b32 vcc_lo, exec_lo, s2
	s_cbranch_vccnz .LBB11_54
; %bb.1:
	s_load_b128 s[0:3], s[0:1], 0x0
	s_cmp_gt_i32 s12, 0
	s_mov_b32 s13, 0
	s_cbranch_scc1 .LBB11_3
; %bb.2:
	s_mov_b32 s5, 0
	s_delay_alu instid0(SALU_CYCLE_1)
	v_mov_b32_e32 v9, s5
	s_and_not1_b32 vcc_lo, exec_lo, s13
	s_cbranch_vccz .LBB11_4
	s_branch .LBB11_52
.LBB11_3:
	s_mov_b32 s13, -1
                                        ; implicit-def: $sgpr5
	v_mov_b32_e32 v9, s5
.LBB11_4:
	s_waitcnt lgkmcnt(0)
	s_add_u32 s10, s0, s6
	s_mul_i32 s0, s15, s12
	s_addc_u32 s11, s1, s7
	v_dual_mov_b32 v2, 0 :: v_dual_mov_b32 v9, 0
	v_add_nc_u32_e32 v10, 0x200, v0
	v_or_b32_e32 v11, 0x400, v0
	v_add_nc_u32_e32 v12, 0x600, v0
	v_or_b32_e32 v13, 0x800, v0
	;; [unrolled: 2-line block ×7, first 2 shown]
	v_add_nc_u32_e32 v24, 0x1e00, v0
	v_lshrrev_b32_e32 v25, 5, v0
	s_lshl_b32 s1, s0, 13
	v_cmp_gt_u32_e64 s0, 32, v0
	v_mbcnt_lo_u32_b32 v26, -1, 0
	s_sub_i32 s1, s4, s1
	s_mov_b32 s4, 0
	s_mov_b32 s13, -1
	s_mov_b32 s14, 0
	s_branch .LBB11_6
.LBB11_5:                               ;   in Loop: Header=BB11_6 Depth=1
	s_add_u32 s10, s10, 0x2000
	s_addc_u32 s11, s11, 0
	s_add_u32 s8, s8, 0xffffe000
	s_addc_u32 s9, s9, -1
	s_add_i32 s14, s14, 1
	s_delay_alu instid0(SALU_CYCLE_1)
	s_cmp_lt_i32 s14, s12
	s_barrier
	s_cselect_b32 s13, -1, 0
	s_addk_i32 s1, 0xe000
	s_cmp_eq_u32 s12, s14
	buffer_gl0_inv
	s_cselect_b32 s5, -1, 0
	s_delay_alu instid0(SALU_CYCLE_1)
	s_and_not1_b32 vcc_lo, exec_lo, s5
	s_cbranch_vccz .LBB11_52
.LBB11_6:                               ; =>This Inner Loop Header: Depth=1
	v_cmp_gt_i64_e64 s5, 0x2000, s[8:9]
                                        ; implicit-def: $vgpr1
	s_delay_alu instid0(VALU_DEP_1)
	s_and_b32 vcc_lo, exec_lo, s5
	s_mov_b32 s5, -1
	s_cbranch_vccnz .LBB11_9
; %bb.7:                                ;   in Loop: Header=BB11_6 Depth=1
	s_and_b32 vcc_lo, exec_lo, s5
	s_cbranch_vccnz .LBB11_31
.LBB11_8:                               ;   in Loop: Header=BB11_6 Depth=1
	v_cmp_gt_i64_e64 s5, 0x2001, s[8:9]
	s_delay_alu instid0(VALU_DEP_2) | instskip(NEXT) | instid1(VALU_DEP_2)
	v_add_nc_u16 v9, v1, v9
	s_and_b32 vcc_lo, exec_lo, s5
	s_cbranch_vccz .LBB11_5
	s_branch .LBB11_36
.LBB11_9:                               ;   in Loop: Header=BB11_6 Depth=1
	v_add_co_u32 v7, s5, s10, v0
	s_delay_alu instid0(VALU_DEP_1)
	v_add_co_ci_u32_e64 v8, null, s11, 0, s5
	s_mov_b32 s5, s4
	s_mov_b32 s6, s4
	;; [unrolled: 1-line block ×3, first 2 shown]
	v_dual_mov_b32 v3, s4 :: v_dual_mov_b32 v4, s5
	v_dual_mov_b32 v5, s6 :: v_dual_mov_b32 v6, s7
	s_mov_b32 s5, exec_lo
	v_cmpx_gt_u32_e64 s1, v0
	s_cbranch_execnz .LBB11_37
; %bb.10:                               ;   in Loop: Header=BB11_6 Depth=1
	s_or_b32 exec_lo, exec_lo, s5
	s_delay_alu instid0(SALU_CYCLE_1)
	s_mov_b32 s5, exec_lo
	v_cmpx_gt_u32_e64 s1, v10
	s_cbranch_execnz .LBB11_38
.LBB11_11:                              ;   in Loop: Header=BB11_6 Depth=1
	s_or_b32 exec_lo, exec_lo, s5
	s_delay_alu instid0(SALU_CYCLE_1)
	s_mov_b32 s5, exec_lo
	v_cmpx_gt_u32_e64 s1, v11
	s_cbranch_execnz .LBB11_39
.LBB11_12:                              ;   in Loop: Header=BB11_6 Depth=1
	s_or_b32 exec_lo, exec_lo, s5
	s_delay_alu instid0(SALU_CYCLE_1)
	s_mov_b32 s5, exec_lo
	v_cmpx_gt_u32_e64 s1, v12
	s_cbranch_execnz .LBB11_40
.LBB11_13:                              ;   in Loop: Header=BB11_6 Depth=1
	s_or_b32 exec_lo, exec_lo, s5
	s_delay_alu instid0(SALU_CYCLE_1)
	s_mov_b32 s5, exec_lo
	v_cmpx_gt_u32_e64 s1, v13
	s_cbranch_execnz .LBB11_41
.LBB11_14:                              ;   in Loop: Header=BB11_6 Depth=1
	s_or_b32 exec_lo, exec_lo, s5
	s_delay_alu instid0(SALU_CYCLE_1)
	s_mov_b32 s5, exec_lo
	v_cmpx_gt_u32_e64 s1, v14
	s_cbranch_execnz .LBB11_42
.LBB11_15:                              ;   in Loop: Header=BB11_6 Depth=1
	s_or_b32 exec_lo, exec_lo, s5
	s_delay_alu instid0(SALU_CYCLE_1)
	s_mov_b32 s5, exec_lo
	v_cmpx_gt_u32_e64 s1, v15
	s_cbranch_execnz .LBB11_43
.LBB11_16:                              ;   in Loop: Header=BB11_6 Depth=1
	s_or_b32 exec_lo, exec_lo, s5
	s_delay_alu instid0(SALU_CYCLE_1)
	s_mov_b32 s5, exec_lo
	v_cmpx_gt_u32_e64 s1, v16
	s_cbranch_execnz .LBB11_44
.LBB11_17:                              ;   in Loop: Header=BB11_6 Depth=1
	s_or_b32 exec_lo, exec_lo, s5
	s_delay_alu instid0(SALU_CYCLE_1)
	s_mov_b32 s5, exec_lo
	v_cmpx_gt_u32_e64 s1, v17
	s_cbranch_execnz .LBB11_45
.LBB11_18:                              ;   in Loop: Header=BB11_6 Depth=1
	s_or_b32 exec_lo, exec_lo, s5
	s_delay_alu instid0(SALU_CYCLE_1)
	s_mov_b32 s5, exec_lo
	v_cmpx_gt_u32_e64 s1, v18
	s_cbranch_execnz .LBB11_46
.LBB11_19:                              ;   in Loop: Header=BB11_6 Depth=1
	s_or_b32 exec_lo, exec_lo, s5
	s_delay_alu instid0(SALU_CYCLE_1)
	s_mov_b32 s5, exec_lo
	v_cmpx_gt_u32_e64 s1, v19
	s_cbranch_execnz .LBB11_47
.LBB11_20:                              ;   in Loop: Header=BB11_6 Depth=1
	s_or_b32 exec_lo, exec_lo, s5
	s_delay_alu instid0(SALU_CYCLE_1)
	s_mov_b32 s5, exec_lo
	v_cmpx_gt_u32_e64 s1, v20
	s_cbranch_execnz .LBB11_48
.LBB11_21:                              ;   in Loop: Header=BB11_6 Depth=1
	s_or_b32 exec_lo, exec_lo, s5
	s_delay_alu instid0(SALU_CYCLE_1)
	s_mov_b32 s5, exec_lo
	v_cmpx_gt_u32_e64 s1, v21
	s_cbranch_execnz .LBB11_49
.LBB11_22:                              ;   in Loop: Header=BB11_6 Depth=1
	s_or_b32 exec_lo, exec_lo, s5
	s_delay_alu instid0(SALU_CYCLE_1)
	s_mov_b32 s5, exec_lo
	v_cmpx_gt_u32_e64 s1, v22
	s_cbranch_execnz .LBB11_50
.LBB11_23:                              ;   in Loop: Header=BB11_6 Depth=1
	s_or_b32 exec_lo, exec_lo, s5
	s_delay_alu instid0(SALU_CYCLE_1)
	s_mov_b32 s5, exec_lo
	v_cmpx_gt_u32_e64 s1, v23
	s_cbranch_execnz .LBB11_51
.LBB11_24:                              ;   in Loop: Header=BB11_6 Depth=1
	s_or_b32 exec_lo, exec_lo, s5
	s_delay_alu instid0(SALU_CYCLE_1)
	s_mov_b32 s5, exec_lo
	v_cmpx_gt_u32_e64 s1, v24
	s_cbranch_execz .LBB11_26
.LBB11_25:                              ;   in Loop: Header=BB11_6 Depth=1
	v_add_co_u32 v7, vcc_lo, 0x1000, v7
	v_add_co_ci_u32_e32 v8, vcc_lo, 0, v8, vcc_lo
	global_load_u8 v1, v[7:8], off offset:3584
	s_waitcnt vmcnt(0)
	v_perm_b32 v6, v6, v1, 0x60504
.LBB11_26:                              ;   in Loop: Header=BB11_6 Depth=1
	s_or_b32 exec_lo, exec_lo, s5
	v_lshrrev_b32_e32 v1, 8, v3
	v_lshrrev_b32_e32 v27, 16, v3
	v_lshrrev_b64 v[7:8], 24, v[3:4]
	s_mov_b32 s5, exec_lo
	s_delay_alu instid0(VALU_DEP_3) | instskip(SKIP_4) | instid1(VALU_DEP_1)
	v_add_nc_u16 v1, v1, v3
	v_lshrrev_b32_e32 v3, 8, v4
	s_barrier
	buffer_gl0_inv
	v_add_nc_u16 v1, v1, v27
	v_add_nc_u16 v1, v1, v7
	v_lshrrev_b32_e32 v7, 16, v4
	s_delay_alu instid0(VALU_DEP_2) | instskip(NEXT) | instid1(VALU_DEP_1)
	v_add_nc_u16 v1, v1, v4
	v_add_nc_u16 v1, v1, v3
	v_lshrrev_b32_e32 v3, 24, v4
	s_delay_alu instid0(VALU_DEP_2) | instskip(SKIP_1) | instid1(VALU_DEP_2)
	v_add_nc_u16 v1, v1, v7
	v_lshrrev_b32_e32 v7, 16, v5
	v_add_nc_u16 v1, v1, v3
	v_lshrrev_b32_e32 v3, 8, v5
	s_delay_alu instid0(VALU_DEP_2) | instskip(NEXT) | instid1(VALU_DEP_1)
	v_add_nc_u16 v1, v1, v5
	v_add_nc_u16 v1, v1, v3
	v_lshrrev_b64 v[3:4], 24, v[5:6]
	v_lshrrev_b32_e32 v4, 16, v6
	s_delay_alu instid0(VALU_DEP_3) | instskip(NEXT) | instid1(VALU_DEP_1)
	v_add_nc_u16 v1, v1, v7
	v_add_nc_u16 v1, v1, v3
	v_lshrrev_b32_e32 v3, 8, v6
	s_delay_alu instid0(VALU_DEP_2) | instskip(NEXT) | instid1(VALU_DEP_1)
	v_add_nc_u16 v1, v1, v6
	v_add_nc_u16 v1, v1, v3
	v_lshrrev_b32_e32 v3, 24, v6
	s_delay_alu instid0(VALU_DEP_2) | instskip(NEXT) | instid1(VALU_DEP_1)
	v_add_nc_u16 v1, v1, v4
	v_add_nc_u16 v1, v1, v3
	s_delay_alu instid0(VALU_DEP_1) | instskip(NEXT) | instid1(VALU_DEP_1)
	v_and_b32_e32 v3, 0xff, v1
	v_mov_b32_dpp v3, v3 quad_perm:[1,0,3,2] row_mask:0xf bank_mask:0xf
	s_delay_alu instid0(VALU_DEP_1) | instskip(NEXT) | instid1(VALU_DEP_1)
	v_add_nc_u16 v1, v1, v3
	v_and_b32_e32 v3, 0xff, v1
	s_delay_alu instid0(VALU_DEP_1) | instskip(NEXT) | instid1(VALU_DEP_1)
	v_mov_b32_dpp v3, v3 quad_perm:[2,3,0,1] row_mask:0xf bank_mask:0xf
	v_add_nc_u16 v1, v1, v3
	s_delay_alu instid0(VALU_DEP_1) | instskip(NEXT) | instid1(VALU_DEP_1)
	v_and_b32_e32 v3, 0xff, v1
	v_mov_b32_dpp v3, v3 row_ror:4 row_mask:0xf bank_mask:0xf
	s_delay_alu instid0(VALU_DEP_1) | instskip(NEXT) | instid1(VALU_DEP_1)
	v_add_nc_u16 v1, v1, v3
	v_and_b32_e32 v3, 0xff, v1
	s_delay_alu instid0(VALU_DEP_1) | instskip(NEXT) | instid1(VALU_DEP_1)
	v_mov_b32_dpp v3, v3 row_ror:8 row_mask:0xf bank_mask:0xf
	v_add_nc_u16 v1, v1, v3
	s_delay_alu instid0(VALU_DEP_1) | instskip(SKIP_3) | instid1(VALU_DEP_1)
	v_and_b32_e32 v3, 0xff, v1
	ds_swizzle_b32 v3, v3 offset:swizzle(BROADCAST,32,15)
	s_waitcnt lgkmcnt(0)
	v_add_nc_u16 v1, v1, v3
	v_and_b32_e32 v1, 0xff, v1
	ds_bpermute_b32 v1, v2, v1 offset:124
	v_cmpx_eq_u32_e32 0, v26
	s_cbranch_execz .LBB11_28
; %bb.27:                               ;   in Loop: Header=BB11_6 Depth=1
	s_waitcnt lgkmcnt(0)
	ds_store_b8 v25, v1
.LBB11_28:                              ;   in Loop: Header=BB11_6 Depth=1
	s_or_b32 exec_lo, exec_lo, s5
	s_waitcnt lgkmcnt(0)
	s_barrier
	buffer_gl0_inv
	s_and_saveexec_b32 s5, s0
	s_cbranch_execz .LBB11_30
; %bb.29:                               ;   in Loop: Header=BB11_6 Depth=1
	v_and_b32_e32 v1, 15, v26
	ds_load_u8 v3, v1
	v_cmp_ne_u32_e32 vcc_lo, 15, v1
	v_add_co_ci_u32_e32 v4, vcc_lo, 0, v26, vcc_lo
	v_cmp_gt_u32_e32 vcc_lo, 14, v1
	s_delay_alu instid0(VALU_DEP_2)
	v_lshlrev_b32_e32 v4, 2, v4
	s_waitcnt lgkmcnt(0)
	v_and_b32_e32 v5, 0xff, v3
	ds_bpermute_b32 v4, v4, v5
	v_cndmask_b32_e64 v5, 0, 1, vcc_lo
	v_cmp_gt_u32_e32 vcc_lo, 12, v1
	s_delay_alu instid0(VALU_DEP_2) | instskip(SKIP_2) | instid1(VALU_DEP_2)
	v_lshlrev_b32_e32 v5, 1, v5
	s_waitcnt lgkmcnt(0)
	v_add_nc_u16 v3, v3, v4
	v_add_lshl_u32 v4, v5, v26, 2
	s_delay_alu instid0(VALU_DEP_2) | instskip(SKIP_3) | instid1(VALU_DEP_2)
	v_and_b32_e32 v5, 0xff, v3
	ds_bpermute_b32 v4, v4, v5
	v_cndmask_b32_e64 v5, 0, 1, vcc_lo
	v_cmp_gt_u32_e32 vcc_lo, 8, v1
	v_lshlrev_b32_e32 v5, 2, v5
	v_cndmask_b32_e64 v1, 0, 1, vcc_lo
	s_delay_alu instid0(VALU_DEP_1) | instskip(NEXT) | instid1(VALU_DEP_1)
	v_lshlrev_b32_e32 v1, 3, v1
	v_add_lshl_u32 v1, v1, v26, 2
	s_waitcnt lgkmcnt(0)
	v_add_nc_u16 v3, v3, v4
	v_add_lshl_u32 v4, v5, v26, 2
	s_delay_alu instid0(VALU_DEP_2) | instskip(SKIP_3) | instid1(VALU_DEP_1)
	v_and_b32_e32 v5, 0xff, v3
	ds_bpermute_b32 v4, v4, v5
	s_waitcnt lgkmcnt(0)
	v_add_nc_u16 v3, v3, v4
	v_and_b32_e32 v4, 0xff, v3
	ds_bpermute_b32 v1, v1, v4
	s_waitcnt lgkmcnt(0)
	v_add_nc_u16 v1, v3, v1
.LBB11_30:                              ;   in Loop: Header=BB11_6 Depth=1
	s_or_b32 exec_lo, exec_lo, s5
	s_branch .LBB11_8
.LBB11_31:                              ;   in Loop: Header=BB11_6 Depth=1
	v_add_co_u32 v3, s5, s10, v0
	s_delay_alu instid0(VALU_DEP_1)
	v_add_co_ci_u32_e64 v4, null, s11, 0, s5
	s_mov_b32 s5, exec_lo
	s_clause 0x7
	global_load_u8 v1, v[3:4], off
	global_load_u8 v5, v[3:4], off offset:512
	global_load_u8 v6, v[3:4], off offset:1024
	;; [unrolled: 1-line block ×7, first 2 shown]
	v_add_co_u32 v3, vcc_lo, 0x1000, v3
	v_add_co_ci_u32_e32 v4, vcc_lo, 0, v4, vcc_lo
	s_clause 0x7
	global_load_u8 v30, v[3:4], off
	global_load_u8 v31, v[3:4], off offset:512
	global_load_u8 v32, v[3:4], off offset:1024
	;; [unrolled: 1-line block ×7, first 2 shown]
	s_waitcnt vmcnt(0)
	s_barrier
	buffer_gl0_inv
	v_add_nc_u16 v1, v5, v1
	s_delay_alu instid0(VALU_DEP_1) | instskip(NEXT) | instid1(VALU_DEP_1)
	v_add_nc_u16 v1, v1, v6
	v_add_nc_u16 v1, v1, v7
	s_delay_alu instid0(VALU_DEP_1) | instskip(NEXT) | instid1(VALU_DEP_1)
	v_add_nc_u16 v1, v1, v8
	v_add_nc_u16 v1, v1, v27
	s_delay_alu instid0(VALU_DEP_1) | instskip(NEXT) | instid1(VALU_DEP_1)
	v_add_nc_u16 v1, v1, v28
	v_add_nc_u16 v1, v1, v29
	s_delay_alu instid0(VALU_DEP_1) | instskip(NEXT) | instid1(VALU_DEP_1)
	v_add_nc_u16 v1, v1, v30
	v_add_nc_u16 v1, v1, v31
	s_delay_alu instid0(VALU_DEP_1) | instskip(NEXT) | instid1(VALU_DEP_1)
	v_add_nc_u16 v1, v1, v32
	v_add_nc_u16 v1, v1, v33
	s_delay_alu instid0(VALU_DEP_1) | instskip(NEXT) | instid1(VALU_DEP_1)
	v_add_nc_u16 v1, v1, v34
	v_add_nc_u16 v1, v1, v35
	s_delay_alu instid0(VALU_DEP_1) | instskip(NEXT) | instid1(VALU_DEP_1)
	v_add_nc_u16 v1, v1, v36
	v_add_nc_u16 v1, v1, v3
	s_delay_alu instid0(VALU_DEP_1) | instskip(NEXT) | instid1(VALU_DEP_1)
	v_and_b32_e32 v3, 0xff, v1
	v_mov_b32_dpp v3, v3 quad_perm:[1,0,3,2] row_mask:0xf bank_mask:0xf
	s_delay_alu instid0(VALU_DEP_1) | instskip(NEXT) | instid1(VALU_DEP_1)
	v_add_nc_u16 v1, v1, v3
	v_and_b32_e32 v3, 0xff, v1
	s_delay_alu instid0(VALU_DEP_1) | instskip(NEXT) | instid1(VALU_DEP_1)
	v_mov_b32_dpp v3, v3 quad_perm:[2,3,0,1] row_mask:0xf bank_mask:0xf
	v_add_nc_u16 v1, v1, v3
	s_delay_alu instid0(VALU_DEP_1) | instskip(NEXT) | instid1(VALU_DEP_1)
	v_and_b32_e32 v3, 0xff, v1
	v_mov_b32_dpp v3, v3 row_ror:4 row_mask:0xf bank_mask:0xf
	s_delay_alu instid0(VALU_DEP_1) | instskip(NEXT) | instid1(VALU_DEP_1)
	v_add_nc_u16 v1, v1, v3
	v_and_b32_e32 v3, 0xff, v1
	s_delay_alu instid0(VALU_DEP_1) | instskip(NEXT) | instid1(VALU_DEP_1)
	v_mov_b32_dpp v3, v3 row_ror:8 row_mask:0xf bank_mask:0xf
	v_add_nc_u16 v1, v1, v3
	s_delay_alu instid0(VALU_DEP_1) | instskip(SKIP_3) | instid1(VALU_DEP_1)
	v_and_b32_e32 v3, 0xff, v1
	ds_swizzle_b32 v3, v3 offset:swizzle(BROADCAST,32,15)
	s_waitcnt lgkmcnt(0)
	v_add_nc_u16 v1, v1, v3
	v_and_b32_e32 v1, 0xff, v1
	ds_bpermute_b32 v1, v2, v1 offset:124
	v_cmpx_eq_u32_e32 0, v26
	s_cbranch_execz .LBB11_33
; %bb.32:                               ;   in Loop: Header=BB11_6 Depth=1
	s_waitcnt lgkmcnt(0)
	ds_store_b8 v25, v1
.LBB11_33:                              ;   in Loop: Header=BB11_6 Depth=1
	s_or_b32 exec_lo, exec_lo, s5
	s_waitcnt lgkmcnt(0)
	s_barrier
	buffer_gl0_inv
	s_and_saveexec_b32 s5, s0
	s_cbranch_execz .LBB11_35
; %bb.34:                               ;   in Loop: Header=BB11_6 Depth=1
	v_and_b32_e32 v1, 15, v26
	ds_load_u8 v3, v1
	v_cmp_ne_u32_e32 vcc_lo, 15, v1
	v_add_co_ci_u32_e32 v4, vcc_lo, 0, v26, vcc_lo
	v_cmp_gt_u32_e32 vcc_lo, 14, v1
	s_delay_alu instid0(VALU_DEP_2)
	v_lshlrev_b32_e32 v4, 2, v4
	s_waitcnt lgkmcnt(0)
	v_and_b32_e32 v5, 0xff, v3
	ds_bpermute_b32 v4, v4, v5
	v_cndmask_b32_e64 v5, 0, 1, vcc_lo
	v_cmp_gt_u32_e32 vcc_lo, 12, v1
	s_delay_alu instid0(VALU_DEP_2) | instskip(SKIP_2) | instid1(VALU_DEP_2)
	v_lshlrev_b32_e32 v5, 1, v5
	s_waitcnt lgkmcnt(0)
	v_add_nc_u16 v3, v3, v4
	v_add_lshl_u32 v4, v5, v26, 2
	s_delay_alu instid0(VALU_DEP_2) | instskip(SKIP_3) | instid1(VALU_DEP_2)
	v_and_b32_e32 v5, 0xff, v3
	ds_bpermute_b32 v4, v4, v5
	v_cndmask_b32_e64 v5, 0, 1, vcc_lo
	v_cmp_gt_u32_e32 vcc_lo, 8, v1
	v_lshlrev_b32_e32 v5, 2, v5
	v_cndmask_b32_e64 v1, 0, 1, vcc_lo
	s_delay_alu instid0(VALU_DEP_1) | instskip(NEXT) | instid1(VALU_DEP_1)
	v_lshlrev_b32_e32 v1, 3, v1
	v_add_lshl_u32 v1, v1, v26, 2
	s_waitcnt lgkmcnt(0)
	v_add_nc_u16 v3, v3, v4
	v_add_lshl_u32 v4, v5, v26, 2
	s_delay_alu instid0(VALU_DEP_2) | instskip(SKIP_3) | instid1(VALU_DEP_1)
	v_and_b32_e32 v5, 0xff, v3
	ds_bpermute_b32 v4, v4, v5
	s_waitcnt lgkmcnt(0)
	v_add_nc_u16 v3, v3, v4
	v_and_b32_e32 v4, 0xff, v3
	ds_bpermute_b32 v1, v1, v4
	s_waitcnt lgkmcnt(0)
	v_add_nc_u16 v1, v3, v1
.LBB11_35:                              ;   in Loop: Header=BB11_6 Depth=1
	s_or_b32 exec_lo, exec_lo, s5
	v_cmp_gt_i64_e64 s5, 0x2001, s[8:9]
	s_delay_alu instid0(VALU_DEP_2) | instskip(NEXT) | instid1(VALU_DEP_2)
	v_add_nc_u16 v9, v1, v9
	s_and_b32 vcc_lo, exec_lo, s5
	s_cbranch_vccz .LBB11_5
.LBB11_36:
                                        ; implicit-def: $sgpr10_sgpr11
                                        ; implicit-def: $sgpr14
                                        ; implicit-def: $sgpr8_sgpr9
                                        ; implicit-def: $sgpr1
	s_branch .LBB11_52
.LBB11_37:                              ;   in Loop: Header=BB11_6 Depth=1
	global_load_u8 v1, v[7:8], off
	v_mov_b32_e32 v3, v2
	s_waitcnt vmcnt(0)
	v_dual_mov_b32 v4, v2 :: v_dual_and_b32 v1, 0xffff, v1
	s_delay_alu instid0(VALU_DEP_1) | instskip(NEXT) | instid1(VALU_DEP_3)
	v_mov_b32_e32 v6, v4
	v_dual_mov_b32 v5, v3 :: v_dual_mov_b32 v4, v2
	s_delay_alu instid0(VALU_DEP_3) | instskip(SKIP_1) | instid1(SALU_CYCLE_1)
	v_mov_b32_e32 v3, v1
	s_or_b32 exec_lo, exec_lo, s5
	s_mov_b32 s5, exec_lo
	v_cmpx_gt_u32_e64 s1, v10
	s_cbranch_execz .LBB11_11
.LBB11_38:                              ;   in Loop: Header=BB11_6 Depth=1
	global_load_u8 v1, v[7:8], off offset:512
	s_waitcnt vmcnt(0)
	v_perm_b32 v3, v3, v1, 0x7060004
	s_or_b32 exec_lo, exec_lo, s5
	s_delay_alu instid0(SALU_CYCLE_1)
	s_mov_b32 s5, exec_lo
	v_cmpx_gt_u32_e64 s1, v11
	s_cbranch_execz .LBB11_12
.LBB11_39:                              ;   in Loop: Header=BB11_6 Depth=1
	global_load_u8 v1, v[7:8], off offset:1024
	s_waitcnt vmcnt(0)
	v_perm_b32 v3, v3, v1, 0x7000504
	s_or_b32 exec_lo, exec_lo, s5
	s_delay_alu instid0(SALU_CYCLE_1)
	s_mov_b32 s5, exec_lo
	v_cmpx_gt_u32_e64 s1, v12
	s_cbranch_execz .LBB11_13
.LBB11_40:                              ;   in Loop: Header=BB11_6 Depth=1
	global_load_u8 v1, v[7:8], off offset:1536
	s_waitcnt vmcnt(0)
	v_perm_b32 v3, v3, v1, 0x60504
	s_or_b32 exec_lo, exec_lo, s5
	s_delay_alu instid0(SALU_CYCLE_1)
	s_mov_b32 s5, exec_lo
	v_cmpx_gt_u32_e64 s1, v13
	s_cbranch_execz .LBB11_14
.LBB11_41:                              ;   in Loop: Header=BB11_6 Depth=1
	global_load_u8 v1, v[7:8], off offset:2048
	s_waitcnt vmcnt(0)
	v_perm_b32 v4, v1, v4, 0x3020104
	s_or_b32 exec_lo, exec_lo, s5
	s_delay_alu instid0(SALU_CYCLE_1)
	s_mov_b32 s5, exec_lo
	v_cmpx_gt_u32_e64 s1, v14
	s_cbranch_execz .LBB11_15
.LBB11_42:                              ;   in Loop: Header=BB11_6 Depth=1
	global_load_u8 v1, v[7:8], off offset:2560
	s_waitcnt vmcnt(0)
	v_perm_b32 v4, v4, v1, 0x7060004
	s_or_b32 exec_lo, exec_lo, s5
	s_delay_alu instid0(SALU_CYCLE_1)
	s_mov_b32 s5, exec_lo
	v_cmpx_gt_u32_e64 s1, v15
	s_cbranch_execz .LBB11_16
.LBB11_43:                              ;   in Loop: Header=BB11_6 Depth=1
	global_load_u8 v1, v[7:8], off offset:3072
	s_waitcnt vmcnt(0)
	v_perm_b32 v4, v4, v1, 0x7000504
	s_or_b32 exec_lo, exec_lo, s5
	s_delay_alu instid0(SALU_CYCLE_1)
	s_mov_b32 s5, exec_lo
	v_cmpx_gt_u32_e64 s1, v16
	s_cbranch_execz .LBB11_17
.LBB11_44:                              ;   in Loop: Header=BB11_6 Depth=1
	global_load_u8 v1, v[7:8], off offset:3584
	s_waitcnt vmcnt(0)
	v_perm_b32 v4, v4, v1, 0x60504
	s_or_b32 exec_lo, exec_lo, s5
	s_delay_alu instid0(SALU_CYCLE_1)
	s_mov_b32 s5, exec_lo
	v_cmpx_gt_u32_e64 s1, v17
	s_cbranch_execz .LBB11_18
.LBB11_45:                              ;   in Loop: Header=BB11_6 Depth=1
	v_add_co_u32 v27, vcc_lo, 0x1000, v7
	v_add_co_ci_u32_e32 v28, vcc_lo, 0, v8, vcc_lo
	global_load_u8 v1, v[27:28], off
	s_waitcnt vmcnt(0)
	v_perm_b32 v5, v1, v5, 0x3020104
	s_or_b32 exec_lo, exec_lo, s5
	s_delay_alu instid0(SALU_CYCLE_1)
	s_mov_b32 s5, exec_lo
	v_cmpx_gt_u32_e64 s1, v18
	s_cbranch_execz .LBB11_19
.LBB11_46:                              ;   in Loop: Header=BB11_6 Depth=1
	v_add_co_u32 v27, vcc_lo, 0x1000, v7
	v_add_co_ci_u32_e32 v28, vcc_lo, 0, v8, vcc_lo
	global_load_u8 v1, v[27:28], off offset:512
	s_waitcnt vmcnt(0)
	v_perm_b32 v5, v5, v1, 0x7060004
	s_or_b32 exec_lo, exec_lo, s5
	s_delay_alu instid0(SALU_CYCLE_1)
	s_mov_b32 s5, exec_lo
	v_cmpx_gt_u32_e64 s1, v19
	s_cbranch_execz .LBB11_20
.LBB11_47:                              ;   in Loop: Header=BB11_6 Depth=1
	v_add_co_u32 v27, vcc_lo, 0x1000, v7
	v_add_co_ci_u32_e32 v28, vcc_lo, 0, v8, vcc_lo
	global_load_u8 v1, v[27:28], off offset:1024
	s_waitcnt vmcnt(0)
	v_perm_b32 v5, v5, v1, 0x7000504
	s_or_b32 exec_lo, exec_lo, s5
	s_delay_alu instid0(SALU_CYCLE_1)
	s_mov_b32 s5, exec_lo
	v_cmpx_gt_u32_e64 s1, v20
	s_cbranch_execz .LBB11_21
.LBB11_48:                              ;   in Loop: Header=BB11_6 Depth=1
	v_add_co_u32 v27, vcc_lo, 0x1000, v7
	v_add_co_ci_u32_e32 v28, vcc_lo, 0, v8, vcc_lo
	global_load_u8 v1, v[27:28], off offset:1536
	s_waitcnt vmcnt(0)
	v_perm_b32 v5, v5, v1, 0x60504
	s_or_b32 exec_lo, exec_lo, s5
	s_delay_alu instid0(SALU_CYCLE_1)
	s_mov_b32 s5, exec_lo
	v_cmpx_gt_u32_e64 s1, v21
	s_cbranch_execz .LBB11_22
.LBB11_49:                              ;   in Loop: Header=BB11_6 Depth=1
	v_add_co_u32 v27, vcc_lo, 0x1000, v7
	v_add_co_ci_u32_e32 v28, vcc_lo, 0, v8, vcc_lo
	global_load_u8 v1, v[27:28], off offset:2048
	s_waitcnt vmcnt(0)
	v_perm_b32 v6, v1, v6, 0x3020104
	s_or_b32 exec_lo, exec_lo, s5
	s_delay_alu instid0(SALU_CYCLE_1)
	s_mov_b32 s5, exec_lo
	v_cmpx_gt_u32_e64 s1, v22
	s_cbranch_execz .LBB11_23
.LBB11_50:                              ;   in Loop: Header=BB11_6 Depth=1
	v_add_co_u32 v27, vcc_lo, 0x1000, v7
	v_add_co_ci_u32_e32 v28, vcc_lo, 0, v8, vcc_lo
	global_load_u8 v1, v[27:28], off offset:2560
	s_waitcnt vmcnt(0)
	v_perm_b32 v6, v6, v1, 0x7060004
	s_or_b32 exec_lo, exec_lo, s5
	s_delay_alu instid0(SALU_CYCLE_1)
	s_mov_b32 s5, exec_lo
	v_cmpx_gt_u32_e64 s1, v23
	s_cbranch_execz .LBB11_24
.LBB11_51:                              ;   in Loop: Header=BB11_6 Depth=1
	v_add_co_u32 v27, vcc_lo, 0x1000, v7
	v_add_co_ci_u32_e32 v28, vcc_lo, 0, v8, vcc_lo
	global_load_u8 v1, v[27:28], off offset:3072
	s_waitcnt vmcnt(0)
	v_perm_b32 v6, v6, v1, 0x7000504
	s_or_b32 exec_lo, exec_lo, s5
	s_delay_alu instid0(SALU_CYCLE_1)
	s_mov_b32 s5, exec_lo
	v_cmpx_gt_u32_e64 s1, v24
	s_cbranch_execnz .LBB11_25
	s_branch .LBB11_26
.LBB11_52:
	v_cmp_eq_u32_e32 vcc_lo, 0, v0
	s_waitcnt lgkmcnt(0)
	s_xor_b32 s0, s13, -1
	s_delay_alu instid0(SALU_CYCLE_1) | instskip(NEXT) | instid1(SALU_CYCLE_1)
	s_and_b32 s0, vcc_lo, s0
	s_and_saveexec_b32 s1, s0
	s_cbranch_execz .LBB11_54
; %bb.53:
	v_mov_b32_e32 v0, 0
	s_add_u32 s0, s2, s15
	s_addc_u32 s1, s3, 0
	global_store_b8 v0, v9, s[0:1]
.LBB11_54:
	s_nop 0
	s_sendmsg sendmsg(MSG_DEALLOC_VGPRS)
	s_endpgm
	.section	.rodata,"a",@progbits
	.p2align	6, 0x0
	.amdhsa_kernel _ZN2at4cuda3cub15calc_block_sumsILi512ELi16ELb0EaaEEvPKT2_PT3_li
		.amdhsa_group_segment_fixed_size 16
		.amdhsa_private_segment_fixed_size 0
		.amdhsa_kernarg_size 28
		.amdhsa_user_sgpr_count 15
		.amdhsa_user_sgpr_dispatch_ptr 0
		.amdhsa_user_sgpr_queue_ptr 0
		.amdhsa_user_sgpr_kernarg_segment_ptr 1
		.amdhsa_user_sgpr_dispatch_id 0
		.amdhsa_user_sgpr_private_segment_size 0
		.amdhsa_wavefront_size32 1
		.amdhsa_uses_dynamic_stack 0
		.amdhsa_enable_private_segment 0
		.amdhsa_system_sgpr_workgroup_id_x 1
		.amdhsa_system_sgpr_workgroup_id_y 0
		.amdhsa_system_sgpr_workgroup_id_z 0
		.amdhsa_system_sgpr_workgroup_info 0
		.amdhsa_system_vgpr_workitem_id 0
		.amdhsa_next_free_vgpr 37
		.amdhsa_next_free_sgpr 16
		.amdhsa_reserve_vcc 1
		.amdhsa_float_round_mode_32 0
		.amdhsa_float_round_mode_16_64 0
		.amdhsa_float_denorm_mode_32 3
		.amdhsa_float_denorm_mode_16_64 3
		.amdhsa_dx10_clamp 1
		.amdhsa_ieee_mode 1
		.amdhsa_fp16_overflow 0
		.amdhsa_workgroup_processor_mode 1
		.amdhsa_memory_ordered 1
		.amdhsa_forward_progress 0
		.amdhsa_shared_vgpr_count 0
		.amdhsa_exception_fp_ieee_invalid_op 0
		.amdhsa_exception_fp_denorm_src 0
		.amdhsa_exception_fp_ieee_div_zero 0
		.amdhsa_exception_fp_ieee_overflow 0
		.amdhsa_exception_fp_ieee_underflow 0
		.amdhsa_exception_fp_ieee_inexact 0
		.amdhsa_exception_int_div_zero 0
	.end_amdhsa_kernel
	.section	.text._ZN2at4cuda3cub15calc_block_sumsILi512ELi16ELb0EaaEEvPKT2_PT3_li,"axG",@progbits,_ZN2at4cuda3cub15calc_block_sumsILi512ELi16ELb0EaaEEvPKT2_PT3_li,comdat
.Lfunc_end11:
	.size	_ZN2at4cuda3cub15calc_block_sumsILi512ELi16ELb0EaaEEvPKT2_PT3_li, .Lfunc_end11-_ZN2at4cuda3cub15calc_block_sumsILi512ELi16ELb0EaaEEvPKT2_PT3_li
                                        ; -- End function
	.section	.AMDGPU.csdata,"",@progbits
; Kernel info:
; codeLenInByte = 3360
; NumSgprs: 18
; NumVgprs: 37
; ScratchSize: 0
; MemoryBound: 0
; FloatMode: 240
; IeeeMode: 1
; LDSByteSize: 16 bytes/workgroup (compile time only)
; SGPRBlocks: 2
; VGPRBlocks: 4
; NumSGPRsForWavesPerEU: 18
; NumVGPRsForWavesPerEU: 37
; Occupancy: 16
; WaveLimiterHint : 1
; COMPUTE_PGM_RSRC2:SCRATCH_EN: 0
; COMPUTE_PGM_RSRC2:USER_SGPR: 15
; COMPUTE_PGM_RSRC2:TRAP_HANDLER: 0
; COMPUTE_PGM_RSRC2:TGID_X_EN: 1
; COMPUTE_PGM_RSRC2:TGID_Y_EN: 0
; COMPUTE_PGM_RSRC2:TGID_Z_EN: 0
; COMPUTE_PGM_RSRC2:TIDIG_COMP_CNT: 0
	.section	.text._ZN2at4cuda3cub17final_scan_kernelILi512ELi16EaEEvPKT1_PS3_S6_li,"axG",@progbits,_ZN2at4cuda3cub17final_scan_kernelILi512ELi16EaEEvPKT1_PS3_S6_li,comdat
	.protected	_ZN2at4cuda3cub17final_scan_kernelILi512ELi16EaEEvPKT1_PS3_S6_li ; -- Begin function _ZN2at4cuda3cub17final_scan_kernelILi512ELi16EaEEvPKT1_PS3_S6_li
	.globl	_ZN2at4cuda3cub17final_scan_kernelILi512ELi16EaEEvPKT1_PS3_S6_li
	.p2align	8
	.type	_ZN2at4cuda3cub17final_scan_kernelILi512ELi16EaEEvPKT1_PS3_S6_li,@function
_ZN2at4cuda3cub17final_scan_kernelILi512ELi16EaEEvPKT1_PS3_S6_li: ; @_ZN2at4cuda3cub17final_scan_kernelILi512ELi16EaEEvPKT1_PS3_S6_li
; %bb.0:
	s_clause 0x1
	s_load_b32 s26, s[0:1], 0x20
	s_load_b256 s[16:23], s[0:1], 0x0
	s_waitcnt lgkmcnt(0)
	s_lshl_b32 s2, s26, 13
	s_delay_alu instid0(SALU_CYCLE_1)
	s_ashr_i32 s3, s2, 31
	s_mul_hi_u32 s4, s2, s15
	s_mul_i32 s3, s3, s15
	s_mul_i32 s10, s2, s15
	s_add_i32 s11, s4, s3
	s_sub_u32 s24, s22, s10
	s_subb_u32 s25, s23, s11
	s_delay_alu instid0(SALU_CYCLE_1) | instskip(NEXT) | instid1(VALU_DEP_1)
	v_cmp_lt_i64_e64 s2, s[24:25], 1
	s_and_b32 vcc_lo, exec_lo, s2
	s_cbranch_vccnz .LBB12_98
; %bb.1:
	v_mov_b32_e32 v1, 0
	s_mov_b32 s2, exec_lo
	v_cmpx_gt_u32_e64 s15, v0
	s_cbranch_execz .LBB12_3
; %bb.2:
	global_load_u8 v1, v0, s[20:21]
.LBB12_3:
	s_or_b32 exec_lo, exec_lo, s2
	s_load_b32 s0, s[0:1], 0x34
	s_waitcnt lgkmcnt(0)
	s_and_b32 s1, s0, 0xffff
	s_mov_b32 s0, exec_lo
	v_add_nc_u32_e32 v2, s1, v0
	s_delay_alu instid0(VALU_DEP_1)
	v_cmpx_gt_u32_e64 s15, v2
	s_cbranch_execz .LBB12_7
; %bb.4:
	s_mov_b32 s2, 0
.LBB12_5:                               ; =>This Inner Loop Header: Depth=1
	global_load_u8 v3, v2, s[20:21]
	v_add_nc_u32_e32 v2, s1, v2
	s_delay_alu instid0(VALU_DEP_1)
	v_cmp_le_u32_e32 vcc_lo, s15, v2
	s_or_b32 s2, vcc_lo, s2
	s_waitcnt vmcnt(0)
	v_add_nc_u16 v1, v3, v1
	s_and_not1_b32 exec_lo, exec_lo, s2
	s_cbranch_execnz .LBB12_5
; %bb.6:
	s_or_b32 exec_lo, exec_lo, s2
.LBB12_7:
	s_delay_alu instid0(SALU_CYCLE_1) | instskip(SKIP_4) | instid1(VALU_DEP_3)
	s_or_b32 exec_lo, exec_lo, s0
	s_waitcnt vmcnt(0)
	v_and_b32_e32 v2, 0xff, v1
	v_mbcnt_lo_u32_b32 v13, -1, 0
	v_lshrrev_b32_e32 v14, 5, v0
	v_mov_b32_dpp v2, v2 quad_perm:[1,0,3,2] row_mask:0xf bank_mask:0xf
	s_delay_alu instid0(VALU_DEP_3) | instskip(NEXT) | instid1(VALU_DEP_2)
	v_cmp_eq_u32_e64 s0, 0, v13
	v_add_nc_u16 v1, v1, v2
	s_delay_alu instid0(VALU_DEP_1) | instskip(NEXT) | instid1(VALU_DEP_1)
	v_and_b32_e32 v2, 0xff, v1
	v_mov_b32_dpp v2, v2 quad_perm:[2,3,0,1] row_mask:0xf bank_mask:0xf
	s_delay_alu instid0(VALU_DEP_1) | instskip(NEXT) | instid1(VALU_DEP_1)
	v_add_nc_u16 v1, v1, v2
	v_and_b32_e32 v2, 0xff, v1
	s_delay_alu instid0(VALU_DEP_1) | instskip(NEXT) | instid1(VALU_DEP_1)
	v_mov_b32_dpp v2, v2 row_ror:4 row_mask:0xf bank_mask:0xf
	v_add_nc_u16 v1, v1, v2
	s_delay_alu instid0(VALU_DEP_1) | instskip(NEXT) | instid1(VALU_DEP_1)
	v_and_b32_e32 v2, 0xff, v1
	v_mov_b32_dpp v2, v2 row_ror:8 row_mask:0xf bank_mask:0xf
	s_delay_alu instid0(VALU_DEP_1) | instskip(NEXT) | instid1(VALU_DEP_1)
	v_add_nc_u16 v1, v1, v2
	v_and_b32_e32 v2, 0xff, v1
	ds_swizzle_b32 v2, v2 offset:swizzle(BROADCAST,32,15)
	s_waitcnt lgkmcnt(0)
	v_add_nc_u16 v1, v1, v2
	s_delay_alu instid0(VALU_DEP_1)
	v_dual_mov_b32 v2, 0 :: v_dual_and_b32 v1, 0xff, v1
	ds_bpermute_b32 v15, v2, v1 offset:124
	s_and_saveexec_b32 s1, s0
	s_cbranch_execz .LBB12_9
; %bb.8:
	s_waitcnt lgkmcnt(0)
	ds_store_b8 v14, v15
.LBB12_9:
	s_or_b32 exec_lo, exec_lo, s1
	v_cmp_lt_u32_e64 s1, 31, v0
	v_cmp_gt_u32_e64 s2, 32, v0
	v_and_b32_e32 v1, 15, v13
	s_waitcnt lgkmcnt(0)
	s_barrier
	buffer_gl0_inv
	s_and_saveexec_b32 s3, s2
	s_cbranch_execz .LBB12_11
; %bb.10:
	ds_load_u8 v2, v1
	v_cmp_ne_u32_e32 vcc_lo, 15, v1
	v_add_co_ci_u32_e32 v3, vcc_lo, 0, v13, vcc_lo
	v_cmp_gt_u32_e32 vcc_lo, 14, v1
	s_delay_alu instid0(VALU_DEP_2)
	v_lshlrev_b32_e32 v3, 2, v3
	s_waitcnt lgkmcnt(0)
	v_and_b32_e32 v4, 0xff, v2
	ds_bpermute_b32 v3, v3, v4
	v_cndmask_b32_e64 v4, 0, 1, vcc_lo
	v_cmp_gt_u32_e32 vcc_lo, 12, v1
	s_delay_alu instid0(VALU_DEP_2) | instskip(SKIP_2) | instid1(VALU_DEP_2)
	v_lshlrev_b32_e32 v4, 1, v4
	s_waitcnt lgkmcnt(0)
	v_add_nc_u16 v2, v2, v3
	v_add_lshl_u32 v3, v4, v13, 2
	s_delay_alu instid0(VALU_DEP_2) | instskip(SKIP_3) | instid1(VALU_DEP_2)
	v_and_b32_e32 v4, 0xff, v2
	ds_bpermute_b32 v3, v3, v4
	v_cndmask_b32_e64 v4, 0, 1, vcc_lo
	v_cmp_gt_u32_e32 vcc_lo, 8, v1
	v_lshlrev_b32_e32 v4, 2, v4
	s_waitcnt lgkmcnt(0)
	v_add_nc_u16 v2, v2, v3
	s_delay_alu instid0(VALU_DEP_2) | instskip(NEXT) | instid1(VALU_DEP_2)
	v_add_lshl_u32 v3, v4, v13, 2
	v_and_b32_e32 v4, 0xff, v2
	ds_bpermute_b32 v3, v3, v4
	v_cndmask_b32_e64 v4, 0, 1, vcc_lo
	s_waitcnt lgkmcnt(0)
	v_add_nc_u16 v2, v2, v3
	s_delay_alu instid0(VALU_DEP_2) | instskip(NEXT) | instid1(VALU_DEP_2)
	v_lshlrev_b32_e32 v3, 3, v4
	v_and_b32_e32 v4, 0xff, v2
	s_delay_alu instid0(VALU_DEP_2)
	v_add_lshl_u32 v3, v3, v13, 2
	ds_bpermute_b32 v3, v3, v4
	s_waitcnt lgkmcnt(0)
	v_add_nc_u16 v15, v2, v3
.LBB12_11:
	s_or_b32 exec_lo, exec_lo, s3
	s_cmp_lt_i32 s26, 1
	s_barrier
	buffer_gl0_inv
	s_cbranch_scc1 .LBB12_98
; %bb.12:
	v_cmp_eq_u32_e64 s3, 0, v1
	v_cmp_lt_u32_e64 s4, 1, v1
	v_cmp_lt_u32_e64 s5, 3, v1
	;; [unrolled: 1-line block ×3, first 2 shown]
	v_add_nc_u32_e32 v1, -1, v13
	s_mul_i32 s15, s15, s26
	v_cmp_gt_u32_e64 s9, 16, v0
	v_add_nc_u32_e32 v49, -1, v14
	s_mov_b32 s12, 0
	v_cmp_gt_i32_e32 vcc_lo, 0, v1
	v_dual_cndmask_b32 v1, v1, v13 :: v_dual_lshlrev_b32 v2, 4, v0
	s_delay_alu instid0(VALU_DEP_1) | instskip(NEXT) | instid1(VALU_DEP_2)
	v_dual_mov_b32 v2, 0 :: v_dual_and_b32 v3, 0x3e00, v2
	v_lshlrev_b32_e32 v50, 2, v1
	s_delay_alu instid0(VALU_DEP_2) | instskip(SKIP_2) | instid1(VALU_DEP_3)
	v_or_b32_e32 v16, v13, v3
	v_lshrrev_b32_e32 v4, 5, v3
	v_add_co_u32 v3, s10, s10, v3
	v_or_b32_e32 v21, 0xa0, v16
	v_or_b32_e32 v23, 0xe0, v16
	;; [unrolled: 1-line block ×5, first 2 shown]
	v_lshrrev_b32_e32 v5, 5, v21
	v_lshrrev_b32_e32 v8, 5, v23
	v_or_b32_e32 v24, 0x100, v16
	v_or_b32_e32 v25, 0x120, v16
	v_add_nc_u32_e32 v32, v4, v16
	v_add_nc_u32_e32 v33, v4, v17
	;; [unrolled: 1-line block ×3, first 2 shown]
	v_and_b32_e32 v5, 0x1f4, v5
	v_add_nc_u32_e32 v35, v4, v19
	v_and_b32_e32 v4, 0x1f4, v8
	v_and_b32_e32 v8, 0x3e0, v0
	v_or_b32_e32 v20, 0x80, v16
	v_add_nc_u32_e32 v37, v5, v21
	v_lshrrev_b32_e32 v5, 5, v25
	v_add_nc_u32_e32 v39, v4, v23
	v_lshrrev_b32_e32 v4, 5, v24
	v_or_b32_e32 v22, 0xc0, v16
	v_or_b32_e32 v28, 0x180, v16
	v_or_b32_e32 v29, 0x1a0, v16
	v_and_b32_e32 v5, 0x1f8, v5
	v_add_nc_u32_e32 v40, v4, v24
	v_or_b32_e32 v4, v13, v8
	v_or_b32_e32 v27, 0x160, v16
	v_lshrrev_b32_e32 v6, 5, v22
	v_lshrrev_b32_e32 v7, 5, v20
	v_add_nc_u32_e32 v41, v5, v25
	v_lshrrev_b32_e32 v5, 5, v29
	v_lshrrev_b32_e32 v9, 5, v28
	v_lshrrev_b16 v10, 1, v4
	v_or_b32_e32 v26, 0x140, v16
	v_and_b32_e32 v6, 0x1f4, v6
	v_add_nc_u32_e32 v36, v7, v20
	v_lshrrev_b32_e32 v7, 5, v27
	v_and_b32_e32 v5, 0x1fc, v5
	v_add_nc_u32_e32 v44, v9, v28
	v_and_b32_e32 v9, 0x1fc, v10
	v_or_b32_e32 v31, 0x1e0, v16
	v_add_nc_u32_e32 v38, v6, v22
	v_lshrrev_b32_e32 v6, 5, v26
	v_and_b32_e32 v7, 0x1f8, v7
	v_add_nc_u32_e32 v45, v5, v29
	v_min_u32_e32 v5, 0x1e0, v8
	v_lshl_add_u32 v48, v4, 4, v9
	v_and_b32_e32 v4, 16, v13
	v_or_b32_e32 v30, 0x1c0, v16
	v_and_b32_e32 v6, 0x1f8, v6
	v_add_nc_u32_e32 v43, v7, v27
	v_lshrrev_b32_e32 v7, 5, v31
	v_or_b32_e32 v5, 31, v5
	v_cmp_eq_u32_e64 s7, 0, v4
	v_add_co_ci_u32_e64 v4, null, s11, 0, s10
	v_add_nc_u32_e32 v42, v6, v26
	v_lshrrev_b32_e32 v6, 5, v30
	v_and_b32_e32 v7, 0x1fc, v7
	v_add_co_u32 v1, vcc_lo, v3, s18
	v_cmp_eq_u32_e64 s8, v5, v0
	v_add_co_ci_u32_e32 v5, vcc_lo, s19, v4, vcc_lo
	v_and_b32_e32 v6, 0x1fc, v6
	v_add_nc_u32_e32 v47, v7, v31
	v_add_co_u32 v7, vcc_lo, 0x1e0, v1
	s_delay_alu instid0(VALU_DEP_4)
	v_add_co_ci_u32_e32 v8, vcc_lo, 0, v5, vcc_lo
	v_add_co_u32 v9, vcc_lo, s16, v3
	v_add_nc_u32_e32 v46, v6, v30
	v_cmp_eq_u32_e64 s10, 0, v0
	v_add_co_ci_u32_e32 v10, vcc_lo, s17, v4, vcc_lo
	s_lshl_b32 s11, s15, 13
	s_delay_alu instid0(SALU_CYCLE_1)
	s_sub_i32 s16, s22, s11
	s_branch .LBB12_14
.LBB12_13:                              ;   in Loop: Header=BB12_14 Depth=1
	v_add_co_u32 v7, vcc_lo, 0x2000, v7
	v_add_co_ci_u32_e32 v8, vcc_lo, 0, v8, vcc_lo
	s_add_u32 s24, s24, 0xffffe000
	v_add_co_u32 v9, vcc_lo, 0x2000, v9
	s_addc_u32 s25, s25, -1
	s_add_i32 s26, s26, -1
	v_add_co_ci_u32_e32 v10, vcc_lo, 0, v10, vcc_lo
	s_addk_i32 s16, 0xe000
	s_cmp_eq_u32 s26, 0
	s_waitcnt lgkmcnt(0)
	s_waitcnt_vscnt null, 0x0
	s_cselect_b32 s11, -1, 0
	s_barrier
	buffer_gl0_inv
	s_and_not1_b32 vcc_lo, exec_lo, s11
	s_cbranch_vccz .LBB12_98
.LBB12_14:                              ; =>This Inner Loop Header: Depth=1
	v_cmp_lt_i64_e64 s11, 0x1fff, s[24:25]
	v_cmp_gt_i64_e64 s17, 0x2000, s[24:25]
	s_mov_b32 s13, -1
	s_delay_alu instid0(VALU_DEP_2)
	s_and_b32 vcc_lo, exec_lo, s11
	v_cmp_gt_u32_e64 s11, s16, v16
	s_cbranch_vccnz .LBB12_33
; %bb.15:                               ;   in Loop: Header=BB12_14 Depth=1
	s_mov_b32 s13, s12
	s_mov_b32 s14, s12
	;; [unrolled: 1-line block ×3, first 2 shown]
	v_add_co_u32 v11, vcc_lo, v9, v13
	v_dual_mov_b32 v3, s12 :: v_dual_mov_b32 v4, s13
	v_add_co_ci_u32_e32 v12, vcc_lo, 0, v10, vcc_lo
	v_dual_mov_b32 v5, s14 :: v_dual_mov_b32 v6, s15
	s_and_saveexec_b32 s13, s11
	s_cbranch_execnz .LBB12_83
; %bb.16:                               ;   in Loop: Header=BB12_14 Depth=1
	s_or_b32 exec_lo, exec_lo, s13
	s_delay_alu instid0(SALU_CYCLE_1)
	s_mov_b32 s11, exec_lo
	v_cmpx_gt_u32_e64 s16, v17
	s_cbranch_execnz .LBB12_84
.LBB12_17:                              ;   in Loop: Header=BB12_14 Depth=1
	s_or_b32 exec_lo, exec_lo, s11
	s_delay_alu instid0(SALU_CYCLE_1)
	s_mov_b32 s11, exec_lo
	v_cmpx_gt_u32_e64 s16, v18
	s_cbranch_execnz .LBB12_85
.LBB12_18:                              ;   in Loop: Header=BB12_14 Depth=1
	s_or_b32 exec_lo, exec_lo, s11
	s_delay_alu instid0(SALU_CYCLE_1)
	s_mov_b32 s11, exec_lo
	v_cmpx_gt_u32_e64 s16, v19
	s_cbranch_execnz .LBB12_86
.LBB12_19:                              ;   in Loop: Header=BB12_14 Depth=1
	s_or_b32 exec_lo, exec_lo, s11
	s_delay_alu instid0(SALU_CYCLE_1)
	s_mov_b32 s11, exec_lo
	v_cmpx_gt_u32_e64 s16, v20
	s_cbranch_execnz .LBB12_87
.LBB12_20:                              ;   in Loop: Header=BB12_14 Depth=1
	s_or_b32 exec_lo, exec_lo, s11
	s_delay_alu instid0(SALU_CYCLE_1)
	s_mov_b32 s11, exec_lo
	v_cmpx_gt_u32_e64 s16, v21
	s_cbranch_execnz .LBB12_88
.LBB12_21:                              ;   in Loop: Header=BB12_14 Depth=1
	s_or_b32 exec_lo, exec_lo, s11
	s_delay_alu instid0(SALU_CYCLE_1)
	s_mov_b32 s11, exec_lo
	v_cmpx_gt_u32_e64 s16, v22
	s_cbranch_execnz .LBB12_89
.LBB12_22:                              ;   in Loop: Header=BB12_14 Depth=1
	s_or_b32 exec_lo, exec_lo, s11
	s_delay_alu instid0(SALU_CYCLE_1)
	s_mov_b32 s11, exec_lo
	v_cmpx_gt_u32_e64 s16, v23
	s_cbranch_execnz .LBB12_90
.LBB12_23:                              ;   in Loop: Header=BB12_14 Depth=1
	s_or_b32 exec_lo, exec_lo, s11
	s_delay_alu instid0(SALU_CYCLE_1)
	s_mov_b32 s11, exec_lo
	v_cmpx_gt_u32_e64 s16, v24
	s_cbranch_execnz .LBB12_91
.LBB12_24:                              ;   in Loop: Header=BB12_14 Depth=1
	s_or_b32 exec_lo, exec_lo, s11
	s_delay_alu instid0(SALU_CYCLE_1)
	s_mov_b32 s11, exec_lo
	v_cmpx_gt_u32_e64 s16, v25
	s_cbranch_execnz .LBB12_92
.LBB12_25:                              ;   in Loop: Header=BB12_14 Depth=1
	s_or_b32 exec_lo, exec_lo, s11
	s_delay_alu instid0(SALU_CYCLE_1)
	s_mov_b32 s11, exec_lo
	v_cmpx_gt_u32_e64 s16, v26
	s_cbranch_execnz .LBB12_93
.LBB12_26:                              ;   in Loop: Header=BB12_14 Depth=1
	s_or_b32 exec_lo, exec_lo, s11
	s_delay_alu instid0(SALU_CYCLE_1)
	s_mov_b32 s11, exec_lo
	v_cmpx_gt_u32_e64 s16, v27
	s_cbranch_execnz .LBB12_94
.LBB12_27:                              ;   in Loop: Header=BB12_14 Depth=1
	s_or_b32 exec_lo, exec_lo, s11
	s_delay_alu instid0(SALU_CYCLE_1)
	s_mov_b32 s11, exec_lo
	v_cmpx_gt_u32_e64 s16, v28
	s_cbranch_execnz .LBB12_95
.LBB12_28:                              ;   in Loop: Header=BB12_14 Depth=1
	s_or_b32 exec_lo, exec_lo, s11
	s_delay_alu instid0(SALU_CYCLE_1)
	s_mov_b32 s11, exec_lo
	v_cmpx_gt_u32_e64 s16, v29
	s_cbranch_execnz .LBB12_96
.LBB12_29:                              ;   in Loop: Header=BB12_14 Depth=1
	s_or_b32 exec_lo, exec_lo, s11
	s_delay_alu instid0(SALU_CYCLE_1)
	s_mov_b32 s11, exec_lo
	v_cmpx_gt_u32_e64 s16, v30
	s_cbranch_execnz .LBB12_97
.LBB12_30:                              ;   in Loop: Header=BB12_14 Depth=1
	s_or_b32 exec_lo, exec_lo, s11
	s_delay_alu instid0(SALU_CYCLE_1)
	s_mov_b32 s11, exec_lo
	v_cmpx_gt_u32_e64 s16, v31
	s_cbranch_execz .LBB12_32
.LBB12_31:                              ;   in Loop: Header=BB12_14 Depth=1
	global_load_u8 v1, v[11:12], off offset:480
	s_waitcnt vmcnt(0)
	v_perm_b32 v6, v6, v1, 0x60504
.LBB12_32:                              ;   in Loop: Header=BB12_14 Depth=1
	s_or_b32 exec_lo, exec_lo, s11
	v_lshrrev_b32_e32 v1, 8, v3
	v_lshrrev_b32_e32 v11, 24, v3
	ds_store_b8 v32, v3
	v_lshrrev_b32_e32 v12, 8, v4
	s_mov_b32 s13, 0
	ds_store_b8 v33, v1
	ds_store_b8_d16_hi v34, v3
	ds_store_b8 v35, v11
	v_lshrrev_b32_e32 v1, 24, v4
	v_lshrrev_b32_e32 v3, 8, v5
	ds_store_b8 v36, v4
	ds_store_b8 v37, v12
	ds_store_b8_d16_hi v38, v4
	ds_store_b8 v39, v1
	ds_store_b8 v40, v5
	v_lshrrev_b32_e32 v1, 24, v5
	ds_store_b8 v41, v3
	v_lshrrev_b32_e32 v3, 8, v6
	v_lshrrev_b32_e32 v4, 24, v6
	ds_store_b8_d16_hi v42, v5
	ds_store_b8 v43, v1
	ds_store_b8 v44, v6
	;; [unrolled: 1-line block ×3, first 2 shown]
	ds_store_b8_d16_hi v46, v6
	ds_store_b8 v47, v4
	; wave barrier
.LBB12_33:                              ;   in Loop: Header=BB12_14 Depth=1
	s_and_b32 vcc_lo, exec_lo, s13
	s_cbranch_vccz .LBB12_35
; %bb.34:                               ;   in Loop: Header=BB12_14 Depth=1
	v_add_co_u32 v3, vcc_lo, v9, v13
	v_add_co_ci_u32_e32 v4, vcc_lo, 0, v10, vcc_lo
	s_clause 0xf
	global_load_u8 v1, v[3:4], off
	global_load_u8 v5, v[3:4], off offset:32
	global_load_u8 v6, v[3:4], off offset:64
	global_load_u8 v11, v[3:4], off offset:96
	global_load_u8 v12, v[3:4], off offset:128
	global_load_u8 v51, v[3:4], off offset:160
	global_load_u8 v52, v[3:4], off offset:192
	global_load_u8 v53, v[3:4], off offset:224
	global_load_u8 v54, v[3:4], off offset:256
	global_load_u8 v55, v[3:4], off offset:288
	global_load_u8 v56, v[3:4], off offset:320
	global_load_u8 v57, v[3:4], off offset:352
	global_load_u8 v58, v[3:4], off offset:384
	global_load_u8 v59, v[3:4], off offset:416
	global_load_u8 v60, v[3:4], off offset:448
	global_load_u8 v3, v[3:4], off offset:480
	s_waitcnt vmcnt(15)
	ds_store_b8 v32, v1
	s_waitcnt vmcnt(14)
	ds_store_b8 v33, v5
	;; [unrolled: 2-line block ×16, first 2 shown]
	; wave barrier
.LBB12_35:                              ;   in Loop: Header=BB12_14 Depth=1
	ds_load_b128 v[3:6], v48
	s_waitcnt lgkmcnt(0)
	s_waitcnt_vscnt null, 0x0
	s_barrier
	buffer_gl0_inv
	v_lshrrev_b32_e32 v1, 8, v3
	v_lshrrev_b32_e32 v12, 16, v3
	;; [unrolled: 1-line block ×5, first 2 shown]
	v_add_nc_u16 v11, v1, v3
	v_lshrrev_b32_e32 v56, 24, v4
	v_lshrrev_b32_e32 v57, 8, v5
	;; [unrolled: 1-line block ×4, first 2 shown]
	v_add_nc_u16 v11, v11, v12
	s_delay_alu instid0(VALU_DEP_1) | instskip(NEXT) | instid1(VALU_DEP_1)
	v_add_nc_u16 v11, v11, v51
	v_add_nc_u16 v11, v11, v4
	s_delay_alu instid0(VALU_DEP_1) | instskip(NEXT) | instid1(VALU_DEP_1)
	v_add_nc_u16 v11, v11, v54
	;; [unrolled: 3-line block ×4, first 2 shown]
	v_add_nc_u16 v11, v11, v58
	s_delay_alu instid0(VALU_DEP_1) | instskip(SKIP_1) | instid1(VALU_DEP_2)
	v_add_nc_u16 v52, v11, v59
	v_lshrrev_b32_e32 v11, 8, v6
	v_add_nc_u16 v53, v52, v6
	v_lshrrev_b32_e32 v52, 16, v6
	s_delay_alu instid0(VALU_DEP_2) | instskip(SKIP_1) | instid1(VALU_DEP_2)
	v_add_nc_u16 v60, v53, v11
	v_lshrrev_b32_e32 v53, 24, v6
	v_add_nc_u16 v60, v60, v52
	s_delay_alu instid0(VALU_DEP_1) | instskip(NEXT) | instid1(VALU_DEP_1)
	v_add_nc_u16 v60, v60, v53
	v_and_b32_e32 v61, 0xff, v60
	s_delay_alu instid0(VALU_DEP_1) | instskip(NEXT) | instid1(VALU_DEP_1)
	v_mov_b32_dpp v61, v61 row_shr:1 row_mask:0xf bank_mask:0xf
	v_cndmask_b32_e64 v61, v61, 0, s3
	s_delay_alu instid0(VALU_DEP_1) | instskip(NEXT) | instid1(VALU_DEP_1)
	v_add_nc_u16 v60, v60, v61
	v_and_b32_e32 v61, 0xff, v60
	s_delay_alu instid0(VALU_DEP_1) | instskip(NEXT) | instid1(VALU_DEP_1)
	v_mov_b32_dpp v61, v61 row_shr:2 row_mask:0xf bank_mask:0xf
	v_cndmask_b32_e64 v61, 0, v61, s4
	s_delay_alu instid0(VALU_DEP_1) | instskip(NEXT) | instid1(VALU_DEP_1)
	v_add_nc_u16 v60, v60, v61
	v_and_b32_e32 v61, 0xff, v60
	s_delay_alu instid0(VALU_DEP_1) | instskip(NEXT) | instid1(VALU_DEP_1)
	v_mov_b32_dpp v61, v61 row_shr:4 row_mask:0xf bank_mask:0xf
	v_cndmask_b32_e64 v61, 0, v61, s5
	s_delay_alu instid0(VALU_DEP_1) | instskip(NEXT) | instid1(VALU_DEP_1)
	v_add_nc_u16 v60, v60, v61
	v_and_b32_e32 v61, 0xff, v60
	s_delay_alu instid0(VALU_DEP_1) | instskip(NEXT) | instid1(VALU_DEP_1)
	v_mov_b32_dpp v61, v61 row_shr:8 row_mask:0xf bank_mask:0xf
	v_cndmask_b32_e64 v61, 0, v61, s6
	s_delay_alu instid0(VALU_DEP_1) | instskip(NEXT) | instid1(VALU_DEP_1)
	v_add_nc_u16 v60, v60, v61
	v_and_b32_e32 v61, 0xff, v60
	ds_swizzle_b32 v61, v61 offset:swizzle(BROADCAST,32,15)
	s_waitcnt lgkmcnt(0)
	v_cndmask_b32_e64 v61, v61, 0, s7
	s_delay_alu instid0(VALU_DEP_1)
	v_add_nc_u16 v60, v60, v61
	s_and_saveexec_b32 s11, s8
	s_cbranch_execz .LBB12_37
; %bb.36:                               ;   in Loop: Header=BB12_14 Depth=1
	ds_store_b8 v14, v60
.LBB12_37:                              ;   in Loop: Header=BB12_14 Depth=1
	s_or_b32 exec_lo, exec_lo, s11
	s_waitcnt lgkmcnt(0)
	s_barrier
	buffer_gl0_inv
	s_and_saveexec_b32 s11, s9
	s_cbranch_execz .LBB12_39
; %bb.38:                               ;   in Loop: Header=BB12_14 Depth=1
	ds_load_u8 v61, v0
	s_waitcnt lgkmcnt(0)
	v_and_b32_e32 v62, 0xff, v61
	s_delay_alu instid0(VALU_DEP_1) | instskip(NEXT) | instid1(VALU_DEP_1)
	v_mov_b32_dpp v62, v62 row_shr:1 row_mask:0xf bank_mask:0xf
	v_cndmask_b32_e64 v62, v62, 0, s3
	s_delay_alu instid0(VALU_DEP_1) | instskip(NEXT) | instid1(VALU_DEP_1)
	v_add_nc_u16 v61, v62, v61
	v_and_b32_e32 v62, 0xff, v61
	s_delay_alu instid0(VALU_DEP_1) | instskip(NEXT) | instid1(VALU_DEP_1)
	v_mov_b32_dpp v62, v62 row_shr:2 row_mask:0xf bank_mask:0xf
	v_cndmask_b32_e64 v62, 0, v62, s4
	s_delay_alu instid0(VALU_DEP_1) | instskip(NEXT) | instid1(VALU_DEP_1)
	v_add_nc_u16 v61, v61, v62
	;; [unrolled: 6-line block ×3, first 2 shown]
	v_and_b32_e32 v62, 0xff, v61
	s_delay_alu instid0(VALU_DEP_1) | instskip(NEXT) | instid1(VALU_DEP_1)
	v_mov_b32_dpp v62, v62 row_shr:8 row_mask:0xf bank_mask:0xf
	v_cndmask_b32_e64 v62, 0, v62, s6
	s_delay_alu instid0(VALU_DEP_1)
	v_add_nc_u16 v61, v61, v62
	ds_store_b8 v0, v61
.LBB12_39:                              ;   in Loop: Header=BB12_14 Depth=1
	s_or_b32 exec_lo, exec_lo, s11
	s_waitcnt lgkmcnt(0)
	s_barrier
	buffer_gl0_inv
                                        ; implicit-def: $vgpr61
	s_and_saveexec_b32 s11, s1
	s_cbranch_execz .LBB12_41
; %bb.40:                               ;   in Loop: Header=BB12_14 Depth=1
	ds_load_u8 v61, v49
	s_waitcnt lgkmcnt(0)
	v_add_nc_u16 v60, v61, v60
.LBB12_41:                              ;   in Loop: Header=BB12_14 Depth=1
	s_or_b32 exec_lo, exec_lo, s11
	s_delay_alu instid0(VALU_DEP_1)
	v_and_b32_e32 v60, 0xff, v60
	ds_bpermute_b32 v60, v50, v60
	s_and_saveexec_b32 s11, s2
	s_cbranch_execz .LBB12_45
; %bb.42:                               ;   in Loop: Header=BB12_14 Depth=1
	ds_load_u8 v62, v2 offset:15
	s_and_saveexec_b32 s13, s10
	s_cbranch_execz .LBB12_44
; %bb.43:                               ;   in Loop: Header=BB12_14 Depth=1
	ds_store_b8 v2, v15 offset:15
.LBB12_44:                              ;   in Loop: Header=BB12_14 Depth=1
	s_or_b32 exec_lo, exec_lo, s13
	s_waitcnt lgkmcnt(0)
	v_add_nc_u16 v15, v62, v15
.LBB12_45:                              ;   in Loop: Header=BB12_14 Depth=1
	s_or_b32 exec_lo, exec_lo, s11
	s_waitcnt lgkmcnt(0)
	s_barrier
	buffer_gl0_inv
	ds_load_u8 v62, v2 offset:15
	v_cndmask_b32_e64 v60, v60, v61, s0
	s_and_b32 vcc_lo, exec_lo, s17
	s_waitcnt lgkmcnt(0)
	s_barrier
	buffer_gl0_inv
	v_cndmask_b32_e64 v60, v60, 0, s10
	s_delay_alu instid0(VALU_DEP_1) | instskip(NEXT) | instid1(VALU_DEP_1)
	v_add_nc_u16 v3, v60, v3
	v_add_nc_u16 v3, v3, v62
	s_delay_alu instid0(VALU_DEP_1) | instskip(SKIP_1) | instid1(VALU_DEP_2)
	v_add_nc_u16 v60, v3, v1
	v_and_b32_e32 v1, 0xff, v3
	v_add_nc_u16 v62, v60, v12
	s_delay_alu instid0(VALU_DEP_1) | instskip(NEXT) | instid1(VALU_DEP_1)
	v_add_nc_u16 v12, v62, v51
	v_add_nc_u16 v4, v12, v4
	s_delay_alu instid0(VALU_DEP_1) | instskip(NEXT) | instid1(VALU_DEP_1)
	v_add_nc_u16 v51, v4, v54
	v_add_nc_u16 v54, v51, v55
	v_lshlrev_b16 v51, 8, v51
	s_delay_alu instid0(VALU_DEP_2) | instskip(NEXT) | instid1(VALU_DEP_1)
	v_add_nc_u16 v55, v54, v56
	v_add_nc_u16 v56, v55, v5
	v_lshlrev_b16 v5, 8, v60
	s_delay_alu instid0(VALU_DEP_2) | instskip(NEXT) | instid1(VALU_DEP_1)
	;; [unrolled: 4-line block ×3, first 2 shown]
	v_add_nc_u16 v59, v58, v59
	v_add_nc_u16 v61, v59, v6
	v_lshlrev_b16 v6, 8, v12
	v_and_b32_e32 v12, 0xff, v54
	v_and_b32_e32 v54, 0xff, v58
	s_delay_alu instid0(VALU_DEP_4) | instskip(SKIP_2) | instid1(VALU_DEP_3)
	v_add_nc_u16 v3, v61, v11
	v_and_b32_e32 v11, 0xff, v4
	v_and_b32_e32 v58, 0xff, v61
	v_add_nc_u16 v4, v3, v52
	v_lshlrev_b16 v52, 8, v55
	v_and_b32_e32 v55, 0xff, v56
	v_lshlrev_b16 v56, 8, v59
	v_lshlrev_b16 v60, 8, v3
	v_add_nc_u16 v53, v4, v53
	v_and_b32_e32 v59, 0xff, v4
	s_delay_alu instid0(VALU_DEP_2)
	v_lshlrev_b16 v61, 8, v53
	v_and_b32_e32 v53, 0xff, v62
	s_cbranch_vccz .LBB12_66
; %bb.46:                               ;   in Loop: Header=BB12_14 Depth=1
	v_or_b32_e32 v3, v58, v60
	s_delay_alu instid0(VALU_DEP_3)
	v_or_b32_e32 v4, v59, v61
	v_or_b32_e32 v62, v55, v57
	;; [unrolled: 1-line block ×7, first 2 shown]
	v_and_b32_e32 v3, 0xffff, v3
	v_lshlrev_b32_e32 v4, 16, v4
	v_and_b32_e32 v62, 0xffff, v62
	v_lshlrev_b32_e32 v63, 16, v63
	;; [unrolled: 2-line block ×4, first 2 shown]
	v_or_b32_e32 v65, v3, v4
	v_or_b32_e32 v64, v62, v63
	;; [unrolled: 1-line block ×3, first 2 shown]
	v_add_co_u32 v3, vcc_lo, v7, v13
	v_or_b32_e32 v62, v66, v67
	v_add_co_ci_u32_e32 v4, vcc_lo, 0, v8, vcc_lo
	s_mov_b32 s11, exec_lo
	ds_store_b128 v48, v[62:65]
	; wave barrier
	ds_load_u8 v77, v32
	ds_load_u8 v76, v33
	;; [unrolled: 1-line block ×16, first 2 shown]
	v_cmpx_gt_u32_e64 s16, v16
	s_cbranch_execnz .LBB12_69
; %bb.47:                               ;   in Loop: Header=BB12_14 Depth=1
	s_or_b32 exec_lo, exec_lo, s11
	s_delay_alu instid0(SALU_CYCLE_1)
	s_mov_b32 s11, exec_lo
	v_cmpx_gt_u32_e64 s16, v17
	s_cbranch_execnz .LBB12_70
.LBB12_48:                              ;   in Loop: Header=BB12_14 Depth=1
	s_or_b32 exec_lo, exec_lo, s11
	s_delay_alu instid0(SALU_CYCLE_1)
	s_mov_b32 s11, exec_lo
	v_cmpx_gt_u32_e64 s16, v18
	s_cbranch_execnz .LBB12_71
.LBB12_49:                              ;   in Loop: Header=BB12_14 Depth=1
	s_or_b32 exec_lo, exec_lo, s11
	s_delay_alu instid0(SALU_CYCLE_1)
	s_mov_b32 s11, exec_lo
	v_cmpx_gt_u32_e64 s16, v19
	s_cbranch_execnz .LBB12_72
.LBB12_50:                              ;   in Loop: Header=BB12_14 Depth=1
	s_or_b32 exec_lo, exec_lo, s11
	s_delay_alu instid0(SALU_CYCLE_1)
	s_mov_b32 s11, exec_lo
	v_cmpx_gt_u32_e64 s16, v20
	s_cbranch_execnz .LBB12_73
.LBB12_51:                              ;   in Loop: Header=BB12_14 Depth=1
	s_or_b32 exec_lo, exec_lo, s11
	s_delay_alu instid0(SALU_CYCLE_1)
	s_mov_b32 s11, exec_lo
	v_cmpx_gt_u32_e64 s16, v21
	s_cbranch_execnz .LBB12_74
.LBB12_52:                              ;   in Loop: Header=BB12_14 Depth=1
	s_or_b32 exec_lo, exec_lo, s11
	s_delay_alu instid0(SALU_CYCLE_1)
	s_mov_b32 s11, exec_lo
	v_cmpx_gt_u32_e64 s16, v22
	s_cbranch_execnz .LBB12_75
.LBB12_53:                              ;   in Loop: Header=BB12_14 Depth=1
	s_or_b32 exec_lo, exec_lo, s11
	s_delay_alu instid0(SALU_CYCLE_1)
	s_mov_b32 s11, exec_lo
	v_cmpx_gt_u32_e64 s16, v23
	s_cbranch_execnz .LBB12_76
.LBB12_54:                              ;   in Loop: Header=BB12_14 Depth=1
	s_or_b32 exec_lo, exec_lo, s11
	s_delay_alu instid0(SALU_CYCLE_1)
	s_mov_b32 s11, exec_lo
	v_cmpx_gt_u32_e64 s16, v24
	s_cbranch_execnz .LBB12_77
.LBB12_55:                              ;   in Loop: Header=BB12_14 Depth=1
	s_or_b32 exec_lo, exec_lo, s11
	s_delay_alu instid0(SALU_CYCLE_1)
	s_mov_b32 s11, exec_lo
	v_cmpx_gt_u32_e64 s16, v25
	s_cbranch_execnz .LBB12_78
.LBB12_56:                              ;   in Loop: Header=BB12_14 Depth=1
	s_or_b32 exec_lo, exec_lo, s11
	s_delay_alu instid0(SALU_CYCLE_1)
	s_mov_b32 s11, exec_lo
	v_cmpx_gt_u32_e64 s16, v26
	s_cbranch_execnz .LBB12_79
.LBB12_57:                              ;   in Loop: Header=BB12_14 Depth=1
	s_or_b32 exec_lo, exec_lo, s11
	s_delay_alu instid0(SALU_CYCLE_1)
	s_mov_b32 s11, exec_lo
	v_cmpx_gt_u32_e64 s16, v27
	s_cbranch_execnz .LBB12_80
.LBB12_58:                              ;   in Loop: Header=BB12_14 Depth=1
	s_or_b32 exec_lo, exec_lo, s11
	s_delay_alu instid0(SALU_CYCLE_1)
	s_mov_b32 s11, exec_lo
	v_cmpx_gt_u32_e64 s16, v28
	s_cbranch_execnz .LBB12_81
.LBB12_59:                              ;   in Loop: Header=BB12_14 Depth=1
	s_or_b32 exec_lo, exec_lo, s11
	s_delay_alu instid0(SALU_CYCLE_1)
	s_mov_b32 s11, exec_lo
	v_cmpx_gt_u32_e64 s16, v29
	s_cbranch_execnz .LBB12_82
.LBB12_60:                              ;   in Loop: Header=BB12_14 Depth=1
	s_or_b32 exec_lo, exec_lo, s11
	s_delay_alu instid0(SALU_CYCLE_1)
	s_mov_b32 s11, exec_lo
	v_cmpx_gt_u32_e64 s16, v30
	s_cbranch_execz .LBB12_62
.LBB12_61:                              ;   in Loop: Header=BB12_14 Depth=1
	s_waitcnt lgkmcnt(1)
	global_store_b8 v[3:4], v63, off offset:-32
.LBB12_62:                              ;   in Loop: Header=BB12_14 Depth=1
	s_or_b32 exec_lo, exec_lo, s11
	v_cmp_gt_u32_e64 s11, s16, v31
	s_branch .LBB12_64
.LBB12_63:                              ;   in Loop: Header=BB12_14 Depth=1
	v_or_b32_e32 v3, v58, v60
	v_or_b32_e32 v4, v59, v61
	;; [unrolled: 1-line block ×8, first 2 shown]
	v_and_b32_e32 v3, 0xffff, v3
	v_lshlrev_b32_e32 v4, 16, v4
	v_and_b32_e32 v55, 0xffff, v55
	v_lshlrev_b32_e32 v51, 16, v54
	;; [unrolled: 2-line block ×4, first 2 shown]
	v_or_b32_e32 v6, v3, v4
	v_or_b32_e32 v5, v55, v51
	;; [unrolled: 1-line block ×3, first 2 shown]
	s_or_b32 s11, s11, exec_lo
	v_or_b32_e32 v3, v1, v52
	ds_store_b128 v48, v[3:6]
	; wave barrier
	ds_load_u8 v1, v32
	ds_load_u8 v5, v33
	;; [unrolled: 1-line block ×15, first 2 shown]
	s_waitcnt lgkmcnt(16)
	ds_load_u8 v62, v47
	v_add_co_u32 v3, vcc_lo, v7, v13
	v_add_co_ci_u32_e32 v4, vcc_lo, 0, v8, vcc_lo
	s_waitcnt lgkmcnt(15)
	global_store_b8 v[3:4], v1, off offset:-480
	s_waitcnt lgkmcnt(14)
	global_store_b8 v[3:4], v5, off offset:-448
	;; [unrolled: 2-line block ×15, first 2 shown]
.LBB12_64:                              ;   in Loop: Header=BB12_14 Depth=1
	s_delay_alu instid0(VALU_DEP_1)
	s_and_saveexec_b32 s13, s11
	s_cbranch_execnz .LBB12_67
; %bb.65:                               ;   in Loop: Header=BB12_14 Depth=1
	s_or_b32 exec_lo, exec_lo, s13
	v_cmp_gt_i64_e64 s11, 0x2001, s[24:25]
	s_delay_alu instid0(VALU_DEP_1)
	s_and_b32 vcc_lo, exec_lo, s11
	s_cbranch_vccz .LBB12_13
	s_branch .LBB12_68
.LBB12_66:                              ;   in Loop: Header=BB12_14 Depth=1
	s_mov_b32 s11, 0
                                        ; implicit-def: $vgpr62
	s_cbranch_execnz .LBB12_63
	s_branch .LBB12_64
.LBB12_67:                              ;   in Loop: Header=BB12_14 Depth=1
	v_add_co_u32 v3, vcc_lo, v7, v13
	v_add_co_ci_u32_e32 v4, vcc_lo, 0, v8, vcc_lo
	s_waitcnt lgkmcnt(0)
	global_store_b8 v[3:4], v62, off
	s_or_b32 exec_lo, exec_lo, s13
	v_cmp_gt_i64_e64 s11, 0x2001, s[24:25]
	s_delay_alu instid0(VALU_DEP_1)
	s_and_b32 vcc_lo, exec_lo, s11
	s_cbranch_vccz .LBB12_13
.LBB12_68:
                                        ; implicit-def: $vgpr15
                                        ; implicit-def: $sgpr24_sgpr25
                                        ; implicit-def: $sgpr26
                                        ; implicit-def: $vgpr7_vgpr8
                                        ; implicit-def: $vgpr9_vgpr10
                                        ; implicit-def: $sgpr16
	s_branch .LBB12_98
.LBB12_69:                              ;   in Loop: Header=BB12_14 Depth=1
	s_waitcnt lgkmcnt(15)
	global_store_b8 v[3:4], v77, off offset:-480
	s_or_b32 exec_lo, exec_lo, s11
	s_delay_alu instid0(SALU_CYCLE_1)
	s_mov_b32 s11, exec_lo
	v_cmpx_gt_u32_e64 s16, v17
	s_cbranch_execz .LBB12_48
.LBB12_70:                              ;   in Loop: Header=BB12_14 Depth=1
	s_waitcnt lgkmcnt(14)
	global_store_b8 v[3:4], v76, off offset:-448
	s_or_b32 exec_lo, exec_lo, s11
	s_delay_alu instid0(SALU_CYCLE_1)
	s_mov_b32 s11, exec_lo
	v_cmpx_gt_u32_e64 s16, v18
	s_cbranch_execz .LBB12_49
.LBB12_71:                              ;   in Loop: Header=BB12_14 Depth=1
	s_waitcnt lgkmcnt(13)
	global_store_b8 v[3:4], v75, off offset:-416
	s_or_b32 exec_lo, exec_lo, s11
	s_delay_alu instid0(SALU_CYCLE_1)
	s_mov_b32 s11, exec_lo
	v_cmpx_gt_u32_e64 s16, v19
	s_cbranch_execz .LBB12_50
.LBB12_72:                              ;   in Loop: Header=BB12_14 Depth=1
	s_waitcnt lgkmcnt(12)
	global_store_b8 v[3:4], v74, off offset:-384
	s_or_b32 exec_lo, exec_lo, s11
	s_delay_alu instid0(SALU_CYCLE_1)
	s_mov_b32 s11, exec_lo
	v_cmpx_gt_u32_e64 s16, v20
	s_cbranch_execz .LBB12_51
.LBB12_73:                              ;   in Loop: Header=BB12_14 Depth=1
	s_waitcnt lgkmcnt(11)
	global_store_b8 v[3:4], v73, off offset:-352
	s_or_b32 exec_lo, exec_lo, s11
	s_delay_alu instid0(SALU_CYCLE_1)
	s_mov_b32 s11, exec_lo
	v_cmpx_gt_u32_e64 s16, v21
	s_cbranch_execz .LBB12_52
.LBB12_74:                              ;   in Loop: Header=BB12_14 Depth=1
	s_waitcnt lgkmcnt(10)
	global_store_b8 v[3:4], v72, off offset:-320
	s_or_b32 exec_lo, exec_lo, s11
	s_delay_alu instid0(SALU_CYCLE_1)
	s_mov_b32 s11, exec_lo
	v_cmpx_gt_u32_e64 s16, v22
	s_cbranch_execz .LBB12_53
.LBB12_75:                              ;   in Loop: Header=BB12_14 Depth=1
	s_waitcnt lgkmcnt(9)
	global_store_b8 v[3:4], v71, off offset:-288
	s_or_b32 exec_lo, exec_lo, s11
	s_delay_alu instid0(SALU_CYCLE_1)
	s_mov_b32 s11, exec_lo
	v_cmpx_gt_u32_e64 s16, v23
	s_cbranch_execz .LBB12_54
.LBB12_76:                              ;   in Loop: Header=BB12_14 Depth=1
	s_waitcnt lgkmcnt(8)
	global_store_b8 v[3:4], v70, off offset:-256
	s_or_b32 exec_lo, exec_lo, s11
	s_delay_alu instid0(SALU_CYCLE_1)
	s_mov_b32 s11, exec_lo
	v_cmpx_gt_u32_e64 s16, v24
	s_cbranch_execz .LBB12_55
.LBB12_77:                              ;   in Loop: Header=BB12_14 Depth=1
	s_waitcnt lgkmcnt(7)
	global_store_b8 v[3:4], v69, off offset:-224
	s_or_b32 exec_lo, exec_lo, s11
	s_delay_alu instid0(SALU_CYCLE_1)
	s_mov_b32 s11, exec_lo
	v_cmpx_gt_u32_e64 s16, v25
	s_cbranch_execz .LBB12_56
.LBB12_78:                              ;   in Loop: Header=BB12_14 Depth=1
	s_waitcnt lgkmcnt(6)
	global_store_b8 v[3:4], v68, off offset:-192
	s_or_b32 exec_lo, exec_lo, s11
	s_delay_alu instid0(SALU_CYCLE_1)
	s_mov_b32 s11, exec_lo
	v_cmpx_gt_u32_e64 s16, v26
	s_cbranch_execz .LBB12_57
.LBB12_79:                              ;   in Loop: Header=BB12_14 Depth=1
	s_waitcnt lgkmcnt(5)
	global_store_b8 v[3:4], v67, off offset:-160
	s_or_b32 exec_lo, exec_lo, s11
	s_delay_alu instid0(SALU_CYCLE_1)
	s_mov_b32 s11, exec_lo
	v_cmpx_gt_u32_e64 s16, v27
	s_cbranch_execz .LBB12_58
.LBB12_80:                              ;   in Loop: Header=BB12_14 Depth=1
	s_waitcnt lgkmcnt(4)
	global_store_b8 v[3:4], v66, off offset:-128
	s_or_b32 exec_lo, exec_lo, s11
	s_delay_alu instid0(SALU_CYCLE_1)
	s_mov_b32 s11, exec_lo
	v_cmpx_gt_u32_e64 s16, v28
	s_cbranch_execz .LBB12_59
.LBB12_81:                              ;   in Loop: Header=BB12_14 Depth=1
	s_waitcnt lgkmcnt(3)
	global_store_b8 v[3:4], v65, off offset:-96
	s_or_b32 exec_lo, exec_lo, s11
	s_delay_alu instid0(SALU_CYCLE_1)
	s_mov_b32 s11, exec_lo
	v_cmpx_gt_u32_e64 s16, v29
	s_cbranch_execz .LBB12_60
.LBB12_82:                              ;   in Loop: Header=BB12_14 Depth=1
	s_waitcnt lgkmcnt(2)
	global_store_b8 v[3:4], v64, off offset:-64
	s_or_b32 exec_lo, exec_lo, s11
	s_delay_alu instid0(SALU_CYCLE_1)
	s_mov_b32 s11, exec_lo
	v_cmpx_gt_u32_e64 s16, v30
	s_cbranch_execnz .LBB12_61
	s_branch .LBB12_62
.LBB12_83:                              ;   in Loop: Header=BB12_14 Depth=1
	global_load_u8 v1, v[11:12], off
	v_mov_b32_e32 v3, v2
	s_waitcnt vmcnt(0)
	v_dual_mov_b32 v4, v2 :: v_dual_and_b32 v1, 0xffff, v1
	s_delay_alu instid0(VALU_DEP_1) | instskip(NEXT) | instid1(VALU_DEP_3)
	v_mov_b32_e32 v6, v4
	v_dual_mov_b32 v5, v3 :: v_dual_mov_b32 v4, v2
	s_delay_alu instid0(VALU_DEP_3) | instskip(SKIP_1) | instid1(SALU_CYCLE_1)
	v_mov_b32_e32 v3, v1
	s_or_b32 exec_lo, exec_lo, s13
	s_mov_b32 s11, exec_lo
	v_cmpx_gt_u32_e64 s16, v17
	s_cbranch_execz .LBB12_17
.LBB12_84:                              ;   in Loop: Header=BB12_14 Depth=1
	global_load_u8 v1, v[11:12], off offset:32
	s_waitcnt vmcnt(0)
	v_perm_b32 v3, v3, v1, 0x7060004
	s_or_b32 exec_lo, exec_lo, s11
	s_delay_alu instid0(SALU_CYCLE_1)
	s_mov_b32 s11, exec_lo
	v_cmpx_gt_u32_e64 s16, v18
	s_cbranch_execz .LBB12_18
.LBB12_85:                              ;   in Loop: Header=BB12_14 Depth=1
	global_load_u8 v1, v[11:12], off offset:64
	s_waitcnt vmcnt(0)
	v_perm_b32 v3, v3, v1, 0x7000504
	s_or_b32 exec_lo, exec_lo, s11
	s_delay_alu instid0(SALU_CYCLE_1)
	s_mov_b32 s11, exec_lo
	v_cmpx_gt_u32_e64 s16, v19
	s_cbranch_execz .LBB12_19
.LBB12_86:                              ;   in Loop: Header=BB12_14 Depth=1
	global_load_u8 v1, v[11:12], off offset:96
	s_waitcnt vmcnt(0)
	v_perm_b32 v3, v3, v1, 0x60504
	s_or_b32 exec_lo, exec_lo, s11
	s_delay_alu instid0(SALU_CYCLE_1)
	s_mov_b32 s11, exec_lo
	v_cmpx_gt_u32_e64 s16, v20
	s_cbranch_execz .LBB12_20
.LBB12_87:                              ;   in Loop: Header=BB12_14 Depth=1
	global_load_u8 v1, v[11:12], off offset:128
	s_waitcnt vmcnt(0)
	v_perm_b32 v4, v1, v4, 0x3020104
	s_or_b32 exec_lo, exec_lo, s11
	s_delay_alu instid0(SALU_CYCLE_1)
	s_mov_b32 s11, exec_lo
	v_cmpx_gt_u32_e64 s16, v21
	s_cbranch_execz .LBB12_21
.LBB12_88:                              ;   in Loop: Header=BB12_14 Depth=1
	global_load_u8 v1, v[11:12], off offset:160
	s_waitcnt vmcnt(0)
	v_perm_b32 v4, v4, v1, 0x7060004
	s_or_b32 exec_lo, exec_lo, s11
	s_delay_alu instid0(SALU_CYCLE_1)
	s_mov_b32 s11, exec_lo
	v_cmpx_gt_u32_e64 s16, v22
	s_cbranch_execz .LBB12_22
.LBB12_89:                              ;   in Loop: Header=BB12_14 Depth=1
	global_load_u8 v1, v[11:12], off offset:192
	s_waitcnt vmcnt(0)
	v_perm_b32 v4, v4, v1, 0x7000504
	s_or_b32 exec_lo, exec_lo, s11
	s_delay_alu instid0(SALU_CYCLE_1)
	s_mov_b32 s11, exec_lo
	v_cmpx_gt_u32_e64 s16, v23
	s_cbranch_execz .LBB12_23
.LBB12_90:                              ;   in Loop: Header=BB12_14 Depth=1
	global_load_u8 v1, v[11:12], off offset:224
	s_waitcnt vmcnt(0)
	v_perm_b32 v4, v4, v1, 0x60504
	s_or_b32 exec_lo, exec_lo, s11
	s_delay_alu instid0(SALU_CYCLE_1)
	s_mov_b32 s11, exec_lo
	v_cmpx_gt_u32_e64 s16, v24
	s_cbranch_execz .LBB12_24
.LBB12_91:                              ;   in Loop: Header=BB12_14 Depth=1
	global_load_u8 v1, v[11:12], off offset:256
	s_waitcnt vmcnt(0)
	v_perm_b32 v5, v1, v5, 0x3020104
	s_or_b32 exec_lo, exec_lo, s11
	s_delay_alu instid0(SALU_CYCLE_1)
	s_mov_b32 s11, exec_lo
	v_cmpx_gt_u32_e64 s16, v25
	s_cbranch_execz .LBB12_25
.LBB12_92:                              ;   in Loop: Header=BB12_14 Depth=1
	global_load_u8 v1, v[11:12], off offset:288
	s_waitcnt vmcnt(0)
	v_perm_b32 v5, v5, v1, 0x7060004
	s_or_b32 exec_lo, exec_lo, s11
	s_delay_alu instid0(SALU_CYCLE_1)
	s_mov_b32 s11, exec_lo
	v_cmpx_gt_u32_e64 s16, v26
	s_cbranch_execz .LBB12_26
.LBB12_93:                              ;   in Loop: Header=BB12_14 Depth=1
	global_load_u8 v1, v[11:12], off offset:320
	s_waitcnt vmcnt(0)
	v_perm_b32 v5, v5, v1, 0x7000504
	s_or_b32 exec_lo, exec_lo, s11
	s_delay_alu instid0(SALU_CYCLE_1)
	s_mov_b32 s11, exec_lo
	v_cmpx_gt_u32_e64 s16, v27
	s_cbranch_execz .LBB12_27
.LBB12_94:                              ;   in Loop: Header=BB12_14 Depth=1
	global_load_u8 v1, v[11:12], off offset:352
	s_waitcnt vmcnt(0)
	v_perm_b32 v5, v5, v1, 0x60504
	s_or_b32 exec_lo, exec_lo, s11
	s_delay_alu instid0(SALU_CYCLE_1)
	s_mov_b32 s11, exec_lo
	v_cmpx_gt_u32_e64 s16, v28
	s_cbranch_execz .LBB12_28
.LBB12_95:                              ;   in Loop: Header=BB12_14 Depth=1
	global_load_u8 v1, v[11:12], off offset:384
	s_waitcnt vmcnt(0)
	v_perm_b32 v6, v1, v6, 0x3020104
	s_or_b32 exec_lo, exec_lo, s11
	s_delay_alu instid0(SALU_CYCLE_1)
	s_mov_b32 s11, exec_lo
	v_cmpx_gt_u32_e64 s16, v29
	s_cbranch_execz .LBB12_29
.LBB12_96:                              ;   in Loop: Header=BB12_14 Depth=1
	global_load_u8 v1, v[11:12], off offset:416
	s_waitcnt vmcnt(0)
	v_perm_b32 v6, v6, v1, 0x7060004
	s_or_b32 exec_lo, exec_lo, s11
	s_delay_alu instid0(SALU_CYCLE_1)
	s_mov_b32 s11, exec_lo
	v_cmpx_gt_u32_e64 s16, v30
	s_cbranch_execz .LBB12_30
.LBB12_97:                              ;   in Loop: Header=BB12_14 Depth=1
	global_load_u8 v1, v[11:12], off offset:448
	s_waitcnt vmcnt(0)
	v_perm_b32 v6, v6, v1, 0x7000504
	s_or_b32 exec_lo, exec_lo, s11
	s_delay_alu instid0(SALU_CYCLE_1)
	s_mov_b32 s11, exec_lo
	v_cmpx_gt_u32_e64 s16, v31
	s_cbranch_execnz .LBB12_31
	s_branch .LBB12_32
.LBB12_98:
	s_nop 0
	s_sendmsg sendmsg(MSG_DEALLOC_VGPRS)
	s_endpgm
	.section	.rodata,"a",@progbits
	.p2align	6, 0x0
	.amdhsa_kernel _ZN2at4cuda3cub17final_scan_kernelILi512ELi16EaEEvPKT1_PS3_S6_li
		.amdhsa_group_segment_fixed_size 8448
		.amdhsa_private_segment_fixed_size 0
		.amdhsa_kernarg_size 296
		.amdhsa_user_sgpr_count 15
		.amdhsa_user_sgpr_dispatch_ptr 0
		.amdhsa_user_sgpr_queue_ptr 0
		.amdhsa_user_sgpr_kernarg_segment_ptr 1
		.amdhsa_user_sgpr_dispatch_id 0
		.amdhsa_user_sgpr_private_segment_size 0
		.amdhsa_wavefront_size32 1
		.amdhsa_uses_dynamic_stack 0
		.amdhsa_enable_private_segment 0
		.amdhsa_system_sgpr_workgroup_id_x 1
		.amdhsa_system_sgpr_workgroup_id_y 0
		.amdhsa_system_sgpr_workgroup_id_z 0
		.amdhsa_system_sgpr_workgroup_info 0
		.amdhsa_system_vgpr_workitem_id 0
		.amdhsa_next_free_vgpr 78
		.amdhsa_next_free_sgpr 27
		.amdhsa_reserve_vcc 1
		.amdhsa_float_round_mode_32 0
		.amdhsa_float_round_mode_16_64 0
		.amdhsa_float_denorm_mode_32 3
		.amdhsa_float_denorm_mode_16_64 3
		.amdhsa_dx10_clamp 1
		.amdhsa_ieee_mode 1
		.amdhsa_fp16_overflow 0
		.amdhsa_workgroup_processor_mode 1
		.amdhsa_memory_ordered 1
		.amdhsa_forward_progress 0
		.amdhsa_shared_vgpr_count 0
		.amdhsa_exception_fp_ieee_invalid_op 0
		.amdhsa_exception_fp_denorm_src 0
		.amdhsa_exception_fp_ieee_div_zero 0
		.amdhsa_exception_fp_ieee_overflow 0
		.amdhsa_exception_fp_ieee_underflow 0
		.amdhsa_exception_fp_ieee_inexact 0
		.amdhsa_exception_int_div_zero 0
	.end_amdhsa_kernel
	.section	.text._ZN2at4cuda3cub17final_scan_kernelILi512ELi16EaEEvPKT1_PS3_S6_li,"axG",@progbits,_ZN2at4cuda3cub17final_scan_kernelILi512ELi16EaEEvPKT1_PS3_S6_li,comdat
.Lfunc_end12:
	.size	_ZN2at4cuda3cub17final_scan_kernelILi512ELi16EaEEvPKT1_PS3_S6_li, .Lfunc_end12-_ZN2at4cuda3cub17final_scan_kernelILi512ELi16EaEEvPKT1_PS3_S6_li
                                        ; -- End function
	.section	.AMDGPU.csdata,"",@progbits
; Kernel info:
; codeLenInByte = 5940
; NumSgprs: 29
; NumVgprs: 78
; ScratchSize: 0
; MemoryBound: 0
; FloatMode: 240
; IeeeMode: 1
; LDSByteSize: 8448 bytes/workgroup (compile time only)
; SGPRBlocks: 3
; VGPRBlocks: 9
; NumSGPRsForWavesPerEU: 29
; NumVGPRsForWavesPerEU: 78
; Occupancy: 16
; WaveLimiterHint : 0
; COMPUTE_PGM_RSRC2:SCRATCH_EN: 0
; COMPUTE_PGM_RSRC2:USER_SGPR: 15
; COMPUTE_PGM_RSRC2:TRAP_HANDLER: 0
; COMPUTE_PGM_RSRC2:TGID_X_EN: 1
; COMPUTE_PGM_RSRC2:TGID_Y_EN: 0
; COMPUTE_PGM_RSRC2:TGID_Z_EN: 0
; COMPUTE_PGM_RSRC2:TIDIG_COMP_CNT: 0
	.section	.text._ZN7rocprim17ROCPRIM_304000_NS6detail31init_lookback_scan_state_kernelINS1_19lookback_scan_stateIaLb1ELb1EEEEEvT_jjPNS5_10value_typeE,"axG",@progbits,_ZN7rocprim17ROCPRIM_304000_NS6detail31init_lookback_scan_state_kernelINS1_19lookback_scan_stateIaLb1ELb1EEEEEvT_jjPNS5_10value_typeE,comdat
	.protected	_ZN7rocprim17ROCPRIM_304000_NS6detail31init_lookback_scan_state_kernelINS1_19lookback_scan_stateIaLb1ELb1EEEEEvT_jjPNS5_10value_typeE ; -- Begin function _ZN7rocprim17ROCPRIM_304000_NS6detail31init_lookback_scan_state_kernelINS1_19lookback_scan_stateIaLb1ELb1EEEEEvT_jjPNS5_10value_typeE
	.globl	_ZN7rocprim17ROCPRIM_304000_NS6detail31init_lookback_scan_state_kernelINS1_19lookback_scan_stateIaLb1ELb1EEEEEvT_jjPNS5_10value_typeE
	.p2align	8
	.type	_ZN7rocprim17ROCPRIM_304000_NS6detail31init_lookback_scan_state_kernelINS1_19lookback_scan_stateIaLb1ELb1EEEEEvT_jjPNS5_10value_typeE,@function
_ZN7rocprim17ROCPRIM_304000_NS6detail31init_lookback_scan_state_kernelINS1_19lookback_scan_stateIaLb1ELb1EEEEEvT_jjPNS5_10value_typeE: ; @_ZN7rocprim17ROCPRIM_304000_NS6detail31init_lookback_scan_state_kernelINS1_19lookback_scan_stateIaLb1ELb1EEEEEvT_jjPNS5_10value_typeE
; %bb.0:
	s_clause 0x2
	s_load_b32 s6, s[0:1], 0x24
	s_load_b64 s[4:5], s[0:1], 0x10
	s_load_b128 s[0:3], s[0:1], 0x0
	s_waitcnt lgkmcnt(0)
	s_and_b32 s6, s6, 0xffff
	s_cmp_eq_u64 s[4:5], 0
	v_mad_u64_u32 v[1:2], null, s15, s6, v[0:1]
	s_cbranch_scc1 .LBB13_8
; %bb.1:
	s_cmp_lt_u32 s3, s2
	s_mov_b32 s7, 0
	s_cselect_b32 s6, s3, 0
	s_mov_b32 s8, exec_lo
	s_delay_alu instid0(VALU_DEP_1)
	v_cmpx_eq_u32_e64 s6, v1
	s_cbranch_execz .LBB13_7
; %bb.2:
	s_add_i32 s6, s3, 32
	v_mov_b32_e32 v0, 0
	s_lshl_b64 s[6:7], s[6:7], 1
	s_mov_b32 s3, 1
	s_add_u32 s6, s0, s6
	s_addc_u32 s7, s1, s7
	global_load_u16 v2, v0, s[6:7] glc
	s_waitcnt vmcnt(0)
	v_cmp_lt_u16_e32 vcc_lo, 0xff, v2
	s_cbranch_vccnz .LBB13_6
.LBB13_3:                               ; =>This Loop Header: Depth=1
                                        ;     Child Loop BB13_4 Depth 2
	s_max_u32 s9, s3, 1
.LBB13_4:                               ;   Parent Loop BB13_3 Depth=1
                                        ; =>  This Inner Loop Header: Depth=2
	s_delay_alu instid0(SALU_CYCLE_1)
	s_add_i32 s9, s9, -1
	s_sleep 1
	s_cmp_eq_u32 s9, 0
	s_cbranch_scc0 .LBB13_4
; %bb.5:                                ;   in Loop: Header=BB13_3 Depth=1
	global_load_u16 v2, v0, s[6:7] glc
	s_cmp_lt_u32 s3, 32
	s_cselect_b32 s9, -1, 0
	s_delay_alu instid0(SALU_CYCLE_1)
	s_cmp_lg_u32 s9, 0
	s_addc_u32 s3, s3, 0
	s_waitcnt vmcnt(0)
	v_cmp_lt_u16_e32 vcc_lo, 0xff, v2
	s_cbranch_vccz .LBB13_3
.LBB13_6:
	v_mov_b32_e32 v0, 0
	global_store_b8 v0, v2, s[4:5]
.LBB13_7:
	s_or_b32 exec_lo, exec_lo, s8
.LBB13_8:
	s_delay_alu instid0(VALU_DEP_1)
	v_cmp_gt_u32_e32 vcc_lo, s2, v1
	s_and_saveexec_b32 s2, vcc_lo
	s_cbranch_execz .LBB13_10
; %bb.9:
	v_dual_mov_b32 v3, 0 :: v_dual_add_nc_u32 v2, 32, v1
	s_delay_alu instid0(VALU_DEP_1) | instskip(NEXT) | instid1(VALU_DEP_1)
	v_lshlrev_b64 v[4:5], 1, v[2:3]
	v_add_co_u32 v4, vcc_lo, s0, v4
	s_delay_alu instid0(VALU_DEP_2)
	v_add_co_ci_u32_e32 v5, vcc_lo, s1, v5, vcc_lo
	global_store_b16 v[4:5], v3, off
.LBB13_10:
	s_or_b32 exec_lo, exec_lo, s2
	s_delay_alu instid0(SALU_CYCLE_1)
	s_mov_b32 s2, exec_lo
	v_cmpx_gt_u32_e32 32, v1
	s_cbranch_execz .LBB13_12
; %bb.11:
	v_mov_b32_e32 v2, 0
	s_delay_alu instid0(VALU_DEP_1) | instskip(SKIP_1) | instid1(VALU_DEP_2)
	v_lshlrev_b64 v[0:1], 1, v[1:2]
	v_mov_b32_e32 v2, 0xffffff00
	v_add_co_u32 v0, vcc_lo, s0, v0
	s_delay_alu instid0(VALU_DEP_3)
	v_add_co_ci_u32_e32 v1, vcc_lo, s1, v1, vcc_lo
	global_store_b16 v[0:1], v2, off
.LBB13_12:
	s_nop 0
	s_sendmsg sendmsg(MSG_DEALLOC_VGPRS)
	s_endpgm
	.section	.rodata,"a",@progbits
	.p2align	6, 0x0
	.amdhsa_kernel _ZN7rocprim17ROCPRIM_304000_NS6detail31init_lookback_scan_state_kernelINS1_19lookback_scan_stateIaLb1ELb1EEEEEvT_jjPNS5_10value_typeE
		.amdhsa_group_segment_fixed_size 0
		.amdhsa_private_segment_fixed_size 0
		.amdhsa_kernarg_size 280
		.amdhsa_user_sgpr_count 15
		.amdhsa_user_sgpr_dispatch_ptr 0
		.amdhsa_user_sgpr_queue_ptr 0
		.amdhsa_user_sgpr_kernarg_segment_ptr 1
		.amdhsa_user_sgpr_dispatch_id 0
		.amdhsa_user_sgpr_private_segment_size 0
		.amdhsa_wavefront_size32 1
		.amdhsa_uses_dynamic_stack 0
		.amdhsa_enable_private_segment 0
		.amdhsa_system_sgpr_workgroup_id_x 1
		.amdhsa_system_sgpr_workgroup_id_y 0
		.amdhsa_system_sgpr_workgroup_id_z 0
		.amdhsa_system_sgpr_workgroup_info 0
		.amdhsa_system_vgpr_workitem_id 0
		.amdhsa_next_free_vgpr 6
		.amdhsa_next_free_sgpr 16
		.amdhsa_reserve_vcc 1
		.amdhsa_float_round_mode_32 0
		.amdhsa_float_round_mode_16_64 0
		.amdhsa_float_denorm_mode_32 3
		.amdhsa_float_denorm_mode_16_64 3
		.amdhsa_dx10_clamp 1
		.amdhsa_ieee_mode 1
		.amdhsa_fp16_overflow 0
		.amdhsa_workgroup_processor_mode 1
		.amdhsa_memory_ordered 1
		.amdhsa_forward_progress 0
		.amdhsa_shared_vgpr_count 0
		.amdhsa_exception_fp_ieee_invalid_op 0
		.amdhsa_exception_fp_denorm_src 0
		.amdhsa_exception_fp_ieee_div_zero 0
		.amdhsa_exception_fp_ieee_overflow 0
		.amdhsa_exception_fp_ieee_underflow 0
		.amdhsa_exception_fp_ieee_inexact 0
		.amdhsa_exception_int_div_zero 0
	.end_amdhsa_kernel
	.section	.text._ZN7rocprim17ROCPRIM_304000_NS6detail31init_lookback_scan_state_kernelINS1_19lookback_scan_stateIaLb1ELb1EEEEEvT_jjPNS5_10value_typeE,"axG",@progbits,_ZN7rocprim17ROCPRIM_304000_NS6detail31init_lookback_scan_state_kernelINS1_19lookback_scan_stateIaLb1ELb1EEEEEvT_jjPNS5_10value_typeE,comdat
.Lfunc_end13:
	.size	_ZN7rocprim17ROCPRIM_304000_NS6detail31init_lookback_scan_state_kernelINS1_19lookback_scan_stateIaLb1ELb1EEEEEvT_jjPNS5_10value_typeE, .Lfunc_end13-_ZN7rocprim17ROCPRIM_304000_NS6detail31init_lookback_scan_state_kernelINS1_19lookback_scan_stateIaLb1ELb1EEEEEvT_jjPNS5_10value_typeE
                                        ; -- End function
	.section	.AMDGPU.csdata,"",@progbits
; Kernel info:
; codeLenInByte = 360
; NumSgprs: 18
; NumVgprs: 6
; ScratchSize: 0
; MemoryBound: 0
; FloatMode: 240
; IeeeMode: 1
; LDSByteSize: 0 bytes/workgroup (compile time only)
; SGPRBlocks: 2
; VGPRBlocks: 0
; NumSGPRsForWavesPerEU: 18
; NumVGPRsForWavesPerEU: 6
; Occupancy: 16
; WaveLimiterHint : 0
; COMPUTE_PGM_RSRC2:SCRATCH_EN: 0
; COMPUTE_PGM_RSRC2:USER_SGPR: 15
; COMPUTE_PGM_RSRC2:TRAP_HANDLER: 0
; COMPUTE_PGM_RSRC2:TGID_X_EN: 1
; COMPUTE_PGM_RSRC2:TGID_Y_EN: 0
; COMPUTE_PGM_RSRC2:TGID_Z_EN: 0
; COMPUTE_PGM_RSRC2:TIDIG_COMP_CNT: 0
	.section	.text._ZN7rocprim17ROCPRIM_304000_NS6detail31init_lookback_scan_state_kernelINS1_19lookback_scan_stateIaLb0ELb1EEEEEvT_jjPNS5_10value_typeE,"axG",@progbits,_ZN7rocprim17ROCPRIM_304000_NS6detail31init_lookback_scan_state_kernelINS1_19lookback_scan_stateIaLb0ELb1EEEEEvT_jjPNS5_10value_typeE,comdat
	.protected	_ZN7rocprim17ROCPRIM_304000_NS6detail31init_lookback_scan_state_kernelINS1_19lookback_scan_stateIaLb0ELb1EEEEEvT_jjPNS5_10value_typeE ; -- Begin function _ZN7rocprim17ROCPRIM_304000_NS6detail31init_lookback_scan_state_kernelINS1_19lookback_scan_stateIaLb0ELb1EEEEEvT_jjPNS5_10value_typeE
	.globl	_ZN7rocprim17ROCPRIM_304000_NS6detail31init_lookback_scan_state_kernelINS1_19lookback_scan_stateIaLb0ELb1EEEEEvT_jjPNS5_10value_typeE
	.p2align	8
	.type	_ZN7rocprim17ROCPRIM_304000_NS6detail31init_lookback_scan_state_kernelINS1_19lookback_scan_stateIaLb0ELb1EEEEEvT_jjPNS5_10value_typeE,@function
_ZN7rocprim17ROCPRIM_304000_NS6detail31init_lookback_scan_state_kernelINS1_19lookback_scan_stateIaLb0ELb1EEEEEvT_jjPNS5_10value_typeE: ; @_ZN7rocprim17ROCPRIM_304000_NS6detail31init_lookback_scan_state_kernelINS1_19lookback_scan_stateIaLb0ELb1EEEEEvT_jjPNS5_10value_typeE
; %bb.0:
	s_clause 0x2
	s_load_b32 s6, s[0:1], 0x24
	s_load_b64 s[4:5], s[0:1], 0x10
	s_load_b128 s[0:3], s[0:1], 0x0
	s_waitcnt lgkmcnt(0)
	s_and_b32 s6, s6, 0xffff
	s_cmp_eq_u64 s[4:5], 0
	v_mad_u64_u32 v[1:2], null, s15, s6, v[0:1]
	s_cbranch_scc1 .LBB14_6
; %bb.1:
	s_cmp_lt_u32 s3, s2
	s_mov_b32 s7, 0
	s_cselect_b32 s6, s3, 0
	s_mov_b32 s8, exec_lo
	s_delay_alu instid0(VALU_DEP_1)
	v_cmpx_eq_u32_e64 s6, v1
	s_cbranch_execz .LBB14_5
; %bb.2:
	s_add_i32 s6, s3, 32
	v_mov_b32_e32 v2, 0
	s_lshl_b64 s[6:7], s[6:7], 1
	s_delay_alu instid0(SALU_CYCLE_1)
	s_add_u32 s6, s0, s6
	s_addc_u32 s7, s1, s7
	global_load_u16 v0, v2, s[6:7] glc
	s_waitcnt vmcnt(0)
	v_cmp_lt_u16_e32 vcc_lo, 0xff, v0
	s_cbranch_vccnz .LBB14_4
.LBB14_3:                               ; =>This Inner Loop Header: Depth=1
	global_load_u16 v0, v2, s[6:7] glc
	s_waitcnt vmcnt(0)
	v_cmp_gt_u16_e32 vcc_lo, 0x100, v0
	s_cbranch_vccnz .LBB14_3
.LBB14_4:
	v_mov_b32_e32 v2, 0
	global_store_b8 v2, v0, s[4:5]
.LBB14_5:
	s_or_b32 exec_lo, exec_lo, s8
.LBB14_6:
	s_delay_alu instid0(VALU_DEP_1)
	v_cmp_gt_u32_e32 vcc_lo, s2, v1
	s_and_saveexec_b32 s2, vcc_lo
	s_cbranch_execz .LBB14_8
; %bb.7:
	v_dual_mov_b32 v3, 0 :: v_dual_add_nc_u32 v2, 32, v1
	s_delay_alu instid0(VALU_DEP_1) | instskip(NEXT) | instid1(VALU_DEP_1)
	v_lshlrev_b64 v[4:5], 1, v[2:3]
	v_add_co_u32 v4, vcc_lo, s0, v4
	s_delay_alu instid0(VALU_DEP_2)
	v_add_co_ci_u32_e32 v5, vcc_lo, s1, v5, vcc_lo
	global_store_b16 v[4:5], v3, off
.LBB14_8:
	s_or_b32 exec_lo, exec_lo, s2
	s_delay_alu instid0(SALU_CYCLE_1)
	s_mov_b32 s2, exec_lo
	v_cmpx_gt_u32_e32 32, v1
	s_cbranch_execz .LBB14_10
; %bb.9:
	v_mov_b32_e32 v2, 0
	s_delay_alu instid0(VALU_DEP_1) | instskip(SKIP_1) | instid1(VALU_DEP_2)
	v_lshlrev_b64 v[0:1], 1, v[1:2]
	v_mov_b32_e32 v2, 0xffffff00
	v_add_co_u32 v0, vcc_lo, s0, v0
	s_delay_alu instid0(VALU_DEP_3)
	v_add_co_ci_u32_e32 v1, vcc_lo, s1, v1, vcc_lo
	global_store_b16 v[0:1], v2, off
.LBB14_10:
	s_nop 0
	s_sendmsg sendmsg(MSG_DEALLOC_VGPRS)
	s_endpgm
	.section	.rodata,"a",@progbits
	.p2align	6, 0x0
	.amdhsa_kernel _ZN7rocprim17ROCPRIM_304000_NS6detail31init_lookback_scan_state_kernelINS1_19lookback_scan_stateIaLb0ELb1EEEEEvT_jjPNS5_10value_typeE
		.amdhsa_group_segment_fixed_size 0
		.amdhsa_private_segment_fixed_size 0
		.amdhsa_kernarg_size 280
		.amdhsa_user_sgpr_count 15
		.amdhsa_user_sgpr_dispatch_ptr 0
		.amdhsa_user_sgpr_queue_ptr 0
		.amdhsa_user_sgpr_kernarg_segment_ptr 1
		.amdhsa_user_sgpr_dispatch_id 0
		.amdhsa_user_sgpr_private_segment_size 0
		.amdhsa_wavefront_size32 1
		.amdhsa_uses_dynamic_stack 0
		.amdhsa_enable_private_segment 0
		.amdhsa_system_sgpr_workgroup_id_x 1
		.amdhsa_system_sgpr_workgroup_id_y 0
		.amdhsa_system_sgpr_workgroup_id_z 0
		.amdhsa_system_sgpr_workgroup_info 0
		.amdhsa_system_vgpr_workitem_id 0
		.amdhsa_next_free_vgpr 6
		.amdhsa_next_free_sgpr 16
		.amdhsa_reserve_vcc 1
		.amdhsa_float_round_mode_32 0
		.amdhsa_float_round_mode_16_64 0
		.amdhsa_float_denorm_mode_32 3
		.amdhsa_float_denorm_mode_16_64 3
		.amdhsa_dx10_clamp 1
		.amdhsa_ieee_mode 1
		.amdhsa_fp16_overflow 0
		.amdhsa_workgroup_processor_mode 1
		.amdhsa_memory_ordered 1
		.amdhsa_forward_progress 0
		.amdhsa_shared_vgpr_count 0
		.amdhsa_exception_fp_ieee_invalid_op 0
		.amdhsa_exception_fp_denorm_src 0
		.amdhsa_exception_fp_ieee_div_zero 0
		.amdhsa_exception_fp_ieee_overflow 0
		.amdhsa_exception_fp_ieee_underflow 0
		.amdhsa_exception_fp_ieee_inexact 0
		.amdhsa_exception_int_div_zero 0
	.end_amdhsa_kernel
	.section	.text._ZN7rocprim17ROCPRIM_304000_NS6detail31init_lookback_scan_state_kernelINS1_19lookback_scan_stateIaLb0ELb1EEEEEvT_jjPNS5_10value_typeE,"axG",@progbits,_ZN7rocprim17ROCPRIM_304000_NS6detail31init_lookback_scan_state_kernelINS1_19lookback_scan_stateIaLb0ELb1EEEEEvT_jjPNS5_10value_typeE,comdat
.Lfunc_end14:
	.size	_ZN7rocprim17ROCPRIM_304000_NS6detail31init_lookback_scan_state_kernelINS1_19lookback_scan_stateIaLb0ELb1EEEEEvT_jjPNS5_10value_typeE, .Lfunc_end14-_ZN7rocprim17ROCPRIM_304000_NS6detail31init_lookback_scan_state_kernelINS1_19lookback_scan_stateIaLb0ELb1EEEEEvT_jjPNS5_10value_typeE
                                        ; -- End function
	.section	.AMDGPU.csdata,"",@progbits
; Kernel info:
; codeLenInByte = 316
; NumSgprs: 18
; NumVgprs: 6
; ScratchSize: 0
; MemoryBound: 0
; FloatMode: 240
; IeeeMode: 1
; LDSByteSize: 0 bytes/workgroup (compile time only)
; SGPRBlocks: 2
; VGPRBlocks: 0
; NumSGPRsForWavesPerEU: 18
; NumVGPRsForWavesPerEU: 6
; Occupancy: 16
; WaveLimiterHint : 0
; COMPUTE_PGM_RSRC2:SCRATCH_EN: 0
; COMPUTE_PGM_RSRC2:USER_SGPR: 15
; COMPUTE_PGM_RSRC2:TRAP_HANDLER: 0
; COMPUTE_PGM_RSRC2:TGID_X_EN: 1
; COMPUTE_PGM_RSRC2:TGID_Y_EN: 0
; COMPUTE_PGM_RSRC2:TGID_Z_EN: 0
; COMPUTE_PGM_RSRC2:TIDIG_COMP_CNT: 0
	.section	.text._ZN7rocprim17ROCPRIM_304000_NS6detail20lookback_scan_kernelILNS1_25lookback_scan_determinismE0ELb0ENS1_19wrapped_scan_configINS0_14default_configEaEEPKaPaSt4plusIaEaaNS1_19lookback_scan_stateIaLb1ELb1EEEEEvT2_T3_mT5_T4_T7_jPT6_SK_bb,"axG",@progbits,_ZN7rocprim17ROCPRIM_304000_NS6detail20lookback_scan_kernelILNS1_25lookback_scan_determinismE0ELb0ENS1_19wrapped_scan_configINS0_14default_configEaEEPKaPaSt4plusIaEaaNS1_19lookback_scan_stateIaLb1ELb1EEEEEvT2_T3_mT5_T4_T7_jPT6_SK_bb,comdat
	.protected	_ZN7rocprim17ROCPRIM_304000_NS6detail20lookback_scan_kernelILNS1_25lookback_scan_determinismE0ELb0ENS1_19wrapped_scan_configINS0_14default_configEaEEPKaPaSt4plusIaEaaNS1_19lookback_scan_stateIaLb1ELb1EEEEEvT2_T3_mT5_T4_T7_jPT6_SK_bb ; -- Begin function _ZN7rocprim17ROCPRIM_304000_NS6detail20lookback_scan_kernelILNS1_25lookback_scan_determinismE0ELb0ENS1_19wrapped_scan_configINS0_14default_configEaEEPKaPaSt4plusIaEaaNS1_19lookback_scan_stateIaLb1ELb1EEEEEvT2_T3_mT5_T4_T7_jPT6_SK_bb
	.globl	_ZN7rocprim17ROCPRIM_304000_NS6detail20lookback_scan_kernelILNS1_25lookback_scan_determinismE0ELb0ENS1_19wrapped_scan_configINS0_14default_configEaEEPKaPaSt4plusIaEaaNS1_19lookback_scan_stateIaLb1ELb1EEEEEvT2_T3_mT5_T4_T7_jPT6_SK_bb
	.p2align	8
	.type	_ZN7rocprim17ROCPRIM_304000_NS6detail20lookback_scan_kernelILNS1_25lookback_scan_determinismE0ELb0ENS1_19wrapped_scan_configINS0_14default_configEaEEPKaPaSt4plusIaEaaNS1_19lookback_scan_stateIaLb1ELb1EEEEEvT2_T3_mT5_T4_T7_jPT6_SK_bb,@function
_ZN7rocprim17ROCPRIM_304000_NS6detail20lookback_scan_kernelILNS1_25lookback_scan_determinismE0ELb0ENS1_19wrapped_scan_configINS0_14default_configEaEEPKaPaSt4plusIaEaaNS1_19lookback_scan_stateIaLb1ELb1EEEEEvT2_T3_mT5_T4_T7_jPT6_SK_bb: ; @_ZN7rocprim17ROCPRIM_304000_NS6detail20lookback_scan_kernelILNS1_25lookback_scan_determinismE0ELb0ENS1_19wrapped_scan_configINS0_14default_configEaEEPKaPaSt4plusIaEaaNS1_19lookback_scan_stateIaLb1ELb1EEEEEvT2_T3_mT5_T4_T7_jPT6_SK_bb
; %bb.0:
	s_endpgm
	.section	.rodata,"a",@progbits
	.p2align	6, 0x0
	.amdhsa_kernel _ZN7rocprim17ROCPRIM_304000_NS6detail20lookback_scan_kernelILNS1_25lookback_scan_determinismE0ELb0ENS1_19wrapped_scan_configINS0_14default_configEaEEPKaPaSt4plusIaEaaNS1_19lookback_scan_stateIaLb1ELb1EEEEEvT2_T3_mT5_T4_T7_jPT6_SK_bb
		.amdhsa_group_segment_fixed_size 0
		.amdhsa_private_segment_fixed_size 0
		.amdhsa_kernarg_size 68
		.amdhsa_user_sgpr_count 15
		.amdhsa_user_sgpr_dispatch_ptr 0
		.amdhsa_user_sgpr_queue_ptr 0
		.amdhsa_user_sgpr_kernarg_segment_ptr 1
		.amdhsa_user_sgpr_dispatch_id 0
		.amdhsa_user_sgpr_private_segment_size 0
		.amdhsa_wavefront_size32 1
		.amdhsa_uses_dynamic_stack 0
		.amdhsa_enable_private_segment 0
		.amdhsa_system_sgpr_workgroup_id_x 1
		.amdhsa_system_sgpr_workgroup_id_y 0
		.amdhsa_system_sgpr_workgroup_id_z 0
		.amdhsa_system_sgpr_workgroup_info 0
		.amdhsa_system_vgpr_workitem_id 0
		.amdhsa_next_free_vgpr 1
		.amdhsa_next_free_sgpr 1
		.amdhsa_reserve_vcc 0
		.amdhsa_float_round_mode_32 0
		.amdhsa_float_round_mode_16_64 0
		.amdhsa_float_denorm_mode_32 3
		.amdhsa_float_denorm_mode_16_64 3
		.amdhsa_dx10_clamp 1
		.amdhsa_ieee_mode 1
		.amdhsa_fp16_overflow 0
		.amdhsa_workgroup_processor_mode 1
		.amdhsa_memory_ordered 1
		.amdhsa_forward_progress 0
		.amdhsa_shared_vgpr_count 0
		.amdhsa_exception_fp_ieee_invalid_op 0
		.amdhsa_exception_fp_denorm_src 0
		.amdhsa_exception_fp_ieee_div_zero 0
		.amdhsa_exception_fp_ieee_overflow 0
		.amdhsa_exception_fp_ieee_underflow 0
		.amdhsa_exception_fp_ieee_inexact 0
		.amdhsa_exception_int_div_zero 0
	.end_amdhsa_kernel
	.section	.text._ZN7rocprim17ROCPRIM_304000_NS6detail20lookback_scan_kernelILNS1_25lookback_scan_determinismE0ELb0ENS1_19wrapped_scan_configINS0_14default_configEaEEPKaPaSt4plusIaEaaNS1_19lookback_scan_stateIaLb1ELb1EEEEEvT2_T3_mT5_T4_T7_jPT6_SK_bb,"axG",@progbits,_ZN7rocprim17ROCPRIM_304000_NS6detail20lookback_scan_kernelILNS1_25lookback_scan_determinismE0ELb0ENS1_19wrapped_scan_configINS0_14default_configEaEEPKaPaSt4plusIaEaaNS1_19lookback_scan_stateIaLb1ELb1EEEEEvT2_T3_mT5_T4_T7_jPT6_SK_bb,comdat
.Lfunc_end15:
	.size	_ZN7rocprim17ROCPRIM_304000_NS6detail20lookback_scan_kernelILNS1_25lookback_scan_determinismE0ELb0ENS1_19wrapped_scan_configINS0_14default_configEaEEPKaPaSt4plusIaEaaNS1_19lookback_scan_stateIaLb1ELb1EEEEEvT2_T3_mT5_T4_T7_jPT6_SK_bb, .Lfunc_end15-_ZN7rocprim17ROCPRIM_304000_NS6detail20lookback_scan_kernelILNS1_25lookback_scan_determinismE0ELb0ENS1_19wrapped_scan_configINS0_14default_configEaEEPKaPaSt4plusIaEaaNS1_19lookback_scan_stateIaLb1ELb1EEEEEvT2_T3_mT5_T4_T7_jPT6_SK_bb
                                        ; -- End function
	.section	.AMDGPU.csdata,"",@progbits
; Kernel info:
; codeLenInByte = 4
; NumSgprs: 0
; NumVgprs: 0
; ScratchSize: 0
; MemoryBound: 0
; FloatMode: 240
; IeeeMode: 1
; LDSByteSize: 0 bytes/workgroup (compile time only)
; SGPRBlocks: 0
; VGPRBlocks: 0
; NumSGPRsForWavesPerEU: 1
; NumVGPRsForWavesPerEU: 1
; Occupancy: 16
; WaveLimiterHint : 0
; COMPUTE_PGM_RSRC2:SCRATCH_EN: 0
; COMPUTE_PGM_RSRC2:USER_SGPR: 15
; COMPUTE_PGM_RSRC2:TRAP_HANDLER: 0
; COMPUTE_PGM_RSRC2:TGID_X_EN: 1
; COMPUTE_PGM_RSRC2:TGID_Y_EN: 0
; COMPUTE_PGM_RSRC2:TGID_Z_EN: 0
; COMPUTE_PGM_RSRC2:TIDIG_COMP_CNT: 0
	.section	.text._ZN7rocprim17ROCPRIM_304000_NS6detail20lookback_scan_kernelILNS1_25lookback_scan_determinismE0ELb0ENS1_19wrapped_scan_configINS0_14default_configEaEEPKaPaSt4plusIaEaaNS1_19lookback_scan_stateIaLb0ELb1EEEEEvT2_T3_mT5_T4_T7_jPT6_SK_bb,"axG",@progbits,_ZN7rocprim17ROCPRIM_304000_NS6detail20lookback_scan_kernelILNS1_25lookback_scan_determinismE0ELb0ENS1_19wrapped_scan_configINS0_14default_configEaEEPKaPaSt4plusIaEaaNS1_19lookback_scan_stateIaLb0ELb1EEEEEvT2_T3_mT5_T4_T7_jPT6_SK_bb,comdat
	.protected	_ZN7rocprim17ROCPRIM_304000_NS6detail20lookback_scan_kernelILNS1_25lookback_scan_determinismE0ELb0ENS1_19wrapped_scan_configINS0_14default_configEaEEPKaPaSt4plusIaEaaNS1_19lookback_scan_stateIaLb0ELb1EEEEEvT2_T3_mT5_T4_T7_jPT6_SK_bb ; -- Begin function _ZN7rocprim17ROCPRIM_304000_NS6detail20lookback_scan_kernelILNS1_25lookback_scan_determinismE0ELb0ENS1_19wrapped_scan_configINS0_14default_configEaEEPKaPaSt4plusIaEaaNS1_19lookback_scan_stateIaLb0ELb1EEEEEvT2_T3_mT5_T4_T7_jPT6_SK_bb
	.globl	_ZN7rocprim17ROCPRIM_304000_NS6detail20lookback_scan_kernelILNS1_25lookback_scan_determinismE0ELb0ENS1_19wrapped_scan_configINS0_14default_configEaEEPKaPaSt4plusIaEaaNS1_19lookback_scan_stateIaLb0ELb1EEEEEvT2_T3_mT5_T4_T7_jPT6_SK_bb
	.p2align	8
	.type	_ZN7rocprim17ROCPRIM_304000_NS6detail20lookback_scan_kernelILNS1_25lookback_scan_determinismE0ELb0ENS1_19wrapped_scan_configINS0_14default_configEaEEPKaPaSt4plusIaEaaNS1_19lookback_scan_stateIaLb0ELb1EEEEEvT2_T3_mT5_T4_T7_jPT6_SK_bb,@function
_ZN7rocprim17ROCPRIM_304000_NS6detail20lookback_scan_kernelILNS1_25lookback_scan_determinismE0ELb0ENS1_19wrapped_scan_configINS0_14default_configEaEEPKaPaSt4plusIaEaaNS1_19lookback_scan_stateIaLb0ELb1EEEEEvT2_T3_mT5_T4_T7_jPT6_SK_bb: ; @_ZN7rocprim17ROCPRIM_304000_NS6detail20lookback_scan_kernelILNS1_25lookback_scan_determinismE0ELb0ENS1_19wrapped_scan_configINS0_14default_configEaEEPKaPaSt4plusIaEaaNS1_19lookback_scan_stateIaLb0ELb1EEEEEvT2_T3_mT5_T4_T7_jPT6_SK_bb
; %bb.0:
	s_clause 0x2
	s_load_b32 s4, s[0:1], 0x28
	s_load_b64 s[2:3], s[0:1], 0x10
	s_load_b128 s[8:11], s[0:1], 0x0
	s_mul_i32 s16, s15, 0x1800
	s_waitcnt lgkmcnt(0)
	s_add_i32 s4, s4, -1
	s_delay_alu instid0(SALU_CYCLE_1) | instskip(NEXT) | instid1(SALU_CYCLE_1)
	s_mul_i32 s5, s4, 0x1800
	s_sub_u32 s12, s2, s5
	s_subb_u32 s13, s3, 0
	s_cmp_lg_u32 s15, s4
	s_mov_b32 s3, -1
	s_cselect_b32 s14, -1, 0
	s_add_u32 s4, s8, s16
	s_addc_u32 s5, s9, 0
	s_and_b32 vcc_lo, exec_lo, s14
	s_cbranch_vccz .LBB16_2
; %bb.1:
	v_add_co_u32 v1, s2, s4, v0
	s_delay_alu instid0(VALU_DEP_1)
	v_add_co_ci_u32_e64 v2, null, s5, 0, s2
	s_clause 0x7
	global_load_u8 v3, v0, s[4:5]
	global_load_u8 v4, v0, s[4:5] offset:256
	global_load_u8 v5, v0, s[4:5] offset:512
	;; [unrolled: 1-line block ×7, first 2 shown]
	v_add_co_u32 v1, vcc_lo, 0x1000, v1
	v_add_co_ci_u32_e32 v2, vcc_lo, 0, v2, vcc_lo
	s_clause 0xf
	global_load_u8 v11, v0, s[4:5] offset:2048
	global_load_u8 v12, v0, s[4:5] offset:2304
	global_load_u8 v13, v0, s[4:5] offset:2560
	global_load_u8 v14, v0, s[4:5] offset:2816
	global_load_u8 v15, v0, s[4:5] offset:3072
	global_load_u8 v16, v0, s[4:5] offset:3328
	global_load_u8 v17, v0, s[4:5] offset:3584
	global_load_u8 v18, v0, s[4:5] offset:3840
	global_load_u8 v19, v[1:2], off
	global_load_u8 v20, v[1:2], off offset:256
	global_load_u8 v21, v[1:2], off offset:512
	;; [unrolled: 1-line block ×7, first 2 shown]
	s_mov_b32 s3, 0
	s_waitcnt vmcnt(23)
	ds_store_b8 v0, v3
	s_waitcnt vmcnt(22)
	ds_store_b8 v0, v4 offset:256
	s_waitcnt vmcnt(21)
	ds_store_b8 v0, v5 offset:512
	;; [unrolled: 2-line block ×23, first 2 shown]
	s_waitcnt lgkmcnt(0)
	s_barrier
.LBB16_2:
	v_cmp_gt_u32_e64 s2, s12, v0
	s_and_not1_b32 vcc_lo, exec_lo, s3
	s_cbranch_vccnz .LBB16_52
; %bb.3:
	v_mov_b32_e32 v1, 0
	global_load_u8 v3, v1, s[4:5]
	v_add_co_u32 v1, s3, s4, v0
	s_delay_alu instid0(VALU_DEP_1)
	v_add_co_ci_u32_e64 v2, null, s5, 0, s3
	s_waitcnt vmcnt(0)
	v_mov_b32_e32 v4, v3
	s_and_saveexec_b32 s3, s2
	s_cbranch_execz .LBB16_5
; %bb.4:
	global_load_u8 v4, v[1:2], off
.LBB16_5:
	s_or_b32 exec_lo, exec_lo, s3
	v_or_b32_e32 v5, 0x100, v0
	s_delay_alu instid0(VALU_DEP_1)
	v_cmp_gt_u32_e32 vcc_lo, s12, v5
	v_mov_b32_e32 v5, v3
	s_and_saveexec_b32 s2, vcc_lo
	s_cbranch_execz .LBB16_7
; %bb.6:
	global_load_u8 v5, v[1:2], off offset:256
.LBB16_7:
	s_or_b32 exec_lo, exec_lo, s2
	v_or_b32_e32 v6, 0x200, v0
	s_delay_alu instid0(VALU_DEP_1)
	v_cmp_gt_u32_e32 vcc_lo, s12, v6
	v_mov_b32_e32 v6, v3
	s_and_saveexec_b32 s2, vcc_lo
	s_cbranch_execz .LBB16_9
; %bb.8:
	global_load_u8 v6, v[1:2], off offset:512
.LBB16_9:
	;; [unrolled: 10-line block ×15, first 2 shown]
	s_or_b32 exec_lo, exec_lo, s2
	v_or_b32_e32 v20, 0x1000, v0
	s_delay_alu instid0(VALU_DEP_1)
	v_cmp_gt_u32_e32 vcc_lo, s12, v20
	v_mov_b32_e32 v20, v3
	s_and_saveexec_b32 s2, vcc_lo
	s_cbranch_execz .LBB16_37
; %bb.36:
	v_add_co_u32 v20, vcc_lo, 0x1000, v1
	v_add_co_ci_u32_e32 v21, vcc_lo, 0, v2, vcc_lo
	global_load_u8 v20, v[20:21], off
.LBB16_37:
	s_or_b32 exec_lo, exec_lo, s2
	v_or_b32_e32 v21, 0x1100, v0
	s_delay_alu instid0(VALU_DEP_1)
	v_cmp_gt_u32_e32 vcc_lo, s12, v21
	v_mov_b32_e32 v21, v3
	s_and_saveexec_b32 s2, vcc_lo
	s_cbranch_execz .LBB16_39
; %bb.38:
	v_add_co_u32 v21, vcc_lo, 0x1000, v1
	v_add_co_ci_u32_e32 v22, vcc_lo, 0, v2, vcc_lo
	global_load_u8 v21, v[21:22], off offset:256
.LBB16_39:
	s_or_b32 exec_lo, exec_lo, s2
	v_or_b32_e32 v22, 0x1200, v0
	s_delay_alu instid0(VALU_DEP_1)
	v_cmp_gt_u32_e32 vcc_lo, s12, v22
	v_mov_b32_e32 v22, v3
	s_and_saveexec_b32 s2, vcc_lo
	s_cbranch_execz .LBB16_41
; %bb.40:
	v_add_co_u32 v22, vcc_lo, 0x1000, v1
	v_add_co_ci_u32_e32 v23, vcc_lo, 0, v2, vcc_lo
	global_load_u8 v22, v[22:23], off offset:512
.LBB16_41:
	;; [unrolled: 12-line block ×6, first 2 shown]
	s_or_b32 exec_lo, exec_lo, s2
	v_or_b32_e32 v27, 0x1700, v0
	s_mov_b32 s2, exec_lo
	s_delay_alu instid0(VALU_DEP_1)
	v_cmpx_gt_u32_e64 s12, v27
	s_cbranch_execz .LBB16_51
; %bb.50:
	v_add_co_u32 v1, vcc_lo, 0x1000, v1
	v_add_co_ci_u32_e32 v2, vcc_lo, 0, v2, vcc_lo
	global_load_u8 v3, v[1:2], off offset:1792
.LBB16_51:
	s_or_b32 exec_lo, exec_lo, s2
	s_waitcnt vmcnt(0)
	ds_store_b8 v0, v4
	ds_store_b8 v0, v5 offset:256
	ds_store_b8 v0, v6 offset:512
	;; [unrolled: 1-line block ×23, first 2 shown]
	s_waitcnt lgkmcnt(0)
	s_barrier
.LBB16_52:
	v_mul_u32_u24_e32 v11, 24, v0
	buffer_gl0_inv
	s_load_b64 s[8:9], s[0:1], 0x20
	v_mbcnt_lo_u32_b32 v30, -1, 0
	v_lshrrev_b32_e32 v31, 5, v0
	ds_load_2addr_b64 v[1:4], v11 offset1:1
	ds_load_b64 v[5:6], v11 offset:16
	v_or_b32_e32 v32, 31, v0
	s_cmp_lg_u32 s15, 0
	s_waitcnt lgkmcnt(0)
	s_barrier
	buffer_gl0_inv
	v_lshrrev_b32_e32 v27, 8, v1
	v_lshrrev_b32_e32 v28, 16, v1
	;; [unrolled: 1-line block ×18, first 2 shown]
	s_cbranch_scc0 .LBB16_78
; %bb.53:
	v_add_nc_u16 v7, v27, v1
	s_mov_b32 s2, exec_lo
	s_delay_alu instid0(VALU_DEP_1) | instskip(NEXT) | instid1(VALU_DEP_1)
	v_add_nc_u16 v7, v7, v28
	v_add_nc_u16 v7, v7, v29
	s_delay_alu instid0(VALU_DEP_1) | instskip(NEXT) | instid1(VALU_DEP_1)
	v_add_nc_u16 v7, v7, v2
	v_add_nc_u16 v7, v7, v24
	;; [unrolled: 3-line block ×11, first 2 shown]
	s_delay_alu instid0(VALU_DEP_1) | instskip(NEXT) | instid1(VALU_DEP_1)
	v_and_b32_e32 v8, 0xff, v7
	v_mov_b32_dpp v8, v8 row_shr:1 row_mask:0xf bank_mask:0xf
	v_and_b32_e32 v9, 15, v30
	s_delay_alu instid0(VALU_DEP_1) | instskip(NEXT) | instid1(VALU_DEP_3)
	v_cmp_ne_u32_e32 vcc_lo, 0, v9
	v_cndmask_b32_e32 v8, 0, v8, vcc_lo
	v_cmp_lt_u32_e32 vcc_lo, 1, v9
	s_delay_alu instid0(VALU_DEP_2) | instskip(NEXT) | instid1(VALU_DEP_1)
	v_add_nc_u16 v7, v8, v7
	v_and_b32_e32 v8, 0xff, v7
	s_delay_alu instid0(VALU_DEP_1) | instskip(NEXT) | instid1(VALU_DEP_1)
	v_mov_b32_dpp v8, v8 row_shr:2 row_mask:0xf bank_mask:0xf
	v_cndmask_b32_e32 v8, 0, v8, vcc_lo
	v_cmp_lt_u32_e32 vcc_lo, 3, v9
	s_delay_alu instid0(VALU_DEP_2) | instskip(NEXT) | instid1(VALU_DEP_1)
	v_add_nc_u16 v7, v7, v8
	v_and_b32_e32 v8, 0xff, v7
	s_delay_alu instid0(VALU_DEP_1) | instskip(NEXT) | instid1(VALU_DEP_1)
	v_mov_b32_dpp v8, v8 row_shr:4 row_mask:0xf bank_mask:0xf
	v_cndmask_b32_e32 v8, 0, v8, vcc_lo
	v_cmp_lt_u32_e32 vcc_lo, 7, v9
	v_and_b32_e32 v9, 16, v30
	s_delay_alu instid0(VALU_DEP_3) | instskip(NEXT) | instid1(VALU_DEP_1)
	v_add_nc_u16 v7, v7, v8
	v_and_b32_e32 v8, 0xff, v7
	s_delay_alu instid0(VALU_DEP_1) | instskip(NEXT) | instid1(VALU_DEP_1)
	v_mov_b32_dpp v8, v8 row_shr:8 row_mask:0xf bank_mask:0xf
	v_cndmask_b32_e32 v8, 0, v8, vcc_lo
	v_cmp_ne_u32_e32 vcc_lo, 0, v9
	s_delay_alu instid0(VALU_DEP_2) | instskip(NEXT) | instid1(VALU_DEP_1)
	v_add_nc_u16 v7, v7, v8
	v_and_b32_e32 v8, 0xff, v7
	ds_swizzle_b32 v8, v8 offset:swizzle(BROADCAST,32,15)
	s_waitcnt lgkmcnt(0)
	v_cndmask_b32_e32 v8, 0, v8, vcc_lo
	s_delay_alu instid0(VALU_DEP_1)
	v_add_nc_u16 v7, v7, v8
	v_cmpx_eq_u32_e64 v32, v0
	s_cbranch_execz .LBB16_55
; %bb.54:
	ds_store_b8 v31, v7
.LBB16_55:
	s_or_b32 exec_lo, exec_lo, s2
	s_delay_alu instid0(SALU_CYCLE_1)
	s_mov_b32 s2, exec_lo
	s_waitcnt lgkmcnt(0)
	s_barrier
	buffer_gl0_inv
	v_cmpx_gt_u32_e32 8, v0
	s_cbranch_execz .LBB16_57
; %bb.56:
	ds_load_u8 v8, v0
	s_waitcnt lgkmcnt(0)
	v_and_b32_e32 v9, 0xff, v8
	s_delay_alu instid0(VALU_DEP_1) | instskip(SKIP_1) | instid1(VALU_DEP_1)
	v_mov_b32_dpp v9, v9 row_shr:1 row_mask:0xf bank_mask:0xf
	v_and_b32_e32 v10, 7, v30
	v_cmp_ne_u32_e32 vcc_lo, 0, v10
	s_delay_alu instid0(VALU_DEP_3) | instskip(SKIP_1) | instid1(VALU_DEP_2)
	v_cndmask_b32_e32 v9, 0, v9, vcc_lo
	v_cmp_lt_u32_e32 vcc_lo, 1, v10
	v_add_nc_u16 v8, v9, v8
	s_delay_alu instid0(VALU_DEP_1) | instskip(NEXT) | instid1(VALU_DEP_1)
	v_and_b32_e32 v9, 0xff, v8
	v_mov_b32_dpp v9, v9 row_shr:2 row_mask:0xf bank_mask:0xf
	s_delay_alu instid0(VALU_DEP_1) | instskip(SKIP_1) | instid1(VALU_DEP_2)
	v_cndmask_b32_e32 v9, 0, v9, vcc_lo
	v_cmp_lt_u32_e32 vcc_lo, 3, v10
	v_add_nc_u16 v8, v8, v9
	s_delay_alu instid0(VALU_DEP_1) | instskip(NEXT) | instid1(VALU_DEP_1)
	v_and_b32_e32 v9, 0xff, v8
	v_mov_b32_dpp v9, v9 row_shr:4 row_mask:0xf bank_mask:0xf
	s_delay_alu instid0(VALU_DEP_1) | instskip(NEXT) | instid1(VALU_DEP_1)
	v_cndmask_b32_e32 v9, 0, v9, vcc_lo
	v_add_nc_u16 v8, v8, v9
	ds_store_b8 v0, v8
.LBB16_57:
	s_or_b32 exec_lo, exec_lo, s2
	v_cmp_gt_u32_e32 vcc_lo, 32, v0
	s_mov_b32 s3, exec_lo
	s_waitcnt lgkmcnt(0)
	s_barrier
	buffer_gl0_inv
                                        ; implicit-def: $vgpr33
	v_cmpx_lt_u32_e32 31, v0
	s_cbranch_execz .LBB16_59
; %bb.58:
	v_add_nc_u32_e32 v8, -1, v31
	ds_load_u8 v33, v8
	s_waitcnt lgkmcnt(0)
	v_add_nc_u16 v7, v33, v7
.LBB16_59:
	s_or_b32 exec_lo, exec_lo, s3
	v_add_nc_u32_e32 v8, -1, v30
	s_delay_alu instid0(VALU_DEP_2) | instskip(NEXT) | instid1(VALU_DEP_2)
	v_and_b32_e32 v7, 0xff, v7
	v_cmp_gt_i32_e64 s2, 0, v8
	s_delay_alu instid0(VALU_DEP_1) | instskip(SKIP_1) | instid1(VALU_DEP_2)
	v_cndmask_b32_e64 v8, v8, v30, s2
	v_cmp_eq_u32_e64 s2, 0, v30
	v_lshlrev_b32_e32 v8, 2, v8
	ds_bpermute_b32 v34, v8, v7
	s_and_saveexec_b32 s7, vcc_lo
	s_cbranch_execz .LBB16_77
; %bb.60:
	v_mov_b32_e32 v9, 0
	ds_load_u8 v35, v9 offset:7
	s_and_saveexec_b32 s3, s2
	s_cbranch_execz .LBB16_62
; %bb.61:
	s_waitcnt lgkmcnt(0)
	v_and_b32_e32 v7, 0xff, v35
	s_add_i32 s4, s15, 32
	s_mov_b32 s5, 0
	s_delay_alu instid0(SALU_CYCLE_1) | instskip(NEXT) | instid1(VALU_DEP_1)
	s_lshl_b64 s[4:5], s[4:5], 1
	v_or_b32_e32 v7, 0x100, v7
	s_add_u32 s4, s8, s4
	s_addc_u32 s5, s9, s5
	global_store_b16 v9, v7, s[4:5]
.LBB16_62:
	s_or_b32 exec_lo, exec_lo, s3
	v_xad_u32 v7, v30, -1, s15
	s_mov_b32 s4, 0
	s_mov_b32 s3, exec_lo
	s_delay_alu instid0(VALU_DEP_1) | instskip(NEXT) | instid1(VALU_DEP_1)
	v_add_nc_u32_e32 v8, 32, v7
	v_lshlrev_b64 v[8:9], 1, v[8:9]
	s_delay_alu instid0(VALU_DEP_1) | instskip(NEXT) | instid1(VALU_DEP_2)
	v_add_co_u32 v8, vcc_lo, s8, v8
	v_add_co_ci_u32_e32 v9, vcc_lo, s9, v9, vcc_lo
	global_load_u16 v10, v[8:9], off glc
	s_waitcnt vmcnt(0)
	v_lshrrev_b16 v36, 8, v10
	s_delay_alu instid0(VALU_DEP_1)
	v_cmpx_eq_u16_e32 0, v36
	s_cbranch_execz .LBB16_65
.LBB16_63:                              ; =>This Inner Loop Header: Depth=1
	global_load_u16 v10, v[8:9], off glc
	s_waitcnt vmcnt(0)
	v_lshrrev_b16 v36, 8, v10
	s_delay_alu instid0(VALU_DEP_1) | instskip(SKIP_1) | instid1(SALU_CYCLE_1)
	v_cmp_ne_u16_e32 vcc_lo, 0, v36
	s_or_b32 s4, vcc_lo, s4
	s_and_not1_b32 exec_lo, exec_lo, s4
	s_cbranch_execnz .LBB16_63
; %bb.64:
	s_or_b32 exec_lo, exec_lo, s4
.LBB16_65:
	s_delay_alu instid0(SALU_CYCLE_1)
	s_or_b32 exec_lo, exec_lo, s3
	v_cmp_ne_u32_e32 vcc_lo, 31, v30
	v_lshlrev_b32_e64 v38, v30, -1
	v_add_nc_u32_e32 v39, 1, v30
	v_cmp_gt_u32_e64 s3, 30, v30
	v_cmp_gt_u32_e64 s4, 24, v30
	v_add_co_ci_u32_e32 v8, vcc_lo, 0, v30, vcc_lo
	v_cmp_eq_u16_e32 vcc_lo, 2, v36
	s_delay_alu instid0(VALU_DEP_4) | instskip(SKIP_1) | instid1(VALU_DEP_4)
	v_cndmask_b32_e64 v40, 0, 1, s3
	v_cmp_gt_u32_e64 s3, 28, v30
	v_lshlrev_b32_e32 v37, 2, v8
	v_cmp_gt_u32_e64 s5, 16, v30
	v_and_or_b32 v41, vcc_lo, v38, 0x80000000
	s_delay_alu instid0(VALU_DEP_4) | instskip(NEXT) | instid1(VALU_DEP_2)
	v_cndmask_b32_e64 v42, 0, 1, s3
	v_ctz_i32_b32_e32 v45, v41
	s_delay_alu instid0(VALU_DEP_2) | instskip(NEXT) | instid1(VALU_DEP_2)
	v_lshlrev_b32_e32 v42, 2, v42
	v_cmp_le_u32_e32 vcc_lo, v39, v45
	v_and_b32_e32 v9, 0xff, v10
	s_delay_alu instid0(VALU_DEP_3) | instskip(SKIP_3) | instid1(VALU_DEP_1)
	v_add_lshl_u32 v42, v42, v30, 2
	ds_bpermute_b32 v8, v37, v9
	s_waitcnt lgkmcnt(0)
	v_add_nc_u16 v8, v10, v8
	v_and_b32_e32 v41, 0xff, v8
	v_cndmask_b32_e32 v8, v10, v8, vcc_lo
	s_delay_alu instid0(VALU_DEP_2) | instskip(NEXT) | instid1(VALU_DEP_1)
	v_dual_cndmask_b32 v9, v9, v41 :: v_dual_lshlrev_b32 v40, 1, v40
	v_add_lshl_u32 v40, v40, v30, 2
	ds_bpermute_b32 v41, v40, v9
	s_waitcnt lgkmcnt(0)
	v_add_nc_u16 v43, v8, v41
	v_add_nc_u32_e32 v41, 2, v30
	s_delay_alu instid0(VALU_DEP_2) | instskip(NEXT) | instid1(VALU_DEP_2)
	v_and_b32_e32 v44, 0xff, v43
	v_cmp_le_u32_e64 s3, v41, v45
	s_delay_alu instid0(VALU_DEP_1)
	v_cndmask_b32_e64 v9, v9, v44, s3
	v_cndmask_b32_e64 v8, v8, v43, s3
	;; [unrolled: 1-line block ×3, first 2 shown]
	s_or_b32 s3, vcc_lo, s3
	ds_bpermute_b32 v44, v42, v9
	s_waitcnt lgkmcnt(0)
	v_add_nc_u16 v46, v8, v44
	v_lshlrev_b32_e32 v44, 3, v43
	v_add_nc_u32_e32 v43, 4, v30
	s_delay_alu instid0(VALU_DEP_3) | instskip(NEXT) | instid1(VALU_DEP_3)
	v_and_b32_e32 v47, 0xff, v46
	v_add_lshl_u32 v44, v44, v30, 2
	s_delay_alu instid0(VALU_DEP_3) | instskip(NEXT) | instid1(VALU_DEP_1)
	v_cmp_le_u32_e64 s4, v43, v45
	v_cndmask_b32_e64 v9, v9, v47, s4
	v_cndmask_b32_e64 v8, v8, v46, s4
	;; [unrolled: 1-line block ×3, first 2 shown]
	s_or_b32 s3, s4, s3
	ds_bpermute_b32 v47, v44, v9
	s_waitcnt lgkmcnt(0)
	v_add_nc_u16 v49, v8, v47
	v_lshlrev_b32_e32 v47, 4, v46
	v_add_nc_u32_e32 v46, 8, v30
	s_delay_alu instid0(VALU_DEP_3) | instskip(NEXT) | instid1(VALU_DEP_3)
	v_and_b32_e32 v48, 0xff, v49
	v_add_lshl_u32 v47, v47, v30, 2
	s_delay_alu instid0(VALU_DEP_3) | instskip(NEXT) | instid1(VALU_DEP_1)
	v_cmp_le_u32_e64 s5, v46, v45
	v_cndmask_b32_e64 v9, v9, v48, s5
	v_add_nc_u32_e32 v48, 16, v30
	v_cndmask_b32_e64 v8, v8, v49, s5
	s_or_b32 s3, s5, s3
	ds_bpermute_b32 v9, v47, v9
	v_cmp_le_u32_e64 s6, v48, v45
	s_delay_alu instid0(VALU_DEP_1) | instskip(SKIP_2) | instid1(VALU_DEP_1)
	s_or_b32 vcc_lo, s6, s3
	s_waitcnt lgkmcnt(0)
	v_cndmask_b32_e64 v9, 0, v9, s6
	v_add_nc_u16 v8, v8, v9
	s_delay_alu instid0(VALU_DEP_1)
	v_dual_cndmask_b32 v9, v10, v8 :: v_dual_mov_b32 v8, 0
	s_branch .LBB16_67
.LBB16_66:                              ;   in Loop: Header=BB16_67 Depth=1
	s_or_b32 exec_lo, exec_lo, s3
	v_cmp_eq_u16_e32 vcc_lo, 2, v36
	v_subrev_nc_u32_e32 v7, 32, v7
	v_and_or_b32 v50, vcc_lo, v38, 0x80000000
	s_delay_alu instid0(VALU_DEP_1) | instskip(NEXT) | instid1(VALU_DEP_1)
	v_ctz_i32_b32_e32 v50, v50
	v_cmp_le_u32_e32 vcc_lo, v39, v50
	v_and_b32_e32 v9, 0xff, v49
	v_cmp_le_u32_e64 s3, v41, v50
	v_cmp_le_u32_e64 s4, v43, v50
	;; [unrolled: 1-line block ×4, first 2 shown]
	ds_bpermute_b32 v10, v37, v9
	s_waitcnt lgkmcnt(0)
	v_add_nc_u16 v10, v49, v10
	s_delay_alu instid0(VALU_DEP_1) | instskip(SKIP_1) | instid1(VALU_DEP_2)
	v_and_b32_e32 v51, 0xff, v10
	v_cndmask_b32_e32 v10, v49, v10, vcc_lo
	v_cndmask_b32_e32 v9, v9, v51, vcc_lo
	ds_bpermute_b32 v51, v40, v9
	s_waitcnt lgkmcnt(0)
	v_add_nc_u16 v51, v10, v51
	s_delay_alu instid0(VALU_DEP_1) | instskip(SKIP_1) | instid1(VALU_DEP_2)
	v_and_b32_e32 v52, 0xff, v51
	v_cndmask_b32_e64 v10, v10, v51, s3
	v_cndmask_b32_e64 v9, v9, v52, s3
	s_or_b32 s3, vcc_lo, s3
	s_delay_alu instid0(SALU_CYCLE_1) | instskip(SKIP_2) | instid1(SALU_CYCLE_1)
	s_or_b32 s3, s4, s3
	ds_bpermute_b32 v52, v42, v9
	s_or_b32 s3, s5, s3
	s_or_b32 vcc_lo, s6, s3
	s_waitcnt lgkmcnt(0)
	v_add_nc_u16 v51, v10, v52
	s_delay_alu instid0(VALU_DEP_1) | instskip(SKIP_1) | instid1(VALU_DEP_2)
	v_and_b32_e32 v52, 0xff, v51
	v_cndmask_b32_e64 v10, v10, v51, s4
	v_cndmask_b32_e64 v9, v9, v52, s4
	ds_bpermute_b32 v52, v44, v9
	s_waitcnt lgkmcnt(0)
	v_add_nc_u16 v51, v10, v52
	s_delay_alu instid0(VALU_DEP_1) | instskip(SKIP_1) | instid1(VALU_DEP_2)
	v_and_b32_e32 v52, 0xff, v51
	v_cndmask_b32_e64 v10, v10, v51, s5
	v_cndmask_b32_e64 v9, v9, v52, s5
	ds_bpermute_b32 v9, v47, v9
	s_waitcnt lgkmcnt(0)
	v_cndmask_b32_e64 v9, 0, v9, s6
	s_delay_alu instid0(VALU_DEP_1) | instskip(NEXT) | instid1(VALU_DEP_1)
	v_add_nc_u16 v9, v10, v9
	v_cndmask_b32_e32 v9, v49, v9, vcc_lo
	s_delay_alu instid0(VALU_DEP_1)
	v_add_nc_u16 v9, v9, v45
.LBB16_67:                              ; =>This Loop Header: Depth=1
                                        ;     Child Loop BB16_70 Depth 2
	s_delay_alu instid0(VALU_DEP_1) | instskip(NEXT) | instid1(VALU_DEP_1)
	v_dual_mov_b32 v45, v9 :: v_dual_and_b32 v10, 0xff, v36
	v_cmp_ne_u16_e32 vcc_lo, 2, v10
	v_cndmask_b32_e64 v10, 0, 1, vcc_lo
	;;#ASMSTART
	;;#ASMEND
	s_delay_alu instid0(VALU_DEP_1)
	v_cmp_ne_u32_e32 vcc_lo, 0, v10
	s_cmp_lg_u32 vcc_lo, exec_lo
	s_cbranch_scc1 .LBB16_72
; %bb.68:                               ;   in Loop: Header=BB16_67 Depth=1
	v_lshlrev_b64 v[9:10], 1, v[7:8]
	s_mov_b32 s3, exec_lo
	s_delay_alu instid0(VALU_DEP_1) | instskip(NEXT) | instid1(VALU_DEP_2)
	v_add_co_u32 v9, vcc_lo, s8, v9
	v_add_co_ci_u32_e32 v10, vcc_lo, s9, v10, vcc_lo
	global_load_u16 v49, v[9:10], off glc
	s_waitcnt vmcnt(0)
	v_lshrrev_b16 v36, 8, v49
	s_delay_alu instid0(VALU_DEP_1)
	v_cmpx_eq_u16_e32 0, v36
	s_cbranch_execz .LBB16_66
; %bb.69:                               ;   in Loop: Header=BB16_67 Depth=1
	s_mov_b32 s4, 0
.LBB16_70:                              ;   Parent Loop BB16_67 Depth=1
                                        ; =>  This Inner Loop Header: Depth=2
	global_load_u16 v49, v[9:10], off glc
	s_waitcnt vmcnt(0)
	v_lshrrev_b16 v36, 8, v49
	s_delay_alu instid0(VALU_DEP_1) | instskip(SKIP_1) | instid1(SALU_CYCLE_1)
	v_cmp_ne_u16_e32 vcc_lo, 0, v36
	s_or_b32 s4, vcc_lo, s4
	s_and_not1_b32 exec_lo, exec_lo, s4
	s_cbranch_execnz .LBB16_70
; %bb.71:                               ;   in Loop: Header=BB16_67 Depth=1
	s_or_b32 exec_lo, exec_lo, s4
	s_branch .LBB16_66
.LBB16_72:                              ;   in Loop: Header=BB16_67 Depth=1
                                        ; implicit-def: $vgpr9
                                        ; implicit-def: $vgpr36
	s_cbranch_execz .LBB16_67
; %bb.73:
	s_and_saveexec_b32 s3, s2
	s_cbranch_execz .LBB16_75
; %bb.74:
	v_add_nc_u16 v7, v45, v35
	s_add_i32 s4, s15, 32
	s_mov_b32 s5, 0
	v_mov_b32_e32 v8, 0
	s_lshl_b64 s[4:5], s[4:5], 1
	v_and_b32_e32 v7, 0xff, v7
	s_add_u32 s4, s8, s4
	s_addc_u32 s5, s9, s5
	s_delay_alu instid0(VALU_DEP_1)
	v_or_b32_e32 v7, 0x200, v7
	global_store_b16 v8, v7, s[4:5]
.LBB16_75:
	s_or_b32 exec_lo, exec_lo, s3
	v_cmp_eq_u32_e32 vcc_lo, 0, v0
	s_and_b32 exec_lo, exec_lo, vcc_lo
	s_cbranch_execz .LBB16_77
; %bb.76:
	v_mov_b32_e32 v7, 0
	ds_store_b8 v7, v45 offset:7
.LBB16_77:
	s_or_b32 exec_lo, exec_lo, s7
	s_waitcnt lgkmcnt(0)
	v_cndmask_b32_e64 v8, v34, v33, s2
	v_cmp_ne_u32_e32 vcc_lo, 0, v0
	v_mov_b32_e32 v7, 0
	s_waitcnt_vscnt null, 0x0
	s_barrier
	buffer_gl0_inv
	v_cndmask_b32_e32 v8, 0, v8, vcc_lo
	ds_load_u8 v7, v7 offset:7
	v_add_nc_u16 v8, v8, v1
	s_waitcnt lgkmcnt(0)
	s_delay_alu instid0(VALU_DEP_1)
	v_add_nc_u16 v7, v8, v7
	s_load_b128 s[4:7], s[0:1], 0x30
	s_branch .LBB16_90
.LBB16_78:
                                        ; implicit-def: $vgpr7
	s_load_b128 s[4:7], s[0:1], 0x30
	s_cbranch_execz .LBB16_90
; %bb.79:
	s_load_b32 s2, s[0:1], 0x40
	v_cmp_eq_u32_e32 vcc_lo, 0, v0
	s_waitcnt lgkmcnt(0)
	s_bitcmp1_b32 s2, 0
	s_cselect_b32 s2, -1, 0
	s_delay_alu instid0(SALU_CYCLE_1) | instskip(NEXT) | instid1(SALU_CYCLE_1)
	s_and_b32 s3, vcc_lo, s2
	s_and_saveexec_b32 s2, s3
	s_cbranch_execz .LBB16_81
; %bb.80:
	v_mov_b32_e32 v7, 0
	global_load_u8 v7, v7, s[4:5]
	s_waitcnt vmcnt(0)
	v_add_nc_u16 v1, v7, v1
.LBB16_81:
	s_or_b32 exec_lo, exec_lo, s2
	v_add_nc_u16 v7, v28, v27
	v_and_b32_e32 v9, 15, v30
	s_mov_b32 s3, exec_lo
	s_delay_alu instid0(VALU_DEP_2) | instskip(NEXT) | instid1(VALU_DEP_2)
	v_add_nc_u16 v7, v7, v29
	v_cmp_ne_u32_e64 s2, 0, v9
	s_delay_alu instid0(VALU_DEP_2) | instskip(NEXT) | instid1(VALU_DEP_1)
	v_add_nc_u16 v7, v7, v2
	v_add_nc_u16 v7, v7, v24
	s_delay_alu instid0(VALU_DEP_1) | instskip(NEXT) | instid1(VALU_DEP_1)
	v_add_nc_u16 v7, v7, v25
	v_add_nc_u16 v7, v7, v26
	s_delay_alu instid0(VALU_DEP_1) | instskip(NEXT) | instid1(VALU_DEP_1)
	;; [unrolled: 3-line block ×10, first 2 shown]
	v_add_nc_u16 v7, v7, v1
	v_and_b32_e32 v8, 0xff, v7
	s_delay_alu instid0(VALU_DEP_1) | instskip(NEXT) | instid1(VALU_DEP_1)
	v_mov_b32_dpp v8, v8 row_shr:1 row_mask:0xf bank_mask:0xf
	v_cndmask_b32_e64 v8, 0, v8, s2
	v_cmp_lt_u32_e64 s2, 1, v9
	s_delay_alu instid0(VALU_DEP_2) | instskip(NEXT) | instid1(VALU_DEP_1)
	v_add_nc_u16 v7, v7, v8
	v_and_b32_e32 v8, 0xff, v7
	s_delay_alu instid0(VALU_DEP_1) | instskip(NEXT) | instid1(VALU_DEP_1)
	v_mov_b32_dpp v8, v8 row_shr:2 row_mask:0xf bank_mask:0xf
	v_cndmask_b32_e64 v8, 0, v8, s2
	v_cmp_lt_u32_e64 s2, 3, v9
	s_delay_alu instid0(VALU_DEP_2) | instskip(NEXT) | instid1(VALU_DEP_1)
	v_add_nc_u16 v7, v7, v8
	v_and_b32_e32 v8, 0xff, v7
	s_delay_alu instid0(VALU_DEP_1) | instskip(NEXT) | instid1(VALU_DEP_1)
	v_mov_b32_dpp v8, v8 row_shr:4 row_mask:0xf bank_mask:0xf
	v_cndmask_b32_e64 v8, 0, v8, s2
	v_cmp_lt_u32_e64 s2, 7, v9
	v_and_b32_e32 v9, 16, v30
	s_delay_alu instid0(VALU_DEP_3) | instskip(NEXT) | instid1(VALU_DEP_1)
	v_add_nc_u16 v7, v7, v8
	v_and_b32_e32 v8, 0xff, v7
	s_delay_alu instid0(VALU_DEP_1) | instskip(NEXT) | instid1(VALU_DEP_1)
	v_mov_b32_dpp v8, v8 row_shr:8 row_mask:0xf bank_mask:0xf
	v_cndmask_b32_e64 v8, 0, v8, s2
	v_cmp_ne_u32_e64 s2, 0, v9
	s_delay_alu instid0(VALU_DEP_2) | instskip(NEXT) | instid1(VALU_DEP_1)
	v_add_nc_u16 v7, v7, v8
	v_and_b32_e32 v8, 0xff, v7
	ds_swizzle_b32 v8, v8 offset:swizzle(BROADCAST,32,15)
	s_waitcnt lgkmcnt(0)
	v_cndmask_b32_e64 v8, 0, v8, s2
	s_delay_alu instid0(VALU_DEP_1)
	v_add_nc_u16 v7, v7, v8
	v_cmpx_eq_u32_e64 v32, v0
	s_cbranch_execz .LBB16_83
; %bb.82:
	ds_store_b8 v31, v7
.LBB16_83:
	s_or_b32 exec_lo, exec_lo, s3
	s_delay_alu instid0(SALU_CYCLE_1)
	s_mov_b32 s3, exec_lo
	s_waitcnt lgkmcnt(0)
	s_barrier
	buffer_gl0_inv
	v_cmpx_gt_u32_e32 8, v0
	s_cbranch_execz .LBB16_85
; %bb.84:
	ds_load_u8 v8, v0
	v_and_b32_e32 v10, 7, v30
	s_delay_alu instid0(VALU_DEP_1) | instskip(SKIP_2) | instid1(VALU_DEP_1)
	v_cmp_ne_u32_e64 s2, 0, v10
	s_waitcnt lgkmcnt(0)
	v_and_b32_e32 v9, 0xff, v8
	v_mov_b32_dpp v9, v9 row_shr:1 row_mask:0xf bank_mask:0xf
	s_delay_alu instid0(VALU_DEP_1) | instskip(SKIP_1) | instid1(VALU_DEP_2)
	v_cndmask_b32_e64 v9, 0, v9, s2
	v_cmp_lt_u32_e64 s2, 1, v10
	v_add_nc_u16 v8, v9, v8
	s_delay_alu instid0(VALU_DEP_1) | instskip(NEXT) | instid1(VALU_DEP_1)
	v_and_b32_e32 v9, 0xff, v8
	v_mov_b32_dpp v9, v9 row_shr:2 row_mask:0xf bank_mask:0xf
	s_delay_alu instid0(VALU_DEP_1) | instskip(SKIP_1) | instid1(VALU_DEP_2)
	v_cndmask_b32_e64 v9, 0, v9, s2
	v_cmp_lt_u32_e64 s2, 3, v10
	v_add_nc_u16 v8, v8, v9
	s_delay_alu instid0(VALU_DEP_1) | instskip(NEXT) | instid1(VALU_DEP_1)
	v_and_b32_e32 v9, 0xff, v8
	v_mov_b32_dpp v9, v9 row_shr:4 row_mask:0xf bank_mask:0xf
	s_delay_alu instid0(VALU_DEP_1) | instskip(NEXT) | instid1(VALU_DEP_1)
	v_cndmask_b32_e64 v9, 0, v9, s2
	v_add_nc_u16 v8, v8, v9
	ds_store_b8 v0, v8
.LBB16_85:
	s_or_b32 exec_lo, exec_lo, s3
	s_delay_alu instid0(SALU_CYCLE_1)
	s_mov_b32 s3, exec_lo
	s_waitcnt lgkmcnt(0)
	s_barrier
	buffer_gl0_inv
                                        ; implicit-def: $vgpr8
	v_cmpx_lt_u32_e32 31, v0
	s_cbranch_execz .LBB16_87
; %bb.86:
	v_add_nc_u32_e32 v8, -1, v31
	ds_load_u8 v8, v8
	s_waitcnt lgkmcnt(0)
	v_add_nc_u16 v7, v8, v7
.LBB16_87:
	s_or_b32 exec_lo, exec_lo, s3
	v_add_nc_u32_e32 v9, -1, v30
	s_delay_alu instid0(VALU_DEP_2) | instskip(NEXT) | instid1(VALU_DEP_2)
	v_and_b32_e32 v7, 0xff, v7
	v_cmp_gt_i32_e64 s2, 0, v9
	s_delay_alu instid0(VALU_DEP_1) | instskip(SKIP_1) | instid1(VALU_DEP_2)
	v_cndmask_b32_e64 v9, v9, v30, s2
	v_cmp_eq_u32_e64 s2, 0, v30
	v_lshlrev_b32_e32 v9, 2, v9
	ds_bpermute_b32 v7, v9, v7
	s_waitcnt lgkmcnt(0)
	v_cndmask_b32_e64 v7, v7, v8, s2
	s_delay_alu instid0(VALU_DEP_1)
	v_cndmask_b32_e64 v7, v7, 0, vcc_lo
	s_and_saveexec_b32 s2, vcc_lo
	s_cbranch_execz .LBB16_89
; %bb.88:
	v_mov_b32_e32 v8, 0
	ds_load_u8 v9, v8 offset:7
	s_waitcnt lgkmcnt(0)
	v_or_b32_e32 v9, 0x200, v9
	global_store_b16 v8, v9, s[8:9] offset:64
.LBB16_89:
	s_or_b32 exec_lo, exec_lo, s2
	s_delay_alu instid0(VALU_DEP_1)
	v_add_nc_u16 v7, v7, v1
.LBB16_90:
	s_delay_alu instid0(VALU_DEP_1)
	v_add_nc_u16 v1, v7, v27
	s_add_u32 s2, s10, s16
	s_addc_u32 s3, s11, 0
	s_and_b32 vcc_lo, exec_lo, s14
	s_waitcnt lgkmcnt(0)
	s_mov_b32 s4, -1
	v_add_nc_u16 v8, v1, v28
	s_waitcnt_vscnt null, 0x0
	s_barrier
	buffer_gl0_inv
	v_add_nc_u16 v9, v8, v29
	s_delay_alu instid0(VALU_DEP_1) | instskip(SKIP_1) | instid1(VALU_DEP_2)
	v_add_nc_u16 v10, v9, v2
	v_and_b32_e32 v2, 0xff, v7
	v_add_nc_u16 v24, v10, v24
	s_delay_alu instid0(VALU_DEP_1) | instskip(NEXT) | instid1(VALU_DEP_1)
	v_add_nc_u16 v25, v24, v25
	v_add_nc_u16 v26, v25, v26
	s_delay_alu instid0(VALU_DEP_1) | instskip(SKIP_2) | instid1(VALU_DEP_3)
	v_add_nc_u16 v27, v26, v3
	v_lshlrev_b16 v3, 8, v9
	v_lshlrev_b16 v9, 8, v24
	v_add_nc_u16 v21, v27, v21
	s_delay_alu instid0(VALU_DEP_1) | instskip(NEXT) | instid1(VALU_DEP_1)
	v_add_nc_u16 v22, v21, v22
	v_add_nc_u16 v23, v22, v23
	s_delay_alu instid0(VALU_DEP_1)
	v_add_nc_u16 v28, v23, v4
	v_lshlrev_b16 v4, 8, v1
	v_and_b32_e32 v1, 0xff, v8
	v_and_b32_e32 v8, 0xff, v10
	;; [unrolled: 1-line block ×3, first 2 shown]
	v_add_nc_u16 v29, v28, v18
	v_and_b32_e32 v18, 0xff, v27
	s_delay_alu instid0(VALU_DEP_2) | instskip(SKIP_3) | instid1(VALU_DEP_4)
	v_add_nc_u16 v30, v29, v19
	v_lshlrev_b16 v19, 8, v21
	v_lshlrev_b16 v21, 8, v23
	v_lshlrev_b16 v23, 8, v29
	v_add_nc_u16 v31, v30, v20
	v_and_b32_e32 v20, 0xff, v22
	v_and_b32_e32 v22, 0xff, v28
	;; [unrolled: 1-line block ×3, first 2 shown]
	s_delay_alu instid0(VALU_DEP_4) | instskip(SKIP_1) | instid1(VALU_DEP_2)
	v_add_nc_u16 v5, v31, v5
	v_lshlrev_b16 v25, 8, v31
	v_add_nc_u16 v17, v5, v17
	v_and_b32_e32 v5, 0xff, v5
	s_delay_alu instid0(VALU_DEP_2) | instskip(NEXT) | instid1(VALU_DEP_1)
	v_add_nc_u16 v32, v17, v16
	v_add_nc_u16 v7, v32, v15
	v_lshlrev_b16 v15, 8, v26
	s_delay_alu instid0(VALU_DEP_2) | instskip(SKIP_2) | instid1(VALU_DEP_3)
	v_add_nc_u16 v16, v7, v6
	v_lshlrev_b16 v6, 8, v17
	v_lshlrev_b16 v7, 8, v7
	v_add_nc_u16 v14, v16, v14
	s_delay_alu instid0(VALU_DEP_1) | instskip(SKIP_2) | instid1(VALU_DEP_3)
	v_add_nc_u16 v26, v14, v13
	v_and_b32_e32 v13, 0xff, v16
	v_lshlrev_b16 v16, 8, v14
	v_add_nc_u16 v12, v26, v12
	v_and_b32_e32 v14, 0xff, v26
	s_delay_alu instid0(VALU_DEP_2)
	v_lshlrev_b16 v17, 8, v12
	v_and_b32_e32 v12, 0xff, v32
	s_cbranch_vccz .LBB16_92
; %bb.91:
	v_or_b32_e32 v26, v22, v23
	v_or_b32_e32 v27, v24, v25
	;; [unrolled: 1-line block ×5, first 2 shown]
	v_and_b32_e32 v26, 0xffff, v26
	v_lshlrev_b32_e32 v27, 16, v27
	v_or_b32_e32 v32, v2, v4
	v_or_b32_e32 v28, v18, v19
	;; [unrolled: 1-line block ×5, first 2 shown]
	v_lshlrev_b32_e32 v26, 16, v29
	v_and_b32_e32 v29, 0xffff, v30
	v_lshlrev_b32_e32 v30, 16, v31
	v_and_b32_e32 v31, 0xffff, v32
	v_or_b32_e32 v32, v1, v3
	v_or_b32_e32 v35, v5, v6
	;; [unrolled: 1-line block ×3, first 2 shown]
	v_and_b32_e32 v28, 0xffff, v28
	v_and_b32_e32 v33, 0xffff, v33
	v_lshlrev_b32_e32 v32, 16, v32
	v_lshlrev_b32_e32 v34, 16, v34
	v_and_b32_e32 v35, 0xffff, v35
	v_lshlrev_b32_e32 v36, 16, v36
	v_or_b32_e32 v26, v28, v26
	v_or_b32_e32 v29, v29, v30
	;; [unrolled: 1-line block ×5, first 2 shown]
	ds_store_2addr_b64 v11, v[28:29], v[26:27] offset1:1
	ds_store_b64 v11, v[30:31] offset:16
	s_waitcnt lgkmcnt(0)
	s_barrier
	buffer_gl0_inv
	ds_load_u8 v26, v0
	ds_load_u8 v27, v0 offset:256
	ds_load_u8 v28, v0 offset:512
	;; [unrolled: 1-line block ×23, first 2 shown]
	v_add_co_u32 v50, s5, s2, v0
	s_delay_alu instid0(VALU_DEP_1)
	v_add_co_ci_u32_e64 v51, null, s3, 0, s5
	s_waitcnt lgkmcnt(23)
	global_store_b8 v0, v26, s[2:3]
	s_waitcnt lgkmcnt(22)
	global_store_b8 v0, v27, s[2:3] offset:256
	s_waitcnt lgkmcnt(21)
	global_store_b8 v0, v28, s[2:3] offset:512
	;; [unrolled: 2-line block ×7, first 2 shown]
	v_add_co_u32 v26, vcc_lo, 0x1000, v50
	s_mov_b32 s4, 0
	v_add_co_ci_u32_e32 v27, vcc_lo, 0, v51, vcc_lo
	s_waitcnt lgkmcnt(15)
	global_store_b8 v0, v34, s[2:3] offset:2048
	s_waitcnt lgkmcnt(14)
	global_store_b8 v0, v35, s[2:3] offset:2304
	;; [unrolled: 2-line block ×8, first 2 shown]
	s_waitcnt lgkmcnt(7)
	global_store_b8 v[26:27], v42, off
	s_waitcnt lgkmcnt(6)
	global_store_b8 v[26:27], v43, off offset:256
	s_waitcnt lgkmcnt(5)
	global_store_b8 v[26:27], v44, off offset:512
	;; [unrolled: 2-line block ×7, first 2 shown]
.LBB16_92:
	s_and_not1_b32 vcc_lo, exec_lo, s4
	s_cbranch_vccnz .LBB16_149
; %bb.93:
	v_or_b32_e32 v18, v18, v19
	v_or_b32_e32 v4, v2, v4
	;; [unrolled: 1-line block ×8, first 2 shown]
	v_and_b32_e32 v10, 0xffff, v18
	v_and_b32_e32 v18, 0xffff, v4
	v_or_b32_e32 v3, v13, v16
	v_or_b32_e32 v4, v14, v17
	;; [unrolled: 1-line block ×4, first 2 shown]
	v_and_b32_e32 v20, 0xffff, v22
	v_lshlrev_b32_e32 v21, 16, v23
	v_lshlrev_b32_e32 v15, 16, v19
	v_and_b32_e32 v8, 0xffff, v8
	v_lshlrev_b32_e32 v9, 16, v9
	v_lshlrev_b32_e32 v7, 16, v1
	v_and_b32_e32 v12, 0xffff, v3
	v_lshlrev_b32_e32 v13, 16, v4
	v_and_b32_e32 v5, 0xffff, v5
	v_lshlrev_b32_e32 v14, 16, v6
	v_or_b32_e32 v2, v20, v21
	v_or_b32_e32 v1, v10, v15
	;; [unrolled: 1-line block ×6, first 2 shown]
	ds_store_2addr_b64 v11, v[3:4], v[1:2] offset1:1
	ds_store_b64 v11, v[5:6] offset:16
	v_mov_b32_e32 v1, 0
	s_waitcnt lgkmcnt(0)
	s_waitcnt_vscnt null, 0x0
	s_barrier
	buffer_gl0_inv
	ds_load_u8 v5, v0
	ds_load_u8 v4, v0 offset:256
	ds_load_u8 v7, v0 offset:512
	;; [unrolled: 1-line block ×23, first 2 shown]
	v_add_co_u32 v2, s2, s2, v0
	s_delay_alu instid0(VALU_DEP_1)
	v_add_co_ci_u32_e64 v3, null, s3, 0, s2
	s_mov_b32 s2, exec_lo
	v_cmpx_gt_u32_e64 s12, v0
	s_cbranch_execz .LBB16_95
; %bb.94:
	s_waitcnt lgkmcnt(23)
	global_store_b8 v[2:3], v5, off
.LBB16_95:
	s_or_b32 exec_lo, exec_lo, s2
	v_or_b32_e32 v29, 0x100, v0
	s_mov_b32 s2, exec_lo
	s_delay_alu instid0(VALU_DEP_1)
	v_cmpx_gt_u32_e64 s12, v29
	s_cbranch_execz .LBB16_97
; %bb.96:
	s_waitcnt lgkmcnt(22)
	global_store_b8 v[2:3], v4, off offset:256
.LBB16_97:
	s_or_b32 exec_lo, exec_lo, s2
	v_or_b32_e32 v29, 0x200, v0
	s_mov_b32 s2, exec_lo
	s_delay_alu instid0(VALU_DEP_1)
	v_cmpx_gt_u32_e64 s12, v29
	s_cbranch_execz .LBB16_99
; %bb.98:
	s_waitcnt lgkmcnt(21)
	global_store_b8 v[2:3], v7, off offset:512
.LBB16_99:
	;; [unrolled: 10-line block ×15, first 2 shown]
	s_or_b32 exec_lo, exec_lo, s2
	v_or_b32_e32 v29, 0x1000, v0
	s_mov_b32 s2, exec_lo
	s_delay_alu instid0(VALU_DEP_1)
	v_cmpx_gt_u32_e64 s12, v29
	s_cbranch_execz .LBB16_127
; %bb.126:
	v_add_co_u32 v29, vcc_lo, 0x1000, v2
	v_add_co_ci_u32_e32 v30, vcc_lo, 0, v3, vcc_lo
	s_waitcnt lgkmcnt(7)
	global_store_b8 v[29:30], v23, off
.LBB16_127:
	s_or_b32 exec_lo, exec_lo, s2
	v_or_b32_e32 v29, 0x1100, v0
	s_mov_b32 s2, exec_lo
	s_delay_alu instid0(VALU_DEP_1)
	v_cmpx_gt_u32_e64 s12, v29
	s_cbranch_execz .LBB16_129
; %bb.128:
	v_add_co_u32 v29, vcc_lo, 0x1000, v2
	v_add_co_ci_u32_e32 v30, vcc_lo, 0, v3, vcc_lo
	s_waitcnt lgkmcnt(6)
	global_store_b8 v[29:30], v26, off offset:256
.LBB16_129:
	s_or_b32 exec_lo, exec_lo, s2
	v_or_b32_e32 v29, 0x1200, v0
	s_mov_b32 s2, exec_lo
	s_delay_alu instid0(VALU_DEP_1)
	v_cmpx_gt_u32_e64 s12, v29
	s_cbranch_execz .LBB16_131
; %bb.130:
	v_add_co_u32 v29, vcc_lo, 0x1000, v2
	v_add_co_ci_u32_e32 v30, vcc_lo, 0, v3, vcc_lo
	s_waitcnt lgkmcnt(5)
	global_store_b8 v[29:30], v25, off offset:512
.LBB16_131:
	;; [unrolled: 12-line block ×7, first 2 shown]
	s_or_b32 exec_lo, exec_lo, s2
	s_load_b32 s0, s[0:1], 0x40
	s_waitcnt lgkmcnt(0)
	s_bfe_u32 s0, s0, 0x10008
	s_delay_alu instid0(SALU_CYCLE_1)
	s_cmp_eq_u32 s0, 0
	s_cbranch_scc1 .LBB16_149
; %bb.142:
	s_add_u32 s0, s12, -1
	s_addc_u32 s1, s13, -1
	s_add_u32 s2, 0, 0xaaaa0000
	s_addc_u32 s3, 0, 42
	s_mul_hi_u32 s5, s2, 0xffffffe8
	s_add_i32 s3, s3, 0xaaaaa80
	s_sub_i32 s5, s5, s2
	s_mul_i32 s8, s3, 0xffffffe8
	s_mul_i32 s4, s2, 0xffffffe8
	s_add_i32 s5, s5, s8
	s_mul_hi_u32 s9, s3, s4
	s_mul_i32 s8, s3, s4
	s_mul_i32 s10, s2, s5
	s_mul_hi_u32 s4, s2, s4
	s_mul_hi_u32 s11, s2, s5
	s_add_u32 s4, s4, s10
	s_addc_u32 s10, 0, s11
	s_mul_hi_u32 s11, s3, s5
	s_add_u32 s4, s4, s8
	s_addc_u32 s4, s10, s9
	s_mul_i32 s5, s3, s5
	s_addc_u32 s8, s11, 0
	s_add_u32 s4, s4, s5
	s_delay_alu instid0(SALU_CYCLE_1) | instskip(SKIP_2) | instid1(VALU_DEP_1)
	v_add_co_u32 v2, s2, s2, s4
	s_addc_u32 s4, 0, s8
	s_cmp_lg_u32 s2, 0
	v_readfirstlane_b32 s2, v2
	s_addc_u32 s3, s3, s4
	s_delay_alu instid0(SALU_CYCLE_1) | instskip(SKIP_1) | instid1(VALU_DEP_1)
	s_mul_i32 s4, s0, s3
	s_mul_hi_u32 s8, s0, s3
	s_mul_hi_u32 s5, s0, s2
	s_mul_i32 s9, s1, s2
	s_add_u32 s4, s5, s4
	s_addc_u32 s5, 0, s8
	s_mul_hi_u32 s2, s1, s2
	s_mul_hi_u32 s8, s1, s3
	s_add_u32 s4, s4, s9
	s_addc_u32 s2, s5, s2
	s_mul_i32 s3, s1, s3
	s_addc_u32 s4, s8, 0
	s_add_u32 s2, s2, s3
	s_addc_u32 s3, 0, s4
	s_mul_i32 s5, s2, 24
	s_add_u32 s4, s2, 1
	v_sub_co_u32 v2, s5, s0, s5
	s_addc_u32 s8, s3, 0
	s_mul_i32 s10, s3, 24
	s_mul_hi_u32 s12, s2, 24
	s_delay_alu instid0(VALU_DEP_1)
	v_sub_co_u32 v3, s11, v2, 24
	s_add_u32 s9, s2, 2
	s_addc_u32 s13, s3, 0
	s_add_i32 s12, s12, s10
	s_cmp_lg_u32 s5, 0
	v_readfirstlane_b32 s5, v3
	s_subb_u32 s10, s1, s12
	s_cmp_lg_u32 s11, 0
	s_subb_u32 s11, s10, 0
	s_delay_alu instid0(VALU_DEP_1) | instskip(SKIP_4) | instid1(SALU_CYCLE_1)
	s_cmp_gt_u32 s5, 23
	s_cselect_b32 s5, -1, 0
	s_cmp_eq_u32 s11, 0
	v_readfirstlane_b32 s11, v2
	s_cselect_b32 s5, s5, -1
	s_cmp_lg_u32 s5, 0
	s_cselect_b32 s4, s9, s4
	s_cselect_b32 s5, s13, s8
	s_cmp_gt_u32 s11, 23
	s_cselect_b32 s8, -1, 0
	s_cmp_eq_u32 s10, 0
	s_cselect_b32 s8, s8, -1
	s_delay_alu instid0(SALU_CYCLE_1) | instskip(SKIP_2) | instid1(SALU_CYCLE_1)
	s_cmp_lg_u32 s8, 0
	s_cselect_b32 s3, s5, s3
	s_cselect_b32 s2, s4, s2
	v_cmp_eq_u64_e32 vcc_lo, s[2:3], v[0:1]
	s_and_saveexec_b32 s2, vcc_lo
	s_cbranch_execz .LBB16_149
; %bb.143:
	v_mul_hi_u32_u24_e32 v1, 24, v0
	v_sub_co_u32 v0, vcc_lo, s0, v11
	s_mov_b32 s0, 0
	s_mov_b32 s4, 0
	s_delay_alu instid0(VALU_DEP_2) | instskip(SKIP_3) | instid1(VALU_DEP_1)
	v_sub_co_ci_u32_e32 v1, vcc_lo, s1, v1, vcc_lo
	s_mov_b32 s3, 0
	s_mov_b32 s2, 0
	s_mov_b32 s1, exec_lo
	v_cmpx_lt_i64_e32 11, v[0:1]
	s_xor_b32 s1, exec_lo, s1
	s_cbranch_execnz .LBB16_150
; %bb.144:
	s_and_not1_saveexec_b32 s1, s1
	s_cbranch_execnz .LBB16_195
.LBB16_145:
	s_or_b32 exec_lo, exec_lo, s1
	s_and_saveexec_b32 s1, s4
	s_cbranch_execnz .LBB16_212
.LBB16_146:
	s_or_b32 exec_lo, exec_lo, s1
	s_and_saveexec_b32 s1, s3
	s_cbranch_execnz .LBB16_213
.LBB16_147:
	s_or_b32 exec_lo, exec_lo, s1
	s_and_saveexec_b32 s1, s2
	s_delay_alu instid0(SALU_CYCLE_1)
	s_xor_b32 s1, exec_lo, s1
	s_cbranch_execnz .LBB16_214
.LBB16_148:
	s_or_b32 exec_lo, exec_lo, s1
	s_delay_alu instid0(SALU_CYCLE_1)
	s_and_b32 exec_lo, exec_lo, s0
	s_cbranch_execnz .LBB16_215
.LBB16_149:
	s_nop 0
	s_sendmsg sendmsg(MSG_DEALLOC_VGPRS)
	s_endpgm
.LBB16_150:
	s_mov_b32 s5, exec_lo
	v_cmpx_lt_i64_e32 17, v[0:1]
	s_xor_b32 s5, exec_lo, s5
	s_cbranch_execz .LBB16_172
; %bb.151:
	s_mov_b32 s8, exec_lo
                                        ; implicit-def: $vgpr10
	v_cmpx_lt_i64_e32 20, v[0:1]
	s_xor_b32 s8, exec_lo, s8
	s_cbranch_execz .LBB16_161
; %bb.152:
	s_mov_b32 s9, 0
	s_mov_b32 s2, exec_lo
                                        ; implicit-def: $vgpr10
	v_cmpx_lt_i64_e32 21, v[0:1]
	s_xor_b32 s2, exec_lo, s2
	s_cbranch_execz .LBB16_158
; %bb.153:
	s_mov_b32 s9, exec_lo
	v_cmpx_lt_i64_e32 22, v[0:1]
	s_xor_b32 s9, exec_lo, s9
	s_cbranch_execz .LBB16_155
; %bb.154:
	v_mov_b32_e32 v2, 0
                                        ; implicit-def: $vgpr27
	global_store_b8 v2, v28, s[6:7]
.LBB16_155:
	s_or_saveexec_b32 s9, s9
	s_mov_b32 s10, 0
	s_xor_b32 exec_lo, exec_lo, s9
; %bb.156:
	s_delay_alu instid0(SALU_CYCLE_1)
	s_mov_b32 s10, exec_lo
; %bb.157:
	s_or_b32 exec_lo, exec_lo, s9
	v_mov_b32_e32 v10, v27
	s_and_b32 s9, s10, exec_lo
                                        ; implicit-def: $vgpr12
.LBB16_158:
	s_and_not1_saveexec_b32 s2, s2
; %bb.159:
	s_mov_b32 s3, exec_lo
                                        ; implicit-def: $vgpr10
; %bb.160:
	s_or_b32 exec_lo, exec_lo, s2
	s_delay_alu instid0(SALU_CYCLE_1)
	s_and_b32 s2, s9, exec_lo
	s_and_b32 s3, s3, exec_lo
                                        ; implicit-def: $vgpr25
                                        ; implicit-def: $vgpr13
                                        ; implicit-def: $vgpr22
.LBB16_161:
	s_and_not1_saveexec_b32 s8, s8
	s_cbranch_execz .LBB16_171
; %bb.162:
	s_mov_b32 s9, 0
	s_mov_b32 s4, exec_lo
	v_cmpx_lt_i64_e32 18, v[0:1]
	s_xor_b32 s4, exec_lo, s4
	s_cbranch_execz .LBB16_168
; %bb.163:
	s_mov_b32 s10, exec_lo
	v_cmpx_lt_i64_e32 19, v[0:1]
	s_xor_b32 s10, exec_lo, s10
; %bb.164:
	s_mov_b32 s9, exec_lo
                                        ; implicit-def: $vgpr22
; %bb.165:
	s_and_not1_saveexec_b32 s10, s10
	s_cbranch_execz .LBB16_167
; %bb.166:
	v_mov_b32_e32 v2, 0
                                        ; implicit-def: $vgpr13
	global_store_b8 v2, v22, s[6:7]
.LBB16_167:
	s_or_b32 exec_lo, exec_lo, s10
	s_delay_alu instid0(SALU_CYCLE_1)
	s_and_b32 s9, s9, exec_lo
                                        ; implicit-def: $vgpr25
.LBB16_168:
	s_and_not1_saveexec_b32 s4, s4
	s_cbranch_execz .LBB16_170
; %bb.169:
	v_mov_b32_e32 v2, 0
                                        ; implicit-def: $vgpr13
	global_store_b8 v2, v25, s[6:7]
.LBB16_170:
	s_or_b32 exec_lo, exec_lo, s4
	s_delay_alu instid0(SALU_CYCLE_1)
	s_and_b32 s4, s9, exec_lo
                                        ; implicit-def: $vgpr10
                                        ; implicit-def: $vgpr12
.LBB16_171:
	s_or_b32 exec_lo, exec_lo, s8
	s_delay_alu instid0(SALU_CYCLE_1)
	s_and_b32 s2, s2, exec_lo
	s_and_b32 s3, s3, exec_lo
	;; [unrolled: 1-line block ×3, first 2 shown]
                                        ; implicit-def: $vgpr19
                                        ; implicit-def: $vgpr14
                                        ; implicit-def: $vgpr16
                                        ; implicit-def: $vgpr23
                                        ; implicit-def: $vgpr26
.LBB16_172:
	s_and_not1_saveexec_b32 s5, s5
	s_cbranch_execz .LBB16_194
; %bb.173:
	s_mov_b32 s8, s2
	s_mov_b32 s9, exec_lo
	v_cmpx_lt_i64_e32 14, v[0:1]
	s_xor_b32 s9, exec_lo, s9
	s_cbranch_execz .LBB16_183
; %bb.174:
	s_mov_b32 s8, exec_lo
	v_cmpx_lt_i64_e32 15, v[0:1]
	s_xor_b32 s8, exec_lo, s8
	s_cbranch_execz .LBB16_180
; %bb.175:
	;; [unrolled: 5-line block ×3, first 2 shown]
	v_mov_b32_e32 v2, 0
                                        ; implicit-def: $vgpr23
	global_store_b8 v2, v26, s[6:7]
.LBB16_177:
	s_and_not1_saveexec_b32 s10, s10
	s_cbranch_execz .LBB16_179
; %bb.178:
	v_mov_b32_e32 v2, 0
	global_store_b8 v2, v23, s[6:7]
.LBB16_179:
	s_or_b32 exec_lo, exec_lo, s10
                                        ; implicit-def: $vgpr10
.LBB16_180:
	s_or_saveexec_b32 s8, s8
	s_mov_b32 s10, s2
	s_xor_b32 exec_lo, exec_lo, s8
; %bb.181:
	s_delay_alu instid0(SALU_CYCLE_1)
	s_or_b32 s10, s2, exec_lo
; %bb.182:
	s_or_b32 exec_lo, exec_lo, s8
	s_delay_alu instid0(SALU_CYCLE_1) | instskip(SKIP_1) | instid1(SALU_CYCLE_1)
	s_and_not1_b32 s8, s2, exec_lo
	s_and_b32 s10, s10, exec_lo
                                        ; implicit-def: $vgpr19
                                        ; implicit-def: $vgpr14
                                        ; implicit-def: $vgpr16
	s_or_b32 s8, s8, s10
.LBB16_183:
	s_or_saveexec_b32 s9, s9
	s_mov_b32 s10, s3
                                        ; implicit-def: $vgpr12
	s_xor_b32 exec_lo, exec_lo, s9
	s_cbranch_execz .LBB16_193
; %bb.184:
	s_mov_b32 s11, s3
	s_mov_b32 s12, s8
	s_mov_b32 s10, exec_lo
                                        ; implicit-def: $vgpr10
                                        ; implicit-def: $vgpr12
	v_cmpx_lt_i64_e32 12, v[0:1]
	s_xor_b32 s10, exec_lo, s10
	s_cbranch_execz .LBB16_190
; %bb.185:
	s_mov_b32 s11, s8
	s_mov_b32 s12, exec_lo
	v_cmpx_lt_i64_e32 13, v[0:1]
	s_xor_b32 s12, exec_lo, s12
; %bb.186:
	s_or_b32 s11, s8, exec_lo
                                        ; implicit-def: $vgpr14
; %bb.187:
	s_or_saveexec_b32 s13, s12
	s_mov_b32 s12, s3
	s_xor_b32 exec_lo, exec_lo, s13
; %bb.188:
	s_delay_alu instid0(SALU_CYCLE_1)
	s_or_b32 s12, s3, exec_lo
                                        ; implicit-def: $vgpr16
; %bb.189:
	s_or_b32 exec_lo, exec_lo, s13
	v_mov_b32_e32 v10, v16
	v_mov_b32_e32 v12, v14
	s_and_not1_b32 s13, s8, exec_lo
	s_and_b32 s11, s11, exec_lo
	s_and_not1_b32 s14, s3, exec_lo
	s_and_b32 s15, s12, exec_lo
	s_or_b32 s12, s13, s11
	s_or_b32 s11, s14, s15
                                        ; implicit-def: $vgpr19
.LBB16_190:
	s_and_not1_saveexec_b32 s10, s10
; %bb.191:
	v_mov_b32_e32 v12, v19
	s_or_b32 s11, s11, exec_lo
                                        ; implicit-def: $vgpr10
; %bb.192:
	s_or_b32 exec_lo, exec_lo, s10
	s_delay_alu instid0(SALU_CYCLE_1)
	s_and_not1_b32 s8, s8, exec_lo
	s_and_b32 s10, s12, exec_lo
	s_and_not1_b32 s12, s3, exec_lo
	s_and_b32 s11, s11, exec_lo
	s_or_b32 s8, s8, s10
	s_or_b32 s10, s12, s11
.LBB16_193:
	s_or_b32 exec_lo, exec_lo, s9
	s_delay_alu instid0(SALU_CYCLE_1)
	s_and_not1_b32 s2, s2, exec_lo
	s_and_b32 s8, s8, exec_lo
	s_and_not1_b32 s3, s3, exec_lo
	s_and_b32 s9, s10, exec_lo
	s_or_b32 s2, s2, s8
	s_or_b32 s3, s3, s9
                                        ; implicit-def: $vgpr13
.LBB16_194:
	s_or_b32 exec_lo, exec_lo, s5
	s_delay_alu instid0(SALU_CYCLE_1)
	s_and_b32 s2, s2, exec_lo
	s_and_b32 s3, s3, exec_lo
	;; [unrolled: 1-line block ×3, first 2 shown]
                                        ; implicit-def: $vgpr18
                                        ; implicit-def: $vgpr15
                                        ; implicit-def: $vgpr17
                                        ; implicit-def: $vgpr24
                                        ; implicit-def: $vgpr21
                                        ; implicit-def: $vgpr20
	s_and_not1_saveexec_b32 s1, s1
	s_cbranch_execz .LBB16_145
.LBB16_195:
	s_mov_b32 s8, -1
	s_mov_b32 s5, s4
	s_mov_b32 s10, s3
	;; [unrolled: 1-line block ×3, first 2 shown]
	s_mov_b32 s0, exec_lo
                                        ; implicit-def: $vgpr10
                                        ; implicit-def: $vgpr12
                                        ; implicit-def: $vgpr13
	v_cmpx_lt_i64_e32 5, v[0:1]
	s_cbranch_execz .LBB16_211
; %bb.196:
	s_mov_b32 s5, s4
	s_mov_b32 s8, exec_lo
                                        ; implicit-def: $vgpr13
	v_cmpx_lt_i64_e32 8, v[0:1]
	s_xor_b32 s8, exec_lo, s8
	s_cbranch_execz .LBB16_206
; %bb.197:
	s_mov_b32 s5, exec_lo
	v_cmpx_lt_i64_e32 9, v[0:1]
	s_xor_b32 s5, exec_lo, s5
	s_cbranch_execz .LBB16_203
; %bb.198:
	s_mov_b32 s9, exec_lo
	v_cmpx_lt_i64_e32 10, v[0:1]
	s_xor_b32 s9, exec_lo, s9
; %bb.199:
                                        ; implicit-def: $vgpr21
; %bb.200:
	s_delay_alu instid0(SALU_CYCLE_1)
	s_and_not1_saveexec_b32 s9, s9
; %bb.201:
	v_mov_b32_e32 v20, v21
; %bb.202:
	s_or_b32 exec_lo, exec_lo, s9
                                        ; implicit-def: $vgpr24
.LBB16_203:
	s_and_not1_saveexec_b32 s5, s5
; %bb.204:
	v_mov_b32_e32 v20, v24
; %bb.205:
	s_or_b32 exec_lo, exec_lo, s5
	s_delay_alu instid0(VALU_DEP_1)
	v_mov_b32_e32 v13, v20
	s_or_b32 s5, s4, exec_lo
                                        ; implicit-def: $vgpr18
                                        ; implicit-def: $vgpr15
                                        ; implicit-def: $vgpr17
.LBB16_206:
	s_or_saveexec_b32 s8, s8
	s_mov_b32 s11, s3
	s_mov_b32 s10, s2
                                        ; implicit-def: $vgpr10
                                        ; implicit-def: $vgpr12
	s_xor_b32 exec_lo, exec_lo, s8
	s_cbranch_execz .LBB16_210
; %bb.207:
	s_mov_b32 s10, -1
	s_mov_b32 s9, s5
	s_mov_b32 s11, s3
	s_mov_b32 s12, exec_lo
	v_cmpx_lt_i64_e32 6, v[0:1]
; %bb.208:
	v_cmp_lt_i64_e32 vcc_lo, 7, v[0:1]
	s_and_not1_b32 s9, s5, exec_lo
	s_xor_b32 s10, exec_lo, -1
	s_or_b32 s11, s3, exec_lo
                                        ; implicit-def: $vgpr18
	s_and_b32 s13, vcc_lo, exec_lo
	s_delay_alu instid0(SALU_CYCLE_1)
	s_or_b32 s9, s9, s13
; %bb.209:
	s_or_b32 exec_lo, exec_lo, s12
	s_delay_alu instid0(SALU_CYCLE_1)
	s_and_not1_b32 s12, s2, exec_lo
	s_and_b32 s10, s10, exec_lo
	v_dual_mov_b32 v10, v18 :: v_dual_mov_b32 v13, v17
	v_mov_b32_e32 v12, v15
	s_or_b32 s10, s12, s10
	s_and_not1_b32 s12, s3, exec_lo
	s_and_b32 s11, s11, exec_lo
	s_and_not1_b32 s5, s5, exec_lo
	s_and_b32 s9, s9, exec_lo
	s_or_b32 s11, s12, s11
	s_or_b32 s5, s5, s9
.LBB16_210:
	s_or_b32 exec_lo, exec_lo, s8
	s_delay_alu instid0(SALU_CYCLE_1)
	s_and_not1_b32 s9, s2, exec_lo
	s_and_b32 s10, s10, exec_lo
	s_and_b32 s11, s11, exec_lo
	s_or_b32 s9, s9, s10
	s_and_not1_b32 s10, s3, exec_lo
	s_and_not1_b32 s12, s4, exec_lo
	s_and_b32 s5, s5, exec_lo
	s_xor_b32 s8, exec_lo, -1
	s_or_b32 s10, s10, s11
	s_or_b32 s5, s12, s5
.LBB16_211:
	s_or_b32 exec_lo, exec_lo, s0
	s_delay_alu instid0(SALU_CYCLE_1)
	s_and_not1_b32 s2, s2, exec_lo
	s_and_b32 s9, s9, exec_lo
	s_and_b32 s0, s8, exec_lo
	s_and_not1_b32 s3, s3, exec_lo
	s_and_b32 s8, s10, exec_lo
	s_and_not1_b32 s4, s4, exec_lo
	s_and_b32 s5, s5, exec_lo
	s_or_b32 s2, s2, s9
	s_or_b32 s3, s3, s8
	;; [unrolled: 1-line block ×3, first 2 shown]
	s_or_b32 exec_lo, exec_lo, s1
	s_and_saveexec_b32 s1, s4
	s_cbranch_execz .LBB16_146
.LBB16_212:
	v_mov_b32_e32 v2, 0
	s_and_not1_b32 s3, s3, exec_lo
                                        ; implicit-def: $vgpr10
                                        ; implicit-def: $vgpr12
	global_store_b8 v2, v13, s[6:7]
	s_or_b32 exec_lo, exec_lo, s1
	s_and_saveexec_b32 s1, s3
	s_cbranch_execz .LBB16_147
.LBB16_213:
	v_mov_b32_e32 v2, 0
                                        ; implicit-def: $vgpr10
	global_store_b8 v2, v12, s[6:7]
	s_or_b32 exec_lo, exec_lo, s1
	s_and_saveexec_b32 s1, s2
	s_delay_alu instid0(SALU_CYCLE_1)
	s_xor_b32 s1, exec_lo, s1
	s_cbranch_execz .LBB16_148
.LBB16_214:
	v_mov_b32_e32 v2, 0
	global_store_b8 v2, v10, s[6:7]
	s_or_b32 exec_lo, exec_lo, s1
	s_delay_alu instid0(SALU_CYCLE_1)
	s_and_b32 exec_lo, exec_lo, s0
	s_cbranch_execz .LBB16_149
.LBB16_215:
	s_mov_b32 s0, exec_lo
	v_cmpx_lt_i64_e32 2, v[0:1]
	s_xor_b32 s0, exec_lo, s0
	s_cbranch_execz .LBB16_225
; %bb.216:
	s_mov_b32 s1, exec_lo
	v_cmpx_lt_i64_e32 3, v[0:1]
	s_xor_b32 s1, exec_lo, s1
	s_cbranch_execz .LBB16_222
; %bb.217:
	;; [unrolled: 5-line block ×3, first 2 shown]
	v_mov_b32_e32 v0, 0
                                        ; implicit-def: $vgpr6
	global_store_b8 v0, v9, s[6:7]
.LBB16_219:
	s_and_not1_saveexec_b32 s2, s2
	s_cbranch_execz .LBB16_221
; %bb.220:
	v_mov_b32_e32 v0, 0
	global_store_b8 v0, v6, s[6:7]
.LBB16_221:
	s_or_b32 exec_lo, exec_lo, s2
                                        ; implicit-def: $vgpr8
.LBB16_222:
	s_and_not1_saveexec_b32 s1, s1
	s_cbranch_execz .LBB16_224
; %bb.223:
	v_mov_b32_e32 v0, 0
	global_store_b8 v0, v8, s[6:7]
.LBB16_224:
	s_or_b32 exec_lo, exec_lo, s1
                                        ; implicit-def: $vgpr0_vgpr1
                                        ; implicit-def: $vgpr7
                                        ; implicit-def: $vgpr4
                                        ; implicit-def: $vgpr5
.LBB16_225:
	s_and_not1_saveexec_b32 s0, s0
	s_cbranch_execz .LBB16_149
; %bb.226:
	s_mov_b32 s0, exec_lo
	v_cmpx_lt_i64_e32 1, v[0:1]
	s_xor_b32 s0, exec_lo, s0
	s_cbranch_execz .LBB16_228
; %bb.227:
	v_mov_b32_e32 v0, 0
                                        ; implicit-def: $vgpr4
                                        ; implicit-def: $vgpr5
	global_store_b8 v0, v7, s[6:7]
                                        ; implicit-def: $vgpr0_vgpr1
.LBB16_228:
	s_and_not1_saveexec_b32 s0, s0
	s_cbranch_execz .LBB16_149
; %bb.229:
	s_mov_b32 s0, exec_lo
	v_cmpx_ne_u64_e32 1, v[0:1]
	s_xor_b32 s0, exec_lo, s0
	s_cbranch_execz .LBB16_231
; %bb.230:
	v_mov_b32_e32 v0, 0
                                        ; implicit-def: $vgpr4
	global_store_b8 v0, v5, s[6:7]
.LBB16_231:
	s_and_not1_saveexec_b32 s0, s0
	s_cbranch_execz .LBB16_149
; %bb.232:
	v_mov_b32_e32 v0, 0
	global_store_b8 v0, v4, s[6:7]
	s_nop 0
	s_sendmsg sendmsg(MSG_DEALLOC_VGPRS)
	s_endpgm
	.section	.rodata,"a",@progbits
	.p2align	6, 0x0
	.amdhsa_kernel _ZN7rocprim17ROCPRIM_304000_NS6detail20lookback_scan_kernelILNS1_25lookback_scan_determinismE0ELb0ENS1_19wrapped_scan_configINS0_14default_configEaEEPKaPaSt4plusIaEaaNS1_19lookback_scan_stateIaLb0ELb1EEEEEvT2_T3_mT5_T4_T7_jPT6_SK_bb
		.amdhsa_group_segment_fixed_size 6144
		.amdhsa_private_segment_fixed_size 0
		.amdhsa_kernarg_size 68
		.amdhsa_user_sgpr_count 15
		.amdhsa_user_sgpr_dispatch_ptr 0
		.amdhsa_user_sgpr_queue_ptr 0
		.amdhsa_user_sgpr_kernarg_segment_ptr 1
		.amdhsa_user_sgpr_dispatch_id 0
		.amdhsa_user_sgpr_private_segment_size 0
		.amdhsa_wavefront_size32 1
		.amdhsa_uses_dynamic_stack 0
		.amdhsa_enable_private_segment 0
		.amdhsa_system_sgpr_workgroup_id_x 1
		.amdhsa_system_sgpr_workgroup_id_y 0
		.amdhsa_system_sgpr_workgroup_id_z 0
		.amdhsa_system_sgpr_workgroup_info 0
		.amdhsa_system_vgpr_workitem_id 0
		.amdhsa_next_free_vgpr 53
		.amdhsa_next_free_sgpr 17
		.amdhsa_reserve_vcc 1
		.amdhsa_float_round_mode_32 0
		.amdhsa_float_round_mode_16_64 0
		.amdhsa_float_denorm_mode_32 3
		.amdhsa_float_denorm_mode_16_64 3
		.amdhsa_dx10_clamp 1
		.amdhsa_ieee_mode 1
		.amdhsa_fp16_overflow 0
		.amdhsa_workgroup_processor_mode 1
		.amdhsa_memory_ordered 1
		.amdhsa_forward_progress 0
		.amdhsa_shared_vgpr_count 0
		.amdhsa_exception_fp_ieee_invalid_op 0
		.amdhsa_exception_fp_denorm_src 0
		.amdhsa_exception_fp_ieee_div_zero 0
		.amdhsa_exception_fp_ieee_overflow 0
		.amdhsa_exception_fp_ieee_underflow 0
		.amdhsa_exception_fp_ieee_inexact 0
		.amdhsa_exception_int_div_zero 0
	.end_amdhsa_kernel
	.section	.text._ZN7rocprim17ROCPRIM_304000_NS6detail20lookback_scan_kernelILNS1_25lookback_scan_determinismE0ELb0ENS1_19wrapped_scan_configINS0_14default_configEaEEPKaPaSt4plusIaEaaNS1_19lookback_scan_stateIaLb0ELb1EEEEEvT2_T3_mT5_T4_T7_jPT6_SK_bb,"axG",@progbits,_ZN7rocprim17ROCPRIM_304000_NS6detail20lookback_scan_kernelILNS1_25lookback_scan_determinismE0ELb0ENS1_19wrapped_scan_configINS0_14default_configEaEEPKaPaSt4plusIaEaaNS1_19lookback_scan_stateIaLb0ELb1EEEEEvT2_T3_mT5_T4_T7_jPT6_SK_bb,comdat
.Lfunc_end16:
	.size	_ZN7rocprim17ROCPRIM_304000_NS6detail20lookback_scan_kernelILNS1_25lookback_scan_determinismE0ELb0ENS1_19wrapped_scan_configINS0_14default_configEaEEPKaPaSt4plusIaEaaNS1_19lookback_scan_stateIaLb0ELb1EEEEEvT2_T3_mT5_T4_T7_jPT6_SK_bb, .Lfunc_end16-_ZN7rocprim17ROCPRIM_304000_NS6detail20lookback_scan_kernelILNS1_25lookback_scan_determinismE0ELb0ENS1_19wrapped_scan_configINS0_14default_configEaEEPKaPaSt4plusIaEaaNS1_19lookback_scan_stateIaLb0ELb1EEEEEvT2_T3_mT5_T4_T7_jPT6_SK_bb
                                        ; -- End function
	.section	.AMDGPU.csdata,"",@progbits
; Kernel info:
; codeLenInByte = 9756
; NumSgprs: 19
; NumVgprs: 53
; ScratchSize: 0
; MemoryBound: 0
; FloatMode: 240
; IeeeMode: 1
; LDSByteSize: 6144 bytes/workgroup (compile time only)
; SGPRBlocks: 2
; VGPRBlocks: 6
; NumSGPRsForWavesPerEU: 19
; NumVGPRsForWavesPerEU: 53
; Occupancy: 16
; WaveLimiterHint : 1
; COMPUTE_PGM_RSRC2:SCRATCH_EN: 0
; COMPUTE_PGM_RSRC2:USER_SGPR: 15
; COMPUTE_PGM_RSRC2:TRAP_HANDLER: 0
; COMPUTE_PGM_RSRC2:TGID_X_EN: 1
; COMPUTE_PGM_RSRC2:TGID_Y_EN: 0
; COMPUTE_PGM_RSRC2:TGID_Z_EN: 0
; COMPUTE_PGM_RSRC2:TIDIG_COMP_CNT: 0
	.section	.text._ZN7rocprim17ROCPRIM_304000_NS6detail16transform_kernelINS1_24wrapped_transform_configINS0_14default_configEaEEaPaS6_NS0_8identityIaEEEEvT1_mT2_T3_,"axG",@progbits,_ZN7rocprim17ROCPRIM_304000_NS6detail16transform_kernelINS1_24wrapped_transform_configINS0_14default_configEaEEaPaS6_NS0_8identityIaEEEEvT1_mT2_T3_,comdat
	.protected	_ZN7rocprim17ROCPRIM_304000_NS6detail16transform_kernelINS1_24wrapped_transform_configINS0_14default_configEaEEaPaS6_NS0_8identityIaEEEEvT1_mT2_T3_ ; -- Begin function _ZN7rocprim17ROCPRIM_304000_NS6detail16transform_kernelINS1_24wrapped_transform_configINS0_14default_configEaEEaPaS6_NS0_8identityIaEEEEvT1_mT2_T3_
	.globl	_ZN7rocprim17ROCPRIM_304000_NS6detail16transform_kernelINS1_24wrapped_transform_configINS0_14default_configEaEEaPaS6_NS0_8identityIaEEEEvT1_mT2_T3_
	.p2align	8
	.type	_ZN7rocprim17ROCPRIM_304000_NS6detail16transform_kernelINS1_24wrapped_transform_configINS0_14default_configEaEEaPaS6_NS0_8identityIaEEEEvT1_mT2_T3_,@function
_ZN7rocprim17ROCPRIM_304000_NS6detail16transform_kernelINS1_24wrapped_transform_configINS0_14default_configEaEEaPaS6_NS0_8identityIaEEEEvT1_mT2_T3_: ; @_ZN7rocprim17ROCPRIM_304000_NS6detail16transform_kernelINS1_24wrapped_transform_configINS0_14default_configEaEEaPaS6_NS0_8identityIaEEEEvT1_mT2_T3_
; %bb.0:
	s_clause 0x2
	s_load_b32 s2, s[0:1], 0x20
	s_load_b128 s[4:7], s[0:1], 0x0
	s_load_b64 s[8:9], s[0:1], 0x10
	s_lshl_b32 s3, s15, 12
	s_waitcnt lgkmcnt(0)
	s_add_i32 s2, s2, -1
	s_add_u32 s0, s4, s3
	s_addc_u32 s1, s5, 0
	v_add_co_u32 v1, s0, s0, v0
	s_delay_alu instid0(VALU_DEP_1)
	v_add_co_ci_u32_e64 v2, null, s1, 0, s0
	s_mov_b32 s4, 0
	s_cmp_lg_u32 s15, s2
	s_mov_b32 s0, -1
	s_cbranch_scc0 .LBB17_2
; %bb.1:
	s_clause 0x3
	global_load_u8 v6, v[1:2], off
	global_load_u8 v7, v[1:2], off offset:1024
	global_load_u8 v8, v[1:2], off offset:2048
	;; [unrolled: 1-line block ×3, first 2 shown]
	s_add_u32 s0, s8, s3
	s_addc_u32 s1, s9, 0
	v_add_co_u32 v4, s0, s0, v0
	s_delay_alu instid0(VALU_DEP_1)
	v_add_co_ci_u32_e64 v5, null, s1, 0, s0
	s_mov_b32 s4, -1
	s_waitcnt vmcnt(3)
	global_store_b8 v[4:5], v6, off
	s_waitcnt vmcnt(2)
	global_store_b8 v[4:5], v7, off offset:1024
	s_waitcnt vmcnt(1)
	global_store_b8 v[4:5], v8, off offset:2048
	s_cbranch_execz .LBB17_3
	s_branch .LBB17_17
.LBB17_2:
                                        ; implicit-def: $vgpr3
	s_and_not1_b32 vcc_lo, exec_lo, s0
	s_cbranch_vccnz .LBB17_17
.LBB17_3:
	s_sub_i32 s2, s6, s3
                                        ; implicit-def: $vgpr4
	s_delay_alu instid0(SALU_CYCLE_1)
	v_cmp_gt_u32_e32 vcc_lo, s2, v0
	s_and_saveexec_b32 s0, vcc_lo
	s_cbranch_execz .LBB17_5
; %bb.4:
	global_load_u8 v4, v[1:2], off
.LBB17_5:
	s_or_b32 exec_lo, exec_lo, s0
	s_waitcnt vmcnt(0)
	v_or_b32_e32 v3, 0x400, v0
                                        ; implicit-def: $vgpr6
	s_delay_alu instid0(VALU_DEP_1) | instskip(NEXT) | instid1(VALU_DEP_1)
	v_cmp_gt_u32_e64 s0, s2, v3
	s_and_saveexec_b32 s1, s0
	s_cbranch_execz .LBB17_7
; %bb.6:
	global_load_u8 v6, v[1:2], off offset:1024
.LBB17_7:
	s_or_b32 exec_lo, exec_lo, s1
	v_or_b32_e32 v3, 0x800, v0
	s_delay_alu instid0(VALU_DEP_1) | instskip(NEXT) | instid1(VALU_DEP_1)
	v_cmp_gt_u32_e64 s1, s2, v3
                                        ; implicit-def: $vgpr3
	s_and_saveexec_b32 s5, s1
	s_cbranch_execz .LBB17_9
; %bb.8:
	global_load_u8 v3, v[1:2], off offset:2048
.LBB17_9:
	s_or_b32 exec_lo, exec_lo, s5
	v_or_b32_e32 v5, 0xc00, v0
	s_delay_alu instid0(VALU_DEP_1) | instskip(NEXT) | instid1(VALU_DEP_1)
	v_cmp_gt_u32_e64 s2, s2, v5
                                        ; implicit-def: $vgpr5
	s_and_saveexec_b32 s5, s2
	s_cbranch_execz .LBB17_11
; %bb.10:
	global_load_u8 v5, v[1:2], off offset:3072
.LBB17_11:
	s_or_b32 exec_lo, exec_lo, s5
	v_and_b32_e32 v1, 0xff, v4
	s_waitcnt vmcnt(0)
	v_lshlrev_b16 v2, 8, v6
	v_and_b32_e32 v4, 0xff, v3
	v_lshlrev_b16 v6, 8, v5
	s_add_u32 s5, s8, s3
	s_addc_u32 s6, s9, 0
	v_or_b32_e32 v1, v1, v2
	s_delay_alu instid0(VALU_DEP_2) | instskip(NEXT) | instid1(VALU_DEP_2)
	v_or_b32_e32 v2, v4, v6
	v_and_b32_e32 v1, 0xffff, v1
	s_delay_alu instid0(VALU_DEP_2) | instskip(NEXT) | instid1(VALU_DEP_1)
	v_lshlrev_b32_e32 v2, 16, v2
	v_or_b32_e32 v4, v1, v2
	v_add_co_u32 v1, s5, s5, v0
	s_delay_alu instid0(VALU_DEP_1)
	v_add_co_ci_u32_e64 v2, null, s6, 0, s5
	s_and_saveexec_b32 s5, vcc_lo
	s_cbranch_execnz .LBB17_20
; %bb.12:
	s_or_b32 exec_lo, exec_lo, s5
	s_and_saveexec_b32 s5, s0
	s_cbranch_execnz .LBB17_21
.LBB17_13:
	s_or_b32 exec_lo, exec_lo, s5
	v_perm_b32 v4, v4, v4, 0x7060104
	s_and_saveexec_b32 s0, s1
	s_cbranch_execnz .LBB17_22
.LBB17_14:
	s_or_b32 exec_lo, exec_lo, s0
                                        ; implicit-def: $vgpr3
	s_and_saveexec_b32 s0, s2
.LBB17_15:
	v_lshlrev_b32_e32 v1, 24, v5
	s_or_b32 s4, s4, exec_lo
	s_delay_alu instid0(VALU_DEP_1) | instskip(NEXT) | instid1(VALU_DEP_1)
	v_cndmask_b32_e64 v1, v4, v1, s2
	v_lshrrev_b32_e32 v3, 24, v1
.LBB17_16:
	s_or_b32 exec_lo, exec_lo, s0
.LBB17_17:
	s_and_saveexec_b32 s0, s4
	s_cbranch_execnz .LBB17_19
; %bb.18:
	s_nop 0
	s_sendmsg sendmsg(MSG_DEALLOC_VGPRS)
	s_endpgm
.LBB17_19:
	s_add_u32 s0, s8, s3
	s_addc_u32 s1, s9, 0
	v_add_co_u32 v0, s0, s0, v0
	s_delay_alu instid0(VALU_DEP_1)
	v_add_co_ci_u32_e64 v1, null, s1, 0, s0
	s_waitcnt vmcnt(0)
	global_store_b8 v[0:1], v3, off offset:3072
	s_nop 0
	s_sendmsg sendmsg(MSG_DEALLOC_VGPRS)
	s_endpgm
.LBB17_20:
	global_store_b8 v[1:2], v4, off
	s_or_b32 exec_lo, exec_lo, s5
	s_and_saveexec_b32 s5, s0
	s_cbranch_execz .LBB17_13
.LBB17_21:
	v_lshrrev_b32_e32 v6, 8, v4
	global_store_b8 v[1:2], v6, off offset:1024
	s_or_b32 exec_lo, exec_lo, s5
	v_perm_b32 v4, v4, v4, 0x7060104
	s_and_saveexec_b32 s0, s1
	s_cbranch_execz .LBB17_14
.LBB17_22:
	v_lshlrev_b32_e32 v3, 16, v3
	s_delay_alu instid0(VALU_DEP_1)
	v_cndmask_b32_e64 v3, v4, v3, s1
	global_store_d16_hi_b8 v[1:2], v3, off offset:2048
	s_or_b32 exec_lo, exec_lo, s0
                                        ; implicit-def: $vgpr3
	s_and_saveexec_b32 s0, s2
	s_cbranch_execnz .LBB17_15
	s_branch .LBB17_16
	.section	.rodata,"a",@progbits
	.p2align	6, 0x0
	.amdhsa_kernel _ZN7rocprim17ROCPRIM_304000_NS6detail16transform_kernelINS1_24wrapped_transform_configINS0_14default_configEaEEaPaS6_NS0_8identityIaEEEEvT1_mT2_T3_
		.amdhsa_group_segment_fixed_size 0
		.amdhsa_private_segment_fixed_size 0
		.amdhsa_kernarg_size 288
		.amdhsa_user_sgpr_count 15
		.amdhsa_user_sgpr_dispatch_ptr 0
		.amdhsa_user_sgpr_queue_ptr 0
		.amdhsa_user_sgpr_kernarg_segment_ptr 1
		.amdhsa_user_sgpr_dispatch_id 0
		.amdhsa_user_sgpr_private_segment_size 0
		.amdhsa_wavefront_size32 1
		.amdhsa_uses_dynamic_stack 0
		.amdhsa_enable_private_segment 0
		.amdhsa_system_sgpr_workgroup_id_x 1
		.amdhsa_system_sgpr_workgroup_id_y 0
		.amdhsa_system_sgpr_workgroup_id_z 0
		.amdhsa_system_sgpr_workgroup_info 0
		.amdhsa_system_vgpr_workitem_id 0
		.amdhsa_next_free_vgpr 9
		.amdhsa_next_free_sgpr 16
		.amdhsa_reserve_vcc 1
		.amdhsa_float_round_mode_32 0
		.amdhsa_float_round_mode_16_64 0
		.amdhsa_float_denorm_mode_32 3
		.amdhsa_float_denorm_mode_16_64 3
		.amdhsa_dx10_clamp 1
		.amdhsa_ieee_mode 1
		.amdhsa_fp16_overflow 0
		.amdhsa_workgroup_processor_mode 1
		.amdhsa_memory_ordered 1
		.amdhsa_forward_progress 0
		.amdhsa_shared_vgpr_count 0
		.amdhsa_exception_fp_ieee_invalid_op 0
		.amdhsa_exception_fp_denorm_src 0
		.amdhsa_exception_fp_ieee_div_zero 0
		.amdhsa_exception_fp_ieee_overflow 0
		.amdhsa_exception_fp_ieee_underflow 0
		.amdhsa_exception_fp_ieee_inexact 0
		.amdhsa_exception_int_div_zero 0
	.end_amdhsa_kernel
	.section	.text._ZN7rocprim17ROCPRIM_304000_NS6detail16transform_kernelINS1_24wrapped_transform_configINS0_14default_configEaEEaPaS6_NS0_8identityIaEEEEvT1_mT2_T3_,"axG",@progbits,_ZN7rocprim17ROCPRIM_304000_NS6detail16transform_kernelINS1_24wrapped_transform_configINS0_14default_configEaEEaPaS6_NS0_8identityIaEEEEvT1_mT2_T3_,comdat
.Lfunc_end17:
	.size	_ZN7rocprim17ROCPRIM_304000_NS6detail16transform_kernelINS1_24wrapped_transform_configINS0_14default_configEaEEaPaS6_NS0_8identityIaEEEEvT1_mT2_T3_, .Lfunc_end17-_ZN7rocprim17ROCPRIM_304000_NS6detail16transform_kernelINS1_24wrapped_transform_configINS0_14default_configEaEEaPaS6_NS0_8identityIaEEEEvT1_mT2_T3_
                                        ; -- End function
	.section	.AMDGPU.csdata,"",@progbits
; Kernel info:
; codeLenInByte = 704
; NumSgprs: 18
; NumVgprs: 9
; ScratchSize: 0
; MemoryBound: 0
; FloatMode: 240
; IeeeMode: 1
; LDSByteSize: 0 bytes/workgroup (compile time only)
; SGPRBlocks: 2
; VGPRBlocks: 1
; NumSGPRsForWavesPerEU: 18
; NumVGPRsForWavesPerEU: 9
; Occupancy: 16
; WaveLimiterHint : 1
; COMPUTE_PGM_RSRC2:SCRATCH_EN: 0
; COMPUTE_PGM_RSRC2:USER_SGPR: 15
; COMPUTE_PGM_RSRC2:TRAP_HANDLER: 0
; COMPUTE_PGM_RSRC2:TGID_X_EN: 1
; COMPUTE_PGM_RSRC2:TGID_Y_EN: 0
; COMPUTE_PGM_RSRC2:TGID_Z_EN: 0
; COMPUTE_PGM_RSRC2:TIDIG_COMP_CNT: 0
	.section	.text._ZN7rocprim17ROCPRIM_304000_NS6detail18single_scan_kernelILb0ENS1_19wrapped_scan_configINS0_14default_configEaEEPKaPaSt4plusIaEaaEEvT1_mT4_T2_T3_,"axG",@progbits,_ZN7rocprim17ROCPRIM_304000_NS6detail18single_scan_kernelILb0ENS1_19wrapped_scan_configINS0_14default_configEaEEPKaPaSt4plusIaEaaEEvT1_mT4_T2_T3_,comdat
	.protected	_ZN7rocprim17ROCPRIM_304000_NS6detail18single_scan_kernelILb0ENS1_19wrapped_scan_configINS0_14default_configEaEEPKaPaSt4plusIaEaaEEvT1_mT4_T2_T3_ ; -- Begin function _ZN7rocprim17ROCPRIM_304000_NS6detail18single_scan_kernelILb0ENS1_19wrapped_scan_configINS0_14default_configEaEEPKaPaSt4plusIaEaaEEvT1_mT4_T2_T3_
	.globl	_ZN7rocprim17ROCPRIM_304000_NS6detail18single_scan_kernelILb0ENS1_19wrapped_scan_configINS0_14default_configEaEEPKaPaSt4plusIaEaaEEvT1_mT4_T2_T3_
	.p2align	8
	.type	_ZN7rocprim17ROCPRIM_304000_NS6detail18single_scan_kernelILb0ENS1_19wrapped_scan_configINS0_14default_configEaEEPKaPaSt4plusIaEaaEEvT1_mT4_T2_T3_,@function
_ZN7rocprim17ROCPRIM_304000_NS6detail18single_scan_kernelILb0ENS1_19wrapped_scan_configINS0_14default_configEaEEPKaPaSt4plusIaEaaEEvT1_mT4_T2_T3_: ; @_ZN7rocprim17ROCPRIM_304000_NS6detail18single_scan_kernelILb0ENS1_19wrapped_scan_configINS0_14default_configEaEEPKaPaSt4plusIaEaaEEvT1_mT4_T2_T3_
; %bb.0:
	s_load_b128 s[24:27], s[0:1], 0x0
	v_mov_b32_e32 v1, 0
	s_waitcnt lgkmcnt(0)
	global_load_u8 v3, v1, s[24:25]
	v_add_co_u32 v1, s2, s24, v0
	s_delay_alu instid0(VALU_DEP_1)
	v_add_co_ci_u32_e64 v2, null, s25, 0, s2
	v_cmp_gt_u32_e32 vcc_lo, s26, v0
	s_waitcnt vmcnt(0)
	v_mov_b32_e32 v4, v3
	s_and_saveexec_b32 s2, vcc_lo
	s_cbranch_execz .LBB18_2
; %bb.1:
	global_load_u8 v4, v[1:2], off
.LBB18_2:
	s_or_b32 exec_lo, exec_lo, s2
	v_or_b32_e32 v5, 0x100, v0
	s_delay_alu instid0(VALU_DEP_1) | instskip(SKIP_1) | instid1(VALU_DEP_2)
	v_cmp_gt_u32_e64 s2, s26, v5
	v_mov_b32_e32 v5, v3
	s_and_saveexec_b32 s3, s2
	s_cbranch_execz .LBB18_4
; %bb.3:
	global_load_u8 v5, v[1:2], off offset:256
.LBB18_4:
	s_or_b32 exec_lo, exec_lo, s3
	v_or_b32_e32 v6, 0x200, v0
	s_delay_alu instid0(VALU_DEP_1) | instskip(SKIP_1) | instid1(VALU_DEP_2)
	v_cmp_gt_u32_e64 s3, s26, v6
	v_mov_b32_e32 v6, v3
	s_and_saveexec_b32 s4, s3
	s_cbranch_execz .LBB18_6
; %bb.5:
	global_load_u8 v6, v[1:2], off offset:512
.LBB18_6:
	;; [unrolled: 10-line block ×15, first 2 shown]
	s_or_b32 exec_lo, exec_lo, s17
	v_or_b32_e32 v20, 0x1000, v0
	s_delay_alu instid0(VALU_DEP_1) | instskip(SKIP_1) | instid1(VALU_DEP_2)
	v_cmp_gt_u32_e64 s17, s26, v20
	v_mov_b32_e32 v20, v3
	s_and_saveexec_b32 s19, s17
	s_cbranch_execz .LBB18_34
; %bb.33:
	v_add_co_u32 v20, s18, 0x1000, v1
	s_delay_alu instid0(VALU_DEP_1)
	v_add_co_ci_u32_e64 v21, s18, 0, v2, s18
	global_load_u8 v20, v[20:21], off
.LBB18_34:
	s_or_b32 exec_lo, exec_lo, s19
	v_or_b32_e32 v21, 0x1100, v0
	s_delay_alu instid0(VALU_DEP_1) | instskip(SKIP_1) | instid1(VALU_DEP_2)
	v_cmp_gt_u32_e64 s18, s26, v21
	v_mov_b32_e32 v21, v3
	s_and_saveexec_b32 s20, s18
	s_cbranch_execz .LBB18_36
; %bb.35:
	v_add_co_u32 v21, s19, 0x1000, v1
	s_delay_alu instid0(VALU_DEP_1)
	v_add_co_ci_u32_e64 v22, s19, 0, v2, s19
	global_load_u8 v21, v[21:22], off offset:256
.LBB18_36:
	s_or_b32 exec_lo, exec_lo, s20
	v_or_b32_e32 v22, 0x1200, v0
	s_delay_alu instid0(VALU_DEP_1) | instskip(SKIP_1) | instid1(VALU_DEP_2)
	v_cmp_gt_u32_e64 s19, s26, v22
	v_mov_b32_e32 v22, v3
	s_and_saveexec_b32 s21, s19
	s_cbranch_execz .LBB18_38
; %bb.37:
	v_add_co_u32 v22, s20, 0x1000, v1
	s_delay_alu instid0(VALU_DEP_1)
	v_add_co_ci_u32_e64 v23, s20, 0, v2, s20
	global_load_u8 v22, v[22:23], off offset:512
.LBB18_38:
	;; [unrolled: 13-line block ×6, first 2 shown]
	s_or_b32 exec_lo, exec_lo, s25
	v_or_b32_e32 v27, 0x1700, v0
	s_delay_alu instid0(VALU_DEP_1) | instskip(NEXT) | instid1(VALU_DEP_1)
	v_cmp_gt_u32_e64 s24, s26, v27
	s_and_saveexec_b32 s26, s24
	s_cbranch_execz .LBB18_48
; %bb.47:
	v_add_co_u32 v1, s25, 0x1000, v1
	s_delay_alu instid0(VALU_DEP_1)
	v_add_co_ci_u32_e64 v2, s25, 0, v2, s25
	global_load_u8 v3, v[1:2], off offset:1792
.LBB18_48:
	s_or_b32 exec_lo, exec_lo, s26
	s_waitcnt vmcnt(0)
	ds_store_b8 v0, v4
	ds_store_b8 v0, v5 offset:256
	ds_store_b8 v0, v6 offset:512
	;; [unrolled: 1-line block ×15, first 2 shown]
	v_mad_u32_u24 v5, v0, 23, v0
	ds_store_b8 v0, v20 offset:4096
	ds_store_b8 v0, v21 offset:4352
	;; [unrolled: 1-line block ×8, first 2 shown]
	s_waitcnt lgkmcnt(0)
	s_barrier
	buffer_gl0_inv
	ds_load_2addr_b64 v[1:4], v5 offset1:1
	ds_load_b64 v[5:6], v5 offset:16
	v_or_b32_e32 v29, 31, v0
	s_mov_b32 s26, exec_lo
	s_waitcnt lgkmcnt(0)
	s_barrier
	buffer_gl0_inv
	v_lshrrev_b32_e32 v14, 8, v1
	v_lshrrev_b32_e32 v15, 16, v1
	;; [unrolled: 1-line block ×5, first 2 shown]
	v_add_nc_u16 v7, v14, v1
	v_lshrrev_b32_e32 v20, 24, v2
	v_lshrrev_b32_e32 v21, 8, v3
	v_lshrrev_b32_e32 v22, 16, v3
	v_lshrrev_b32_e32 v23, 24, v3
	v_add_nc_u16 v7, v7, v15
	v_lshrrev_b32_e32 v24, 8, v4
	v_lshrrev_b32_e32 v16, 16, v4
	v_lshrrev_b32_e32 v13, 24, v4
	v_lshrrev_b32_e32 v12, 8, v5
	;; [unrolled: 5-line block ×3, first 2 shown]
	v_add_nc_u16 v7, v7, v2
	s_delay_alu instid0(VALU_DEP_1) | instskip(NEXT) | instid1(VALU_DEP_1)
	v_add_nc_u16 v7, v7, v18
	v_add_nc_u16 v7, v7, v19
	s_delay_alu instid0(VALU_DEP_1) | instskip(NEXT) | instid1(VALU_DEP_1)
	v_add_nc_u16 v7, v7, v20
	;; [unrolled: 3-line block ×8, first 2 shown]
	v_add_nc_u16 v7, v7, v6
	s_delay_alu instid0(VALU_DEP_1) | instskip(SKIP_1) | instid1(VALU_DEP_2)
	v_add_nc_u16 v25, v7, v9
	v_lshrrev_b32_e32 v7, 24, v6
	v_add_nc_u16 v25, v25, v8
	s_delay_alu instid0(VALU_DEP_1) | instskip(SKIP_1) | instid1(VALU_DEP_2)
	v_add_nc_u16 v26, v25, v7
	v_mbcnt_lo_u32_b32 v25, -1, 0
	v_and_b32_e32 v27, 0xff, v26
	s_delay_alu instid0(VALU_DEP_2) | instskip(NEXT) | instid1(VALU_DEP_2)
	v_and_b32_e32 v28, 15, v25
	v_mov_b32_dpp v27, v27 row_shr:1 row_mask:0xf bank_mask:0xf
	s_delay_alu instid0(VALU_DEP_2) | instskip(NEXT) | instid1(VALU_DEP_1)
	v_cmp_ne_u32_e64 s25, 0, v28
	v_cndmask_b32_e64 v27, 0, v27, s25
	v_cmp_lt_u32_e64 s25, 1, v28
	s_delay_alu instid0(VALU_DEP_2) | instskip(NEXT) | instid1(VALU_DEP_1)
	v_add_nc_u16 v26, v27, v26
	v_and_b32_e32 v27, 0xff, v26
	s_delay_alu instid0(VALU_DEP_1) | instskip(NEXT) | instid1(VALU_DEP_1)
	v_mov_b32_dpp v27, v27 row_shr:2 row_mask:0xf bank_mask:0xf
	v_cndmask_b32_e64 v27, 0, v27, s25
	v_cmp_lt_u32_e64 s25, 3, v28
	s_delay_alu instid0(VALU_DEP_2) | instskip(NEXT) | instid1(VALU_DEP_1)
	v_add_nc_u16 v26, v26, v27
	v_and_b32_e32 v27, 0xff, v26
	s_delay_alu instid0(VALU_DEP_1) | instskip(NEXT) | instid1(VALU_DEP_1)
	v_mov_b32_dpp v27, v27 row_shr:4 row_mask:0xf bank_mask:0xf
	v_cndmask_b32_e64 v27, 0, v27, s25
	v_cmp_lt_u32_e64 s25, 7, v28
	v_and_b32_e32 v28, 16, v25
	s_delay_alu instid0(VALU_DEP_3) | instskip(NEXT) | instid1(VALU_DEP_1)
	v_add_nc_u16 v26, v26, v27
	v_and_b32_e32 v27, 0xff, v26
	s_delay_alu instid0(VALU_DEP_1) | instskip(NEXT) | instid1(VALU_DEP_1)
	v_mov_b32_dpp v27, v27 row_shr:8 row_mask:0xf bank_mask:0xf
	v_cndmask_b32_e64 v27, 0, v27, s25
	v_cmp_ne_u32_e64 s25, 0, v28
	v_lshrrev_b32_e32 v28, 5, v0
	s_delay_alu instid0(VALU_DEP_3) | instskip(NEXT) | instid1(VALU_DEP_1)
	v_add_nc_u16 v26, v26, v27
	v_and_b32_e32 v27, 0xff, v26
	ds_swizzle_b32 v27, v27 offset:swizzle(BROADCAST,32,15)
	s_waitcnt lgkmcnt(0)
	v_cndmask_b32_e64 v27, 0, v27, s25
	s_delay_alu instid0(VALU_DEP_1)
	v_add_nc_u16 v27, v26, v27
	v_cmpx_eq_u32_e64 v29, v0
	s_cbranch_execz .LBB18_50
; %bb.49:
	ds_store_b8 v28, v27
.LBB18_50:
	s_or_b32 exec_lo, exec_lo, s26
	s_delay_alu instid0(SALU_CYCLE_1)
	s_mov_b32 s26, exec_lo
	s_waitcnt lgkmcnt(0)
	s_barrier
	buffer_gl0_inv
	v_cmpx_gt_u32_e32 8, v0
	s_cbranch_execz .LBB18_52
; %bb.51:
	ds_load_u8 v26, v0
	v_and_b32_e32 v30, 7, v25
	s_delay_alu instid0(VALU_DEP_1) | instskip(SKIP_2) | instid1(VALU_DEP_1)
	v_cmp_ne_u32_e64 s25, 0, v30
	s_waitcnt lgkmcnt(0)
	v_and_b32_e32 v29, 0xff, v26
	v_mov_b32_dpp v29, v29 row_shr:1 row_mask:0xf bank_mask:0xf
	s_delay_alu instid0(VALU_DEP_1) | instskip(SKIP_1) | instid1(VALU_DEP_2)
	v_cndmask_b32_e64 v29, 0, v29, s25
	v_cmp_lt_u32_e64 s25, 1, v30
	v_add_nc_u16 v26, v29, v26
	s_delay_alu instid0(VALU_DEP_1) | instskip(NEXT) | instid1(VALU_DEP_1)
	v_and_b32_e32 v29, 0xff, v26
	v_mov_b32_dpp v29, v29 row_shr:2 row_mask:0xf bank_mask:0xf
	s_delay_alu instid0(VALU_DEP_1) | instskip(SKIP_1) | instid1(VALU_DEP_2)
	v_cndmask_b32_e64 v29, 0, v29, s25
	v_cmp_lt_u32_e64 s25, 3, v30
	v_add_nc_u16 v26, v26, v29
	s_delay_alu instid0(VALU_DEP_1) | instskip(NEXT) | instid1(VALU_DEP_1)
	v_and_b32_e32 v29, 0xff, v26
	v_mov_b32_dpp v29, v29 row_shr:4 row_mask:0xf bank_mask:0xf
	s_delay_alu instid0(VALU_DEP_1) | instskip(NEXT) | instid1(VALU_DEP_1)
	v_cndmask_b32_e64 v29, 0, v29, s25
	v_add_nc_u16 v26, v26, v29
	ds_store_b8 v0, v26
.LBB18_52:
	s_or_b32 exec_lo, exec_lo, s26
	v_mul_u32_u24_e32 v26, 23, v0
	s_mov_b32 s26, exec_lo
	s_waitcnt lgkmcnt(0)
	s_barrier
	buffer_gl0_inv
                                        ; implicit-def: $vgpr29
	v_cmpx_lt_u32_e32 31, v0
	s_cbranch_execz .LBB18_54
; %bb.53:
	v_add_nc_u32_e32 v28, -1, v28
	ds_load_u8 v29, v28
	s_waitcnt lgkmcnt(0)
	v_add_nc_u16 v27, v29, v27
.LBB18_54:
	s_or_b32 exec_lo, exec_lo, s26
	v_add_nc_u32_e32 v28, -1, v25
	s_delay_alu instid0(VALU_DEP_2) | instskip(SKIP_4) | instid1(VALU_DEP_1)
	v_and_b32_e32 v27, 0xff, v27
	s_barrier
	buffer_gl0_inv
	v_cmp_gt_i32_e64 s25, 0, v28
	s_load_b64 s[0:1], s[0:1], 0x18
	v_cndmask_b32_e64 v28, v28, v25, s25
	v_cmp_eq_u32_e64 s25, 0, v25
	s_delay_alu instid0(VALU_DEP_2) | instskip(SKIP_4) | instid1(VALU_DEP_1)
	v_lshlrev_b32_e32 v28, 2, v28
	ds_bpermute_b32 v27, v28, v27
	s_waitcnt lgkmcnt(0)
	v_cndmask_b32_e64 v25, v27, v29, s25
	v_cmp_ne_u32_e64 s25, 0, v0
	v_cndmask_b32_e64 v25, 0, v25, s25
	s_delay_alu instid0(VALU_DEP_1) | instskip(NEXT) | instid1(VALU_DEP_1)
	v_add_nc_u16 v1, v25, v1
	v_add_nc_u16 v14, v1, v14
	v_and_b32_e32 v1, 0xff, v1
	s_delay_alu instid0(VALU_DEP_2) | instskip(SKIP_1) | instid1(VALU_DEP_2)
	v_add_nc_u16 v15, v14, v15
	v_lshlrev_b16 v14, 8, v14
	v_add_nc_u16 v17, v15, v17
	v_and_b32_e32 v15, 0xff, v15
	s_delay_alu instid0(VALU_DEP_3) | instskip(NEXT) | instid1(VALU_DEP_3)
	v_or_b32_e32 v1, v1, v14
	v_add_nc_u16 v2, v17, v2
	v_lshlrev_b16 v17, 8, v17
	s_delay_alu instid0(VALU_DEP_3) | instskip(NEXT) | instid1(VALU_DEP_3)
	v_and_b32_e32 v1, 0xffff, v1
	v_add_nc_u16 v18, v2, v18
	s_delay_alu instid0(VALU_DEP_3) | instskip(SKIP_1) | instid1(VALU_DEP_3)
	v_or_b32_e32 v14, v15, v17
	v_and_b32_e32 v2, 0xff, v2
	v_add_nc_u16 v19, v18, v19
	v_lshlrev_b16 v15, 8, v18
	s_delay_alu instid0(VALU_DEP_4) | instskip(SKIP_1) | instid1(VALU_DEP_4)
	v_lshlrev_b32_e32 v14, 16, v14
	v_add_nc_u32_e32 v18, v0, v26
	v_add_nc_u16 v20, v19, v20
	s_delay_alu instid0(VALU_DEP_4) | instskip(SKIP_2) | instid1(VALU_DEP_4)
	v_or_b32_e32 v2, v2, v15
	v_and_b32_e32 v15, 0xff, v19
	v_or_b32_e32 v1, v1, v14
	v_add_nc_u16 v3, v20, v3
	v_lshlrev_b16 v17, 8, v20
	v_and_b32_e32 v2, 0xffff, v2
	s_delay_alu instid0(VALU_DEP_3) | instskip(NEXT) | instid1(VALU_DEP_3)
	v_add_nc_u16 v21, v3, v21
	v_or_b32_e32 v14, v15, v17
	v_and_b32_e32 v3, 0xff, v3
	s_delay_alu instid0(VALU_DEP_3) | instskip(SKIP_1) | instid1(VALU_DEP_4)
	v_add_nc_u16 v22, v21, v22
	v_lshlrev_b16 v15, 8, v21
	v_lshlrev_b32_e32 v14, 16, v14
	s_delay_alu instid0(VALU_DEP_3) | instskip(SKIP_1) | instid1(VALU_DEP_4)
	v_add_nc_u16 v23, v22, v23
	v_and_b32_e32 v17, 0xff, v22
	v_or_b32_e32 v3, v3, v15
	s_delay_alu instid0(VALU_DEP_4) | instskip(NEXT) | instid1(VALU_DEP_4)
	v_or_b32_e32 v2, v2, v14
	v_add_nc_u16 v4, v23, v4
	v_lshlrev_b16 v19, 8, v23
	s_delay_alu instid0(VALU_DEP_4) | instskip(NEXT) | instid1(VALU_DEP_3)
	v_and_b32_e32 v3, 0xffff, v3
	v_add_nc_u16 v24, v4, v24
	v_and_b32_e32 v4, 0xff, v4
	s_delay_alu instid0(VALU_DEP_4) | instskip(NEXT) | instid1(VALU_DEP_3)
	v_or_b32_e32 v15, v17, v19
	v_add_nc_u16 v16, v24, v16
	v_lshlrev_b16 v20, 8, v24
	s_delay_alu instid0(VALU_DEP_3) | instskip(NEXT) | instid1(VALU_DEP_3)
	v_lshlrev_b32_e32 v15, 16, v15
	v_add_nc_u16 v13, v16, v13
	v_and_b32_e32 v16, 0xff, v16
	s_delay_alu instid0(VALU_DEP_4) | instskip(NEXT) | instid1(VALU_DEP_4)
	v_or_b32_e32 v4, v4, v20
	v_or_b32_e32 v3, v3, v15
	s_delay_alu instid0(VALU_DEP_4) | instskip(SKIP_1) | instid1(VALU_DEP_4)
	v_add_nc_u16 v5, v13, v5
	v_lshlrev_b16 v13, 8, v13
	v_and_b32_e32 v4, 0xffff, v4
	s_delay_alu instid0(VALU_DEP_3) | instskip(SKIP_1) | instid1(VALU_DEP_4)
	v_add_nc_u16 v12, v5, v12
	v_and_b32_e32 v5, 0xff, v5
	v_or_b32_e32 v13, v16, v13
	s_delay_alu instid0(VALU_DEP_3) | instskip(SKIP_1) | instid1(VALU_DEP_2)
	v_add_nc_u16 v11, v12, v11
	v_lshlrev_b16 v12, 8, v12
	v_add_nc_u16 v10, v11, v10
	v_and_b32_e32 v11, 0xff, v11
	s_delay_alu instid0(VALU_DEP_3) | instskip(NEXT) | instid1(VALU_DEP_3)
	v_or_b32_e32 v5, v5, v12
	v_add_nc_u16 v6, v10, v6
	v_lshlrev_b16 v10, 8, v10
	s_delay_alu instid0(VALU_DEP_3) | instskip(NEXT) | instid1(VALU_DEP_3)
	v_and_b32_e32 v5, 0xffff, v5
	v_add_nc_u16 v9, v6, v9
	v_and_b32_e32 v6, 0xff, v6
	s_delay_alu instid0(VALU_DEP_4) | instskip(NEXT) | instid1(VALU_DEP_3)
	v_or_b32_e32 v10, v11, v10
	v_add_nc_u16 v8, v9, v8
	v_lshlrev_b16 v9, 8, v9
	s_delay_alu instid0(VALU_DEP_2) | instskip(SKIP_1) | instid1(VALU_DEP_3)
	v_add_nc_u16 v7, v8, v7
	v_and_b32_e32 v8, 0xff, v8
	v_or_b32_e32 v6, v6, v9
	v_lshlrev_b32_e32 v9, 16, v10
	s_delay_alu instid0(VALU_DEP_4) | instskip(NEXT) | instid1(VALU_DEP_3)
	v_lshlrev_b16 v7, 8, v7
	v_and_b32_e32 v6, 0xffff, v6
	s_delay_alu instid0(VALU_DEP_3) | instskip(NEXT) | instid1(VALU_DEP_3)
	v_or_b32_e32 v5, v5, v9
	v_or_b32_e32 v7, v8, v7
	v_lshlrev_b32_e32 v8, 16, v13
	s_delay_alu instid0(VALU_DEP_2) | instskip(NEXT) | instid1(VALU_DEP_2)
	v_lshlrev_b32_e32 v7, 16, v7
	v_or_b32_e32 v4, v4, v8
	s_delay_alu instid0(VALU_DEP_2)
	v_or_b32_e32 v6, v6, v7
	ds_store_2addr_b64 v18, v[1:2], v[3:4] offset1:1
	ds_store_b64 v18, v[5:6] offset:16
	s_waitcnt lgkmcnt(0)
	s_barrier
	buffer_gl0_inv
	ds_load_u8 v25, v0 offset:256
	ds_load_u8 v24, v0 offset:512
	;; [unrolled: 1-line block ×23, first 2 shown]
	v_add_co_u32 v1, s0, s0, v0
	s_delay_alu instid0(VALU_DEP_1)
	v_add_co_ci_u32_e64 v2, null, s1, 0, s0
	s_and_saveexec_b32 s0, vcc_lo
	s_cbranch_execnz .LBB18_79
; %bb.55:
	s_or_b32 exec_lo, exec_lo, s0
	s_and_saveexec_b32 s0, s2
	s_cbranch_execnz .LBB18_80
.LBB18_56:
	s_or_b32 exec_lo, exec_lo, s0
	s_and_saveexec_b32 s0, s3
	s_cbranch_execnz .LBB18_81
.LBB18_57:
	s_or_b32 exec_lo, exec_lo, s0
	s_and_saveexec_b32 s0, s4
	s_cbranch_execnz .LBB18_82
.LBB18_58:
	s_or_b32 exec_lo, exec_lo, s0
	s_and_saveexec_b32 s0, s5
	s_cbranch_execnz .LBB18_83
.LBB18_59:
	s_or_b32 exec_lo, exec_lo, s0
	s_and_saveexec_b32 s0, s6
	s_cbranch_execnz .LBB18_84
.LBB18_60:
	s_or_b32 exec_lo, exec_lo, s0
	s_and_saveexec_b32 s0, s7
	s_cbranch_execnz .LBB18_85
.LBB18_61:
	s_or_b32 exec_lo, exec_lo, s0
	s_and_saveexec_b32 s0, s8
	s_cbranch_execnz .LBB18_86
.LBB18_62:
	s_or_b32 exec_lo, exec_lo, s0
	s_and_saveexec_b32 s0, s9
	s_cbranch_execnz .LBB18_87
.LBB18_63:
	s_or_b32 exec_lo, exec_lo, s0
	s_and_saveexec_b32 s0, s10
	s_cbranch_execnz .LBB18_88
.LBB18_64:
	s_or_b32 exec_lo, exec_lo, s0
	s_and_saveexec_b32 s0, s11
	s_cbranch_execnz .LBB18_89
.LBB18_65:
	s_or_b32 exec_lo, exec_lo, s0
	s_and_saveexec_b32 s0, s12
	s_cbranch_execnz .LBB18_90
.LBB18_66:
	s_or_b32 exec_lo, exec_lo, s0
	s_and_saveexec_b32 s0, s13
	s_cbranch_execnz .LBB18_91
.LBB18_67:
	s_or_b32 exec_lo, exec_lo, s0
	s_and_saveexec_b32 s0, s14
	s_cbranch_execnz .LBB18_92
.LBB18_68:
	s_or_b32 exec_lo, exec_lo, s0
	s_and_saveexec_b32 s0, s15
	s_cbranch_execnz .LBB18_93
.LBB18_69:
	s_or_b32 exec_lo, exec_lo, s0
	s_and_saveexec_b32 s0, s16
	s_cbranch_execnz .LBB18_94
.LBB18_70:
	s_or_b32 exec_lo, exec_lo, s0
	s_and_saveexec_b32 s0, s17
	s_cbranch_execnz .LBB18_95
.LBB18_71:
	s_or_b32 exec_lo, exec_lo, s0
	s_and_saveexec_b32 s0, s18
	s_cbranch_execnz .LBB18_96
.LBB18_72:
	s_or_b32 exec_lo, exec_lo, s0
	s_and_saveexec_b32 s0, s19
	s_cbranch_execnz .LBB18_97
.LBB18_73:
	s_or_b32 exec_lo, exec_lo, s0
	s_and_saveexec_b32 s0, s20
	s_cbranch_execnz .LBB18_98
.LBB18_74:
	s_or_b32 exec_lo, exec_lo, s0
	s_and_saveexec_b32 s0, s21
	s_cbranch_execnz .LBB18_99
.LBB18_75:
	s_or_b32 exec_lo, exec_lo, s0
	s_and_saveexec_b32 s0, s22
	s_cbranch_execnz .LBB18_100
.LBB18_76:
	s_or_b32 exec_lo, exec_lo, s0
	s_and_saveexec_b32 s0, s23
	s_cbranch_execnz .LBB18_101
.LBB18_77:
	s_or_b32 exec_lo, exec_lo, s0
	s_and_saveexec_b32 s0, s24
	s_cbranch_execnz .LBB18_102
.LBB18_78:
	s_nop 0
	s_sendmsg sendmsg(MSG_DEALLOC_VGPRS)
	s_endpgm
.LBB18_79:
	ds_load_u8 v0, v0
	s_waitcnt lgkmcnt(0)
	global_store_b8 v[1:2], v0, off
	s_or_b32 exec_lo, exec_lo, s0
	s_and_saveexec_b32 s0, s2
	s_cbranch_execz .LBB18_56
.LBB18_80:
	s_waitcnt lgkmcnt(22)
	global_store_b8 v[1:2], v25, off offset:256
	s_or_b32 exec_lo, exec_lo, s0
	s_and_saveexec_b32 s0, s3
	s_cbranch_execz .LBB18_57
.LBB18_81:
	s_waitcnt lgkmcnt(21)
	global_store_b8 v[1:2], v24, off offset:512
	s_or_b32 exec_lo, exec_lo, s0
	s_and_saveexec_b32 s0, s4
	s_cbranch_execz .LBB18_58
.LBB18_82:
	s_waitcnt lgkmcnt(20)
	global_store_b8 v[1:2], v23, off offset:768
	s_or_b32 exec_lo, exec_lo, s0
	s_and_saveexec_b32 s0, s5
	s_cbranch_execz .LBB18_59
.LBB18_83:
	s_waitcnt lgkmcnt(19)
	global_store_b8 v[1:2], v22, off offset:1024
	s_or_b32 exec_lo, exec_lo, s0
	s_and_saveexec_b32 s0, s6
	s_cbranch_execz .LBB18_60
.LBB18_84:
	s_waitcnt lgkmcnt(18)
	global_store_b8 v[1:2], v21, off offset:1280
	s_or_b32 exec_lo, exec_lo, s0
	s_and_saveexec_b32 s0, s7
	s_cbranch_execz .LBB18_61
.LBB18_85:
	s_waitcnt lgkmcnt(17)
	global_store_b8 v[1:2], v20, off offset:1536
	s_or_b32 exec_lo, exec_lo, s0
	s_and_saveexec_b32 s0, s8
	s_cbranch_execz .LBB18_62
.LBB18_86:
	s_waitcnt lgkmcnt(16)
	global_store_b8 v[1:2], v19, off offset:1792
	s_or_b32 exec_lo, exec_lo, s0
	s_and_saveexec_b32 s0, s9
	s_cbranch_execz .LBB18_63
.LBB18_87:
	s_waitcnt lgkmcnt(15)
	global_store_b8 v[1:2], v18, off offset:2048
	s_or_b32 exec_lo, exec_lo, s0
	s_and_saveexec_b32 s0, s10
	s_cbranch_execz .LBB18_64
.LBB18_88:
	s_waitcnt lgkmcnt(14)
	global_store_b8 v[1:2], v17, off offset:2304
	s_or_b32 exec_lo, exec_lo, s0
	s_and_saveexec_b32 s0, s11
	s_cbranch_execz .LBB18_65
.LBB18_89:
	s_waitcnt lgkmcnt(13)
	global_store_b8 v[1:2], v16, off offset:2560
	s_or_b32 exec_lo, exec_lo, s0
	s_and_saveexec_b32 s0, s12
	s_cbranch_execz .LBB18_66
.LBB18_90:
	s_waitcnt lgkmcnt(12)
	global_store_b8 v[1:2], v15, off offset:2816
	s_or_b32 exec_lo, exec_lo, s0
	s_and_saveexec_b32 s0, s13
	s_cbranch_execz .LBB18_67
.LBB18_91:
	s_waitcnt lgkmcnt(11)
	global_store_b8 v[1:2], v14, off offset:3072
	s_or_b32 exec_lo, exec_lo, s0
	s_and_saveexec_b32 s0, s14
	s_cbranch_execz .LBB18_68
.LBB18_92:
	s_waitcnt lgkmcnt(10)
	global_store_b8 v[1:2], v13, off offset:3328
	s_or_b32 exec_lo, exec_lo, s0
	s_and_saveexec_b32 s0, s15
	s_cbranch_execz .LBB18_69
.LBB18_93:
	s_waitcnt lgkmcnt(9)
	global_store_b8 v[1:2], v12, off offset:3584
	s_or_b32 exec_lo, exec_lo, s0
	s_and_saveexec_b32 s0, s16
	s_cbranch_execz .LBB18_70
.LBB18_94:
	s_waitcnt lgkmcnt(8)
	global_store_b8 v[1:2], v11, off offset:3840
	s_or_b32 exec_lo, exec_lo, s0
	s_and_saveexec_b32 s0, s17
	s_cbranch_execz .LBB18_71
.LBB18_95:
	s_waitcnt lgkmcnt(8)
	v_add_co_u32 v11, vcc_lo, 0x1000, v1
	v_add_co_ci_u32_e32 v12, vcc_lo, 0, v2, vcc_lo
	s_waitcnt lgkmcnt(7)
	global_store_b8 v[11:12], v10, off
	s_or_b32 exec_lo, exec_lo, s0
	s_and_saveexec_b32 s0, s18
	s_cbranch_execz .LBB18_72
.LBB18_96:
	s_waitcnt lgkmcnt(7)
	v_add_co_u32 v10, vcc_lo, 0x1000, v1
	v_add_co_ci_u32_e32 v11, vcc_lo, 0, v2, vcc_lo
	s_waitcnt lgkmcnt(6)
	global_store_b8 v[10:11], v9, off offset:256
	s_or_b32 exec_lo, exec_lo, s0
	s_and_saveexec_b32 s0, s19
	s_cbranch_execz .LBB18_73
.LBB18_97:
	s_waitcnt lgkmcnt(6)
	v_add_co_u32 v9, vcc_lo, 0x1000, v1
	v_add_co_ci_u32_e32 v10, vcc_lo, 0, v2, vcc_lo
	s_waitcnt lgkmcnt(5)
	global_store_b8 v[9:10], v8, off offset:512
	s_or_b32 exec_lo, exec_lo, s0
	s_and_saveexec_b32 s0, s20
	s_cbranch_execz .LBB18_74
.LBB18_98:
	s_waitcnt lgkmcnt(5)
	v_add_co_u32 v8, vcc_lo, 0x1000, v1
	v_add_co_ci_u32_e32 v9, vcc_lo, 0, v2, vcc_lo
	s_waitcnt lgkmcnt(4)
	global_store_b8 v[8:9], v7, off offset:768
	s_or_b32 exec_lo, exec_lo, s0
	s_and_saveexec_b32 s0, s21
	s_cbranch_execz .LBB18_75
.LBB18_99:
	s_waitcnt lgkmcnt(4)
	v_add_co_u32 v7, vcc_lo, 0x1000, v1
	v_add_co_ci_u32_e32 v8, vcc_lo, 0, v2, vcc_lo
	s_waitcnt lgkmcnt(3)
	global_store_b8 v[7:8], v6, off offset:1024
	s_or_b32 exec_lo, exec_lo, s0
	s_and_saveexec_b32 s0, s22
	s_cbranch_execz .LBB18_76
.LBB18_100:
	s_waitcnt lgkmcnt(3)
	v_add_co_u32 v6, vcc_lo, 0x1000, v1
	v_add_co_ci_u32_e32 v7, vcc_lo, 0, v2, vcc_lo
	s_waitcnt lgkmcnt(2)
	global_store_b8 v[6:7], v5, off offset:1280
	s_or_b32 exec_lo, exec_lo, s0
	s_and_saveexec_b32 s0, s23
	s_cbranch_execz .LBB18_77
.LBB18_101:
	s_waitcnt lgkmcnt(2)
	v_add_co_u32 v5, vcc_lo, 0x1000, v1
	v_add_co_ci_u32_e32 v6, vcc_lo, 0, v2, vcc_lo
	s_waitcnt lgkmcnt(1)
	global_store_b8 v[5:6], v4, off offset:1536
	s_or_b32 exec_lo, exec_lo, s0
	s_and_saveexec_b32 s0, s24
	s_cbranch_execz .LBB18_78
.LBB18_102:
	v_add_co_u32 v0, vcc_lo, 0x1000, v1
	v_add_co_ci_u32_e32 v1, vcc_lo, 0, v2, vcc_lo
	s_waitcnt lgkmcnt(0)
	global_store_b8 v[0:1], v3, off offset:1792
	s_nop 0
	s_sendmsg sendmsg(MSG_DEALLOC_VGPRS)
	s_endpgm
	.section	.rodata,"a",@progbits
	.p2align	6, 0x0
	.amdhsa_kernel _ZN7rocprim17ROCPRIM_304000_NS6detail18single_scan_kernelILb0ENS1_19wrapped_scan_configINS0_14default_configEaEEPKaPaSt4plusIaEaaEEvT1_mT4_T2_T3_
		.amdhsa_group_segment_fixed_size 6144
		.amdhsa_private_segment_fixed_size 0
		.amdhsa_kernarg_size 36
		.amdhsa_user_sgpr_count 15
		.amdhsa_user_sgpr_dispatch_ptr 0
		.amdhsa_user_sgpr_queue_ptr 0
		.amdhsa_user_sgpr_kernarg_segment_ptr 1
		.amdhsa_user_sgpr_dispatch_id 0
		.amdhsa_user_sgpr_private_segment_size 0
		.amdhsa_wavefront_size32 1
		.amdhsa_uses_dynamic_stack 0
		.amdhsa_enable_private_segment 0
		.amdhsa_system_sgpr_workgroup_id_x 1
		.amdhsa_system_sgpr_workgroup_id_y 0
		.amdhsa_system_sgpr_workgroup_id_z 0
		.amdhsa_system_sgpr_workgroup_info 0
		.amdhsa_system_vgpr_workitem_id 0
		.amdhsa_next_free_vgpr 31
		.amdhsa_next_free_sgpr 28
		.amdhsa_reserve_vcc 1
		.amdhsa_float_round_mode_32 0
		.amdhsa_float_round_mode_16_64 0
		.amdhsa_float_denorm_mode_32 3
		.amdhsa_float_denorm_mode_16_64 3
		.amdhsa_dx10_clamp 1
		.amdhsa_ieee_mode 1
		.amdhsa_fp16_overflow 0
		.amdhsa_workgroup_processor_mode 1
		.amdhsa_memory_ordered 1
		.amdhsa_forward_progress 0
		.amdhsa_shared_vgpr_count 0
		.amdhsa_exception_fp_ieee_invalid_op 0
		.amdhsa_exception_fp_denorm_src 0
		.amdhsa_exception_fp_ieee_div_zero 0
		.amdhsa_exception_fp_ieee_overflow 0
		.amdhsa_exception_fp_ieee_underflow 0
		.amdhsa_exception_fp_ieee_inexact 0
		.amdhsa_exception_int_div_zero 0
	.end_amdhsa_kernel
	.section	.text._ZN7rocprim17ROCPRIM_304000_NS6detail18single_scan_kernelILb0ENS1_19wrapped_scan_configINS0_14default_configEaEEPKaPaSt4plusIaEaaEEvT1_mT4_T2_T3_,"axG",@progbits,_ZN7rocprim17ROCPRIM_304000_NS6detail18single_scan_kernelILb0ENS1_19wrapped_scan_configINS0_14default_configEaEEPKaPaSt4plusIaEaaEEvT1_mT4_T2_T3_,comdat
.Lfunc_end18:
	.size	_ZN7rocprim17ROCPRIM_304000_NS6detail18single_scan_kernelILb0ENS1_19wrapped_scan_configINS0_14default_configEaEEPKaPaSt4plusIaEaaEEvT1_mT4_T2_T3_, .Lfunc_end18-_ZN7rocprim17ROCPRIM_304000_NS6detail18single_scan_kernelILb0ENS1_19wrapped_scan_configINS0_14default_configEaEEPKaPaSt4plusIaEaaEEvT1_mT4_T2_T3_
                                        ; -- End function
	.section	.AMDGPU.csdata,"",@progbits
; Kernel info:
; codeLenInByte = 4396
; NumSgprs: 30
; NumVgprs: 31
; ScratchSize: 0
; MemoryBound: 0
; FloatMode: 240
; IeeeMode: 1
; LDSByteSize: 6144 bytes/workgroup (compile time only)
; SGPRBlocks: 3
; VGPRBlocks: 3
; NumSGPRsForWavesPerEU: 30
; NumVGPRsForWavesPerEU: 31
; Occupancy: 16
; WaveLimiterHint : 0
; COMPUTE_PGM_RSRC2:SCRATCH_EN: 0
; COMPUTE_PGM_RSRC2:USER_SGPR: 15
; COMPUTE_PGM_RSRC2:TRAP_HANDLER: 0
; COMPUTE_PGM_RSRC2:TGID_X_EN: 1
; COMPUTE_PGM_RSRC2:TGID_Y_EN: 0
; COMPUTE_PGM_RSRC2:TGID_Z_EN: 0
; COMPUTE_PGM_RSRC2:TIDIG_COMP_CNT: 0
	.section	.text._ZN2at6native32tensor_kernel_scan_innermost_dimIaSt4plusIaEEEvPT_PKS4_jjjS4_T0_,"axG",@progbits,_ZN2at6native32tensor_kernel_scan_innermost_dimIaSt4plusIaEEEvPT_PKS4_jjjS4_T0_,comdat
	.protected	_ZN2at6native32tensor_kernel_scan_innermost_dimIaSt4plusIaEEEvPT_PKS4_jjjS4_T0_ ; -- Begin function _ZN2at6native32tensor_kernel_scan_innermost_dimIaSt4plusIaEEEvPT_PKS4_jjjS4_T0_
	.globl	_ZN2at6native32tensor_kernel_scan_innermost_dimIaSt4plusIaEEEvPT_PKS4_jjjS4_T0_
	.p2align	8
	.type	_ZN2at6native32tensor_kernel_scan_innermost_dimIaSt4plusIaEEEvPT_PKS4_jjjS4_T0_,@function
_ZN2at6native32tensor_kernel_scan_innermost_dimIaSt4plusIaEEEvPT_PKS4_jjjS4_T0_: ; @_ZN2at6native32tensor_kernel_scan_innermost_dimIaSt4plusIaEEEvPT_PKS4_jjjS4_T0_
; %bb.0:
	s_load_b256 s[16:23], s[0:1], 0x0
	v_bfe_u32 v15, v0, 10, 10
	s_mov_b32 s2, 0
	s_waitcnt lgkmcnt(0)
	s_lshl_b32 s5, 2, s22
	s_mov_b32 s6, s20
	v_mad_u64_u32 v[1:2], null, s5, v15, s[2:3]
	s_mul_hi_u32 s2, s20, s21
	s_delay_alu instid0(SALU_CYCLE_1)
	s_cmp_lg_u32 s2, 0
	s_mov_b32 s2, -1
	s_cbranch_scc1 .LBB19_26
; %bb.1:
	s_load_b32 s4, s[0:1], 0x2c
	s_add_u32 s2, s0, 32
	s_addc_u32 s3, s1, 0
	s_waitcnt lgkmcnt(0)
	s_lshr_b32 s4, s4, 16
	s_delay_alu instid0(SALU_CYCLE_1) | instskip(NEXT) | instid1(SALU_CYCLE_1)
	s_mul_i32 s7, s15, s4
	s_cmp_ge_u32 s7, s20
	s_cbranch_scc1 .LBB19_25
; %bb.2:
	s_load_b32 s9, s[2:3], 0x0
	v_and_b32_e32 v2, 0x3ff, v0
	v_add_nc_u32_e32 v3, -1, v1
	s_cmp_lg_u32 s21, 0
	s_cselect_b32 s8, -1, 0
	s_delay_alu instid0(VALU_DEP_2)
	v_lshl_add_u32 v4, 1, s22, v2
	v_cmp_eq_u32_e64 s2, 0, v2
	v_add_nc_u32_e32 v5, s5, v3
	v_add_nc_u32_e32 v6, v1, v2
	s_add_i32 s10, s22, 1
	v_add_nc_u32_e32 v7, v1, v4
	s_waitcnt lgkmcnt(0)
	s_mul_i32 s9, s9, s4
	s_branch .LBB19_4
.LBB19_3:                               ;   in Loop: Header=BB19_4 Depth=1
	s_add_i32 s7, s7, s9
	s_delay_alu instid0(SALU_CYCLE_1)
	s_cmp_ge_u32 s7, s20
	s_cbranch_scc1 .LBB19_25
.LBB19_4:                               ; =>This Loop Header: Depth=1
                                        ;     Child Loop BB19_7 Depth 2
                                        ;       Child Loop BB19_16 Depth 3
	s_and_not1_b32 vcc_lo, exec_lo, s8
	s_cbranch_vccnz .LBB19_3
; %bb.5:                                ;   in Loop: Header=BB19_4 Depth=1
	v_add_nc_u32_e32 v8, s7, v15
	v_mov_b32_e32 v14, s23
	s_mov_b32 s11, 0
	s_delay_alu instid0(VALU_DEP_2) | instskip(SKIP_2) | instid1(VALU_DEP_3)
	v_mul_lo_u32 v10, v8, s21
	v_cmp_gt_u32_e32 vcc_lo, s20, v8
	v_cmp_le_u32_e64 s3, s20, v8
	v_add_co_u32 v8, s4, s18, v10
	s_delay_alu instid0(VALU_DEP_1) | instskip(SKIP_1) | instid1(VALU_DEP_1)
	v_add_co_ci_u32_e64 v9, null, s19, 0, s4
	v_add_co_u32 v10, s4, s16, v10
	v_add_co_ci_u32_e64 v11, null, s17, 0, s4
	s_branch .LBB19_7
.LBB19_6:                               ;   in Loop: Header=BB19_7 Depth=2
	s_or_b32 exec_lo, exec_lo, s12
	ds_load_u8 v14, v5
	s_add_i32 s11, s11, s5
	s_waitcnt lgkmcnt(0)
	s_waitcnt_vscnt null, 0x0
	s_cmp_ge_u32 s11, s21
	s_barrier
	buffer_gl0_inv
	s_cbranch_scc1 .LBB19_3
.LBB19_7:                               ;   Parent Loop BB19_4 Depth=1
                                        ; =>  This Loop Header: Depth=2
                                        ;       Child Loop BB19_16 Depth 3
	v_add_nc_u32_e32 v13, s11, v2
	v_add_nc_u32_e32 v12, s11, v4
	s_and_saveexec_b32 s12, vcc_lo
	s_cbranch_execz .LBB19_14
; %bb.8:                                ;   in Loop: Header=BB19_7 Depth=2
	v_mov_b32_e32 v16, s23
	s_mov_b32 s13, exec_lo
	v_cmpx_gt_u32_e64 s21, v13
	s_cbranch_execz .LBB19_10
; %bb.9:                                ;   in Loop: Header=BB19_7 Depth=2
	v_add_co_u32 v16, s4, v8, v13
	s_delay_alu instid0(VALU_DEP_1)
	v_add_co_ci_u32_e64 v17, s4, 0, v9, s4
	global_load_u8 v16, v[16:17], off
.LBB19_10:                              ;   in Loop: Header=BB19_7 Depth=2
	s_or_b32 exec_lo, exec_lo, s13
	v_mov_b32_e32 v17, s23
	s_mov_b32 s13, exec_lo
	s_waitcnt vmcnt(0)
	ds_store_b8 v6, v16
	v_cmpx_gt_u32_e64 s21, v12
	s_cbranch_execz .LBB19_12
; %bb.11:                               ;   in Loop: Header=BB19_7 Depth=2
	v_add_co_u32 v16, s4, v8, v12
	s_delay_alu instid0(VALU_DEP_1)
	v_add_co_ci_u32_e64 v17, s4, 0, v9, s4
	global_load_u8 v17, v[16:17], off
.LBB19_12:                              ;   in Loop: Header=BB19_7 Depth=2
	s_or_b32 exec_lo, exec_lo, s13
	s_waitcnt vmcnt(0)
	ds_store_b8 v7, v17
	s_and_b32 exec_lo, exec_lo, s2
	s_cbranch_execz .LBB19_14
; %bb.13:                               ;   in Loop: Header=BB19_7 Depth=2
	ds_load_u8 v16, v1
	s_waitcnt lgkmcnt(0)
	v_add_nc_u16 v14, v16, v14
	ds_store_b8 v1, v14
.LBB19_14:                              ;   in Loop: Header=BB19_7 Depth=2
	s_or_b32 exec_lo, exec_lo, s12
	v_mov_b32_e32 v14, 0
	s_mov_b32 s12, 0
	s_waitcnt lgkmcnt(0)
	s_barrier
	buffer_gl0_inv
	s_set_inst_prefetch_distance 0x1
	s_branch .LBB19_16
	.p2align	6
.LBB19_15:                              ;   in Loop: Header=BB19_16 Depth=3
	s_or_b32 exec_lo, exec_lo, s4
	s_delay_alu instid0(VALU_DEP_1) | instskip(SKIP_4) | instid1(SALU_CYCLE_1)
	v_cmp_eq_u32_e64 s4, s10, v14
	s_waitcnt lgkmcnt(0)
	s_barrier
	buffer_gl0_inv
	s_or_b32 s12, s4, s12
	s_and_not1_b32 exec_lo, exec_lo, s12
	s_cbranch_execz .LBB19_20
.LBB19_16:                              ;   Parent Loop BB19_4 Depth=1
                                        ;     Parent Loop BB19_7 Depth=2
                                        ; =>    This Inner Loop Header: Depth=3
	v_add_nc_u32_e32 v16, 1, v14
	s_and_saveexec_b32 s4, s3
	s_delay_alu instid0(SALU_CYCLE_1)
	s_xor_b32 s4, exec_lo, s4
; %bb.17:                               ;   in Loop: Header=BB19_16 Depth=3
	v_add_nc_u32_e32 v14, 1, v14
                                        ; implicit-def: $vgpr16
; %bb.18:                               ;   in Loop: Header=BB19_16 Depth=3
	s_and_not1_saveexec_b32 s4, s4
	s_cbranch_execz .LBB19_15
; %bb.19:                               ;   in Loop: Header=BB19_16 Depth=3
	s_delay_alu instid0(VALU_DEP_1) | instskip(SKIP_2) | instid1(VALU_DEP_2)
	v_lshlrev_b32_e64 v17, v14, 1
	v_lshrrev_b32_e32 v18, v14, v2
	v_bfm_b32 v14, v14, 0
	v_lshl_or_b32 v17, v18, v16, v17
	s_delay_alu instid0(VALU_DEP_2) | instskip(NEXT) | instid1(VALU_DEP_1)
	v_and_b32_e32 v14, v14, v2
	v_add3_u32 v18, v1, v17, v14
	v_add_nc_u32_e32 v14, v3, v17
	ds_load_u8 v17, v18
	ds_load_u8 v14, v14
	s_waitcnt lgkmcnt(0)
	v_add_nc_u16 v17, v14, v17
	v_mov_b32_e32 v14, v16
	ds_store_b8 v18, v17
	s_branch .LBB19_15
.LBB19_20:                              ;   in Loop: Header=BB19_7 Depth=2
	s_set_inst_prefetch_distance 0x2
	s_or_b32 exec_lo, exec_lo, s12
	s_and_saveexec_b32 s12, vcc_lo
	s_cbranch_execz .LBB19_6
; %bb.21:                               ;   in Loop: Header=BB19_7 Depth=2
	s_mov_b32 s13, exec_lo
	v_cmpx_gt_u32_e64 s21, v13
	s_cbranch_execz .LBB19_23
; %bb.22:                               ;   in Loop: Header=BB19_7 Depth=2
	ds_load_u8 v16, v6
	v_add_co_u32 v13, s4, v10, v13
	s_delay_alu instid0(VALU_DEP_1)
	v_add_co_ci_u32_e64 v14, s4, 0, v11, s4
	s_waitcnt lgkmcnt(0)
	global_store_b8 v[13:14], v16, off
.LBB19_23:                              ;   in Loop: Header=BB19_7 Depth=2
	s_or_b32 exec_lo, exec_lo, s13
	v_cmp_gt_u32_e64 s4, s21, v12
	s_delay_alu instid0(VALU_DEP_1)
	s_and_b32 exec_lo, exec_lo, s4
	s_cbranch_execz .LBB19_6
; %bb.24:                               ;   in Loop: Header=BB19_7 Depth=2
	ds_load_u8 v14, v7
	v_add_co_u32 v12, s4, v10, v12
	s_delay_alu instid0(VALU_DEP_1)
	v_add_co_ci_u32_e64 v13, s4, 0, v11, s4
	s_waitcnt lgkmcnt(0)
	global_store_b8 v[12:13], v14, off
	s_branch .LBB19_6
.LBB19_25:
	s_mov_b32 s2, 0
.LBB19_26:
	s_delay_alu instid0(SALU_CYCLE_1)
	s_and_not1_b32 vcc_lo, exec_lo, s2
	s_cbranch_vccnz .LBB19_53
; %bb.27:
	s_load_b32 s2, s[0:1], 0x2c
	s_add_u32 s0, s0, 32
	s_addc_u32 s1, s1, 0
	s_mov_b32 s7, 0
	s_waitcnt lgkmcnt(0)
	s_lshr_b32 s2, s2, 16
	s_delay_alu instid0(SALU_CYCLE_1) | instskip(SKIP_1) | instid1(SALU_CYCLE_1)
	s_mul_hi_u32 s5, s2, s15
	s_mul_i32 s4, s2, s15
	v_cmp_ge_u64_e64 s3, s[4:5], s[6:7]
	s_delay_alu instid0(VALU_DEP_1)
	s_and_b32 vcc_lo, exec_lo, s3
	s_cbranch_vccnz .LBB19_53
; %bb.28:
	s_load_b32 s1, s[0:1], 0x0
	s_lshl_b32 s8, 1, s22
	s_and_b32 s2, 0xffff, s2
	v_dual_mov_b32 v3, 0 :: v_dual_and_b32 v2, 0x3ff, v0
	v_add_nc_u32_e32 v4, -1, v1
	s_ashr_i32 s9, s8, 31
	v_add_nc_u32_e32 v5, s8, v1
	s_cmp_lg_u32 s21, 0
	v_cmp_eq_u32_e64 s0, 0, v2
	s_cselect_b32 s3, -1, 0
	s_lshl_b64 s[12:13], s[8:9], 1
	v_add_nc_u32_e32 v0, v1, v2
	v_add_nc_u32_e32 v16, s12, v4
	v_add_nc_u32_e32 v17, v5, v2
	s_mov_b32 s10, s21
	s_mov_b32 s11, s7
	s_add_i32 s21, s22, 1
	s_waitcnt lgkmcnt(0)
	s_mul_i32 s20, s1, s2
	s_branch .LBB19_30
.LBB19_29:                              ;   in Loop: Header=BB19_30 Depth=1
	s_add_u32 s4, s4, s20
	s_addc_u32 s5, s5, 0
	s_delay_alu instid0(SALU_CYCLE_1) | instskip(NEXT) | instid1(VALU_DEP_1)
	v_cmp_ge_u64_e64 s1, s[4:5], s[6:7]
	s_and_b32 vcc_lo, exec_lo, s1
	s_cbranch_vccnz .LBB19_53
.LBB19_30:                              ; =>This Loop Header: Depth=1
                                        ;     Child Loop BB19_33 Depth 2
                                        ;       Child Loop BB19_43 Depth 3
	s_and_not1_b32 vcc_lo, exec_lo, s3
	s_cbranch_vccnz .LBB19_29
; %bb.31:                               ;   in Loop: Header=BB19_30 Depth=1
	v_add_co_u32 v8, s1, s4, v15
	s_delay_alu instid0(VALU_DEP_1) | instskip(SKIP_1) | instid1(VALU_DEP_2)
	v_add_co_ci_u32_e64 v9, null, s5, 0, s1
	s_mov_b64 s[14:15], 0
	v_mad_u64_u32 v[4:5], null, v8, s10, s[18:19]
	s_delay_alu instid0(VALU_DEP_2) | instskip(SKIP_3) | instid1(VALU_DEP_4)
	v_mul_lo_u32 v10, v9, s10
	v_mad_u64_u32 v[6:7], null, v8, s10, s[16:17]
	v_cmp_gt_u64_e64 s1, s[6:7], v[8:9]
	v_cmp_le_u64_e64 s2, s[6:7], v[8:9]
	v_dual_mov_b32 v12, s23 :: v_dual_add_nc_u32 v5, v10, v5
	s_delay_alu instid0(VALU_DEP_4)
	v_add_nc_u32_e32 v7, v10, v7
	s_branch .LBB19_33
.LBB19_32:                              ;   in Loop: Header=BB19_33 Depth=2
	s_or_b32 exec_lo, exec_lo, s22
	ds_load_u8 v12, v16
	s_add_u32 s14, s14, s12
	s_addc_u32 s15, s15, s13
	s_waitcnt lgkmcnt(0)
	s_waitcnt_vscnt null, 0x0
	v_cmp_ge_u64_e64 s22, s[14:15], s[10:11]
	s_barrier
	buffer_gl0_inv
	s_and_b32 vcc_lo, exec_lo, s22
	s_cbranch_vccnz .LBB19_29
.LBB19_33:                              ;   Parent Loop BB19_30 Depth=1
                                        ; =>  This Loop Header: Depth=2
                                        ;       Child Loop BB19_43 Depth 3
	v_add_co_u32 v10, s22, s14, v2
	s_delay_alu instid0(VALU_DEP_1) | instskip(NEXT) | instid1(VALU_DEP_2)
	v_add_co_ci_u32_e64 v11, null, s15, 0, s22
	v_add_co_u32 v8, vcc_lo, v10, s8
	s_delay_alu instid0(VALU_DEP_2)
	v_add_co_ci_u32_e32 v9, vcc_lo, s9, v11, vcc_lo
	s_and_saveexec_b32 s22, s1
	s_cbranch_execz .LBB19_40
; %bb.34:                               ;   in Loop: Header=BB19_33 Depth=2
	v_mov_b32_e32 v13, s23
	s_mov_b32 s24, exec_lo
	v_cmpx_gt_u64_e64 s[10:11], v[10:11]
	s_cbranch_execz .LBB19_36
; %bb.35:                               ;   in Loop: Header=BB19_33 Depth=2
	v_add_co_u32 v13, vcc_lo, v4, v10
	v_add_co_ci_u32_e32 v14, vcc_lo, v5, v11, vcc_lo
	global_load_u8 v13, v[13:14], off
.LBB19_36:                              ;   in Loop: Header=BB19_33 Depth=2
	s_or_b32 exec_lo, exec_lo, s24
	v_mov_b32_e32 v14, s23
	s_mov_b32 s24, exec_lo
	s_waitcnt vmcnt(0)
	ds_store_b8 v0, v13
	v_cmpx_gt_u64_e64 s[10:11], v[8:9]
	s_cbranch_execz .LBB19_38
; %bb.37:                               ;   in Loop: Header=BB19_33 Depth=2
	v_add_co_u32 v13, vcc_lo, v4, v8
	v_add_co_ci_u32_e32 v14, vcc_lo, v5, v9, vcc_lo
	global_load_u8 v14, v[13:14], off
.LBB19_38:                              ;   in Loop: Header=BB19_33 Depth=2
	s_or_b32 exec_lo, exec_lo, s24
	s_waitcnt vmcnt(0)
	ds_store_b8 v17, v14
	s_and_b32 exec_lo, exec_lo, s0
	s_cbranch_execz .LBB19_40
; %bb.39:                               ;   in Loop: Header=BB19_33 Depth=2
	ds_load_u8 v13, v1
	s_waitcnt lgkmcnt(0)
	v_add_nc_u16 v12, v13, v12
	ds_store_b8 v1, v12
.LBB19_40:                              ;   in Loop: Header=BB19_33 Depth=2
	s_or_b32 exec_lo, exec_lo, s22
	v_mov_b32_e32 v19, 0
	s_mov_b32 s22, 0
	s_waitcnt lgkmcnt(0)
	s_barrier
	buffer_gl0_inv
	s_branch .LBB19_43
.LBB19_41:                              ;   in Loop: Header=BB19_43 Depth=3
	s_or_b32 exec_lo, exec_lo, s25
	v_lshrrev_b32_e32 v14, v19, v2
	s_delay_alu instid0(VALU_DEP_1) | instskip(NEXT) | instid1(VALU_DEP_1)
	v_lshl_or_b32 v12, v14, v18, v12
	v_add_nc_u32_e32 v12, v1, v12
	s_delay_alu instid0(VALU_DEP_1)
	v_add_nc_u32_e32 v13, v12, v13
	v_add_nc_u32_e32 v12, -1, v12
	ds_load_u8 v14, v13
	ds_load_u8 v12, v12
	s_waitcnt lgkmcnt(0)
	v_add_nc_u16 v12, v12, v14
	ds_store_b8 v13, v12
.LBB19_42:                              ;   in Loop: Header=BB19_43 Depth=3
	s_or_b32 exec_lo, exec_lo, s24
	s_delay_alu instid0(VALU_DEP_1)
	v_cmp_eq_u32_e32 vcc_lo, s21, v18
	v_mov_b32_e32 v19, v18
	s_waitcnt lgkmcnt(0)
	s_barrier
	buffer_gl0_inv
	s_or_b32 s22, vcc_lo, s22
	s_delay_alu instid0(SALU_CYCLE_1)
	s_and_not1_b32 exec_lo, exec_lo, s22
	s_cbranch_execz .LBB19_48
.LBB19_43:                              ;   Parent Loop BB19_30 Depth=1
                                        ;     Parent Loop BB19_33 Depth=2
                                        ; =>    This Inner Loop Header: Depth=3
	v_add_nc_u32_e32 v18, 1, v19
	s_and_saveexec_b32 s24, s2
	s_delay_alu instid0(SALU_CYCLE_1)
	s_xor_b32 s24, exec_lo, s24
; %bb.44:                               ;   in Loop: Header=BB19_43 Depth=3
	v_add_nc_u32_e32 v18, 1, v19
                                        ; implicit-def: $vgpr19
; %bb.45:                               ;   in Loop: Header=BB19_43 Depth=3
	s_and_not1_saveexec_b32 s24, s24
	s_cbranch_execz .LBB19_42
; %bb.46:                               ;   in Loop: Header=BB19_43 Depth=3
	v_lshlrev_b32_e64 v12, v19, 1
	s_delay_alu instid0(VALU_DEP_1) | instskip(NEXT) | instid1(VALU_DEP_1)
	v_ashrrev_i32_e32 v13, 31, v12
	v_cmp_ge_u64_e32 vcc_lo, v[2:3], v[12:13]
	v_dual_mov_b32 v14, v3 :: v_dual_mov_b32 v13, v2
	s_and_saveexec_b32 s25, vcc_lo
	s_cbranch_execz .LBB19_41
; %bb.47:                               ;   in Loop: Header=BB19_43 Depth=3
	v_cvt_f32_u32_e32 v13, v12
	v_sub_nc_u32_e32 v14, 0, v12
	s_delay_alu instid0(VALU_DEP_2) | instskip(SKIP_2) | instid1(VALU_DEP_1)
	v_rcp_iflag_f32_e32 v13, v13
	s_waitcnt_depctr 0xfff
	v_mul_f32_e32 v13, 0x4f7ffffe, v13
	v_cvt_u32_f32_e32 v13, v13
	s_delay_alu instid0(VALU_DEP_1) | instskip(NEXT) | instid1(VALU_DEP_1)
	v_mul_lo_u32 v14, v14, v13
	v_mul_hi_u32 v14, v13, v14
	s_delay_alu instid0(VALU_DEP_1) | instskip(NEXT) | instid1(VALU_DEP_1)
	v_add_nc_u32_e32 v13, v13, v14
	v_mul_hi_u32 v13, v2, v13
	s_delay_alu instid0(VALU_DEP_1) | instskip(NEXT) | instid1(VALU_DEP_1)
	v_mul_lo_u32 v13, v13, v12
	v_sub_nc_u32_e32 v13, v2, v13
	s_delay_alu instid0(VALU_DEP_1) | instskip(SKIP_1) | instid1(VALU_DEP_2)
	v_sub_nc_u32_e32 v14, v13, v12
	v_cmp_ge_u32_e32 vcc_lo, v13, v12
	v_cndmask_b32_e32 v13, v13, v14, vcc_lo
	s_delay_alu instid0(VALU_DEP_1) | instskip(SKIP_1) | instid1(VALU_DEP_2)
	v_sub_nc_u32_e32 v14, v13, v12
	v_cmp_ge_u32_e32 vcc_lo, v13, v12
	v_cndmask_b32_e32 v13, v13, v14, vcc_lo
	s_branch .LBB19_41
.LBB19_48:                              ;   in Loop: Header=BB19_33 Depth=2
	s_or_b32 exec_lo, exec_lo, s22
	s_and_saveexec_b32 s22, s1
	s_cbranch_execz .LBB19_32
; %bb.49:                               ;   in Loop: Header=BB19_33 Depth=2
	s_mov_b32 s24, exec_lo
	v_cmpx_gt_u64_e64 s[10:11], v[10:11]
	s_cbranch_execz .LBB19_51
; %bb.50:                               ;   in Loop: Header=BB19_33 Depth=2
	ds_load_u8 v12, v0
	v_add_co_u32 v10, vcc_lo, v6, v10
	v_add_co_ci_u32_e32 v11, vcc_lo, v7, v11, vcc_lo
	s_waitcnt lgkmcnt(0)
	global_store_b8 v[10:11], v12, off
.LBB19_51:                              ;   in Loop: Header=BB19_33 Depth=2
	s_or_b32 exec_lo, exec_lo, s24
	v_cmp_gt_u64_e32 vcc_lo, s[10:11], v[8:9]
	s_and_b32 exec_lo, exec_lo, vcc_lo
	s_cbranch_execz .LBB19_32
; %bb.52:                               ;   in Loop: Header=BB19_33 Depth=2
	ds_load_u8 v10, v17
	v_add_co_u32 v8, vcc_lo, v6, v8
	v_add_co_ci_u32_e32 v9, vcc_lo, v7, v9, vcc_lo
	s_waitcnt lgkmcnt(0)
	global_store_b8 v[8:9], v10, off
	s_branch .LBB19_32
.LBB19_53:
	s_endpgm
	.section	.rodata,"a",@progbits
	.p2align	6, 0x0
	.amdhsa_kernel _ZN2at6native32tensor_kernel_scan_innermost_dimIaSt4plusIaEEEvPT_PKS4_jjjS4_T0_
		.amdhsa_group_segment_fixed_size 0
		.amdhsa_private_segment_fixed_size 0
		.amdhsa_kernarg_size 288
		.amdhsa_user_sgpr_count 15
		.amdhsa_user_sgpr_dispatch_ptr 0
		.amdhsa_user_sgpr_queue_ptr 0
		.amdhsa_user_sgpr_kernarg_segment_ptr 1
		.amdhsa_user_sgpr_dispatch_id 0
		.amdhsa_user_sgpr_private_segment_size 0
		.amdhsa_wavefront_size32 1
		.amdhsa_uses_dynamic_stack 0
		.amdhsa_enable_private_segment 0
		.amdhsa_system_sgpr_workgroup_id_x 1
		.amdhsa_system_sgpr_workgroup_id_y 0
		.amdhsa_system_sgpr_workgroup_id_z 0
		.amdhsa_system_sgpr_workgroup_info 0
		.amdhsa_system_vgpr_workitem_id 1
		.amdhsa_next_free_vgpr 20
		.amdhsa_next_free_sgpr 26
		.amdhsa_reserve_vcc 1
		.amdhsa_float_round_mode_32 0
		.amdhsa_float_round_mode_16_64 0
		.amdhsa_float_denorm_mode_32 3
		.amdhsa_float_denorm_mode_16_64 3
		.amdhsa_dx10_clamp 1
		.amdhsa_ieee_mode 1
		.amdhsa_fp16_overflow 0
		.amdhsa_workgroup_processor_mode 1
		.amdhsa_memory_ordered 1
		.amdhsa_forward_progress 0
		.amdhsa_shared_vgpr_count 0
		.amdhsa_exception_fp_ieee_invalid_op 0
		.amdhsa_exception_fp_denorm_src 0
		.amdhsa_exception_fp_ieee_div_zero 0
		.amdhsa_exception_fp_ieee_overflow 0
		.amdhsa_exception_fp_ieee_underflow 0
		.amdhsa_exception_fp_ieee_inexact 0
		.amdhsa_exception_int_div_zero 0
	.end_amdhsa_kernel
	.section	.text._ZN2at6native32tensor_kernel_scan_innermost_dimIaSt4plusIaEEEvPT_PKS4_jjjS4_T0_,"axG",@progbits,_ZN2at6native32tensor_kernel_scan_innermost_dimIaSt4plusIaEEEvPT_PKS4_jjjS4_T0_,comdat
.Lfunc_end19:
	.size	_ZN2at6native32tensor_kernel_scan_innermost_dimIaSt4plusIaEEEvPT_PKS4_jjjS4_T0_, .Lfunc_end19-_ZN2at6native32tensor_kernel_scan_innermost_dimIaSt4plusIaEEEvPT_PKS4_jjjS4_T0_
                                        ; -- End function
	.section	.AMDGPU.csdata,"",@progbits
; Kernel info:
; codeLenInByte = 1844
; NumSgprs: 28
; NumVgprs: 20
; ScratchSize: 0
; MemoryBound: 0
; FloatMode: 240
; IeeeMode: 1
; LDSByteSize: 0 bytes/workgroup (compile time only)
; SGPRBlocks: 3
; VGPRBlocks: 2
; NumSGPRsForWavesPerEU: 28
; NumVGPRsForWavesPerEU: 20
; Occupancy: 16
; WaveLimiterHint : 0
; COMPUTE_PGM_RSRC2:SCRATCH_EN: 0
; COMPUTE_PGM_RSRC2:USER_SGPR: 15
; COMPUTE_PGM_RSRC2:TRAP_HANDLER: 0
; COMPUTE_PGM_RSRC2:TGID_X_EN: 1
; COMPUTE_PGM_RSRC2:TGID_Y_EN: 0
; COMPUTE_PGM_RSRC2:TGID_Z_EN: 0
; COMPUTE_PGM_RSRC2:TIDIG_COMP_CNT: 1
	.section	.text._ZN2at6native28tensor_kernel_scan_outer_dimIajSt4plusIaEEEvPT_PKS4_jjjS4_T1_,"axG",@progbits,_ZN2at6native28tensor_kernel_scan_outer_dimIajSt4plusIaEEEvPT_PKS4_jjjS4_T1_,comdat
	.protected	_ZN2at6native28tensor_kernel_scan_outer_dimIajSt4plusIaEEEvPT_PKS4_jjjS4_T1_ ; -- Begin function _ZN2at6native28tensor_kernel_scan_outer_dimIajSt4plusIaEEEvPT_PKS4_jjjS4_T1_
	.globl	_ZN2at6native28tensor_kernel_scan_outer_dimIajSt4plusIaEEEvPT_PKS4_jjjS4_T1_
	.p2align	8
	.type	_ZN2at6native28tensor_kernel_scan_outer_dimIajSt4plusIaEEEvPT_PKS4_jjjS4_T1_,@function
_ZN2at6native28tensor_kernel_scan_outer_dimIajSt4plusIaEEEvPT_PKS4_jjjS4_T1_: ; @_ZN2at6native28tensor_kernel_scan_outer_dimIajSt4plusIaEEEvPT_PKS4_jjjS4_T1_
; %bb.0:
	s_load_b128 s[4:7], s[0:1], 0x10
	s_waitcnt lgkmcnt(0)
	s_cmp_ge_u32 s14, s4
	s_cbranch_scc1 .LBB20_9
; %bb.1:
	s_clause 0x2
	s_load_b32 s13, s[0:1], 0x2c
	s_load_b32 s12, s[0:1], 0x20
	s_load_b128 s[8:11], s[0:1], 0x0
	s_add_u32 s2, s0, 32
	s_addc_u32 s3, s1, 0
	s_mul_i32 s16, s14, s6
	s_delay_alu instid0(SALU_CYCLE_1)
	s_mul_i32 s16, s16, s5
	s_waitcnt lgkmcnt(0)
	s_and_b32 s1, s13, 0xffff
	s_cmp_lg_u32 s6, 0
	v_mad_u64_u32 v[1:2], null, s15, s1, v[0:1]
	s_mul_i32 s17, s12, s6
	s_mov_b32 s13, s5
	s_cselect_b32 s15, -1, 0
	s_mul_i32 s17, s17, s5
	s_delay_alu instid0(VALU_DEP_1)
	v_cmp_gt_u32_e64 s0, s5, v1
	s_set_inst_prefetch_distance 0x1
	s_branch .LBB20_3
	.p2align	6
.LBB20_2:                               ;   in Loop: Header=BB20_3 Depth=1
	s_or_b32 exec_lo, exec_lo, s18
	s_add_i32 s14, s12, s14
	s_add_i32 s16, s16, s17
	s_cmp_ge_u32 s14, s4
	s_cbranch_scc1 .LBB20_9
.LBB20_3:                               ; =>This Loop Header: Depth=1
                                        ;     Child Loop BB20_6 Depth 2
                                        ;       Child Loop BB20_8 Depth 3
	s_delay_alu instid0(VALU_DEP_1)
	s_and_saveexec_b32 s18, s0
	s_cbranch_execz .LBB20_2
; %bb.4:                                ;   in Loop: Header=BB20_3 Depth=1
	s_load_b32 s19, s[2:3], 0x4
	v_mov_b32_e32 v0, v1
	s_mov_b32 s20, 0
	s_waitcnt lgkmcnt(0)
	s_mul_i32 s19, s19, s1
	s_branch .LBB20_6
	.p2align	6
.LBB20_5:                               ;   in Loop: Header=BB20_6 Depth=2
	v_add_nc_u32_e32 v0, s19, v0
	s_delay_alu instid0(VALU_DEP_1) | instskip(SKIP_1) | instid1(SALU_CYCLE_1)
	v_cmp_le_u32_e32 vcc_lo, s5, v0
	s_or_b32 s20, vcc_lo, s20
	s_and_not1_b32 exec_lo, exec_lo, s20
	s_cbranch_execz .LBB20_2
.LBB20_6:                               ;   Parent Loop BB20_3 Depth=1
                                        ; =>  This Loop Header: Depth=2
                                        ;       Child Loop BB20_8 Depth 3
	s_and_not1_b32 vcc_lo, exec_lo, s15
	s_cbranch_vccnz .LBB20_5
; %bb.7:                                ;   in Loop: Header=BB20_6 Depth=2
	v_add_co_u32 v2, s21, s16, v0
	s_delay_alu instid0(VALU_DEP_1)
	v_add_co_ci_u32_e64 v3, null, 0, 0, s21
	v_mov_b32_e32 v4, s7
	s_mov_b32 s21, s6
	.p2align	6
.LBB20_8:                               ;   Parent Loop BB20_3 Depth=1
                                        ;     Parent Loop BB20_6 Depth=2
                                        ; =>    This Inner Loop Header: Depth=3
	s_delay_alu instid0(VALU_DEP_3) | instskip(NEXT) | instid1(VALU_DEP_3)
	v_add_co_u32 v5, vcc_lo, s10, v2
	v_add_co_ci_u32_e32 v6, vcc_lo, s11, v3, vcc_lo
	s_add_i32 s21, s21, -1
	s_delay_alu instid0(SALU_CYCLE_1)
	s_cmp_eq_u32 s21, 0
	global_load_u8 v7, v[5:6], off
	v_add_co_u32 v5, vcc_lo, s8, v2
	v_add_co_ci_u32_e32 v6, vcc_lo, s9, v3, vcc_lo
	v_add_co_u32 v2, vcc_lo, v2, s13
	v_add_co_ci_u32_e32 v3, vcc_lo, 0, v3, vcc_lo
	s_waitcnt vmcnt(0)
	v_add_nc_u16 v4, v7, v4
	global_store_b8 v[5:6], v4, off
	s_cbranch_scc0 .LBB20_8
	s_branch .LBB20_5
.LBB20_9:
	s_set_inst_prefetch_distance 0x2
	s_nop 0
	s_sendmsg sendmsg(MSG_DEALLOC_VGPRS)
	s_endpgm
	.section	.rodata,"a",@progbits
	.p2align	6, 0x0
	.amdhsa_kernel _ZN2at6native28tensor_kernel_scan_outer_dimIajSt4plusIaEEEvPT_PKS4_jjjS4_T1_
		.amdhsa_group_segment_fixed_size 0
		.amdhsa_private_segment_fixed_size 0
		.amdhsa_kernarg_size 288
		.amdhsa_user_sgpr_count 14
		.amdhsa_user_sgpr_dispatch_ptr 0
		.amdhsa_user_sgpr_queue_ptr 0
		.amdhsa_user_sgpr_kernarg_segment_ptr 1
		.amdhsa_user_sgpr_dispatch_id 0
		.amdhsa_user_sgpr_private_segment_size 0
		.amdhsa_wavefront_size32 1
		.amdhsa_uses_dynamic_stack 0
		.amdhsa_enable_private_segment 0
		.amdhsa_system_sgpr_workgroup_id_x 1
		.amdhsa_system_sgpr_workgroup_id_y 1
		.amdhsa_system_sgpr_workgroup_id_z 0
		.amdhsa_system_sgpr_workgroup_info 0
		.amdhsa_system_vgpr_workitem_id 0
		.amdhsa_next_free_vgpr 8
		.amdhsa_next_free_sgpr 22
		.amdhsa_reserve_vcc 1
		.amdhsa_float_round_mode_32 0
		.amdhsa_float_round_mode_16_64 0
		.amdhsa_float_denorm_mode_32 3
		.amdhsa_float_denorm_mode_16_64 3
		.amdhsa_dx10_clamp 1
		.amdhsa_ieee_mode 1
		.amdhsa_fp16_overflow 0
		.amdhsa_workgroup_processor_mode 1
		.amdhsa_memory_ordered 1
		.amdhsa_forward_progress 0
		.amdhsa_shared_vgpr_count 0
		.amdhsa_exception_fp_ieee_invalid_op 0
		.amdhsa_exception_fp_denorm_src 0
		.amdhsa_exception_fp_ieee_div_zero 0
		.amdhsa_exception_fp_ieee_overflow 0
		.amdhsa_exception_fp_ieee_underflow 0
		.amdhsa_exception_fp_ieee_inexact 0
		.amdhsa_exception_int_div_zero 0
	.end_amdhsa_kernel
	.section	.text._ZN2at6native28tensor_kernel_scan_outer_dimIajSt4plusIaEEEvPT_PKS4_jjjS4_T1_,"axG",@progbits,_ZN2at6native28tensor_kernel_scan_outer_dimIajSt4plusIaEEEvPT_PKS4_jjjS4_T1_,comdat
.Lfunc_end20:
	.size	_ZN2at6native28tensor_kernel_scan_outer_dimIajSt4plusIaEEEvPT_PKS4_jjjS4_T1_, .Lfunc_end20-_ZN2at6native28tensor_kernel_scan_outer_dimIajSt4plusIaEEEvPT_PKS4_jjjS4_T1_
                                        ; -- End function
	.section	.AMDGPU.csdata,"",@progbits
; Kernel info:
; codeLenInByte = 352
; NumSgprs: 24
; NumVgprs: 8
; ScratchSize: 0
; MemoryBound: 0
; FloatMode: 240
; IeeeMode: 1
; LDSByteSize: 0 bytes/workgroup (compile time only)
; SGPRBlocks: 2
; VGPRBlocks: 0
; NumSGPRsForWavesPerEU: 24
; NumVGPRsForWavesPerEU: 8
; Occupancy: 16
; WaveLimiterHint : 0
; COMPUTE_PGM_RSRC2:SCRATCH_EN: 0
; COMPUTE_PGM_RSRC2:USER_SGPR: 14
; COMPUTE_PGM_RSRC2:TRAP_HANDLER: 0
; COMPUTE_PGM_RSRC2:TGID_X_EN: 1
; COMPUTE_PGM_RSRC2:TGID_Y_EN: 1
; COMPUTE_PGM_RSRC2:TGID_Z_EN: 0
; COMPUTE_PGM_RSRC2:TIDIG_COMP_CNT: 0
	.section	.text._ZN2at6native28tensor_kernel_scan_outer_dimIamSt4plusIaEEEvPT_PKS4_jjjS4_T1_,"axG",@progbits,_ZN2at6native28tensor_kernel_scan_outer_dimIamSt4plusIaEEEvPT_PKS4_jjjS4_T1_,comdat
	.protected	_ZN2at6native28tensor_kernel_scan_outer_dimIamSt4plusIaEEEvPT_PKS4_jjjS4_T1_ ; -- Begin function _ZN2at6native28tensor_kernel_scan_outer_dimIamSt4plusIaEEEvPT_PKS4_jjjS4_T1_
	.globl	_ZN2at6native28tensor_kernel_scan_outer_dimIamSt4plusIaEEEvPT_PKS4_jjjS4_T1_
	.p2align	8
	.type	_ZN2at6native28tensor_kernel_scan_outer_dimIamSt4plusIaEEEvPT_PKS4_jjjS4_T1_,@function
_ZN2at6native28tensor_kernel_scan_outer_dimIamSt4plusIaEEEvPT_PKS4_jjjS4_T1_: ; @_ZN2at6native28tensor_kernel_scan_outer_dimIamSt4plusIaEEEvPT_PKS4_jjjS4_T1_
; %bb.0:
	s_load_b128 s[4:7], s[0:1], 0x10
	s_waitcnt lgkmcnt(0)
	s_cmp_ge_u32 s14, s4
	s_cbranch_scc1 .LBB21_9
; %bb.1:
	s_clause 0x2
	s_load_b32 s13, s[0:1], 0x2c
	s_load_b128 s[8:11], s[0:1], 0x0
	s_load_b32 s12, s[0:1], 0x20
	s_add_u32 s2, s0, 32
	s_addc_u32 s3, s1, 0
	s_mul_hi_u32 s16, s6, s5
	s_mul_i32 s17, s6, s5
	s_waitcnt lgkmcnt(0)
	s_and_b32 s1, s13, 0xffff
	s_cmp_lg_u32 s6, 0
	v_mad_u64_u32 v[1:2], null, s15, s1, v[0:1]
	s_cselect_b32 s13, -1, 0
	s_mov_b32 s15, s5
	s_delay_alu instid0(VALU_DEP_1)
	v_cmp_gt_u32_e64 s0, s5, v1
	s_set_inst_prefetch_distance 0x1
	s_branch .LBB21_3
	.p2align	6
.LBB21_2:                               ;   in Loop: Header=BB21_3 Depth=1
	s_or_b32 exec_lo, exec_lo, s18
	s_add_i32 s14, s14, s12
	s_delay_alu instid0(SALU_CYCLE_1)
	s_cmp_ge_u32 s14, s4
	s_cbranch_scc1 .LBB21_9
.LBB21_3:                               ; =>This Loop Header: Depth=1
                                        ;     Child Loop BB21_6 Depth 2
                                        ;       Child Loop BB21_8 Depth 3
	s_delay_alu instid0(VALU_DEP_1)
	s_and_saveexec_b32 s18, s0
	s_cbranch_execz .LBB21_2
; %bb.4:                                ;   in Loop: Header=BB21_3 Depth=1
	s_load_b32 s21, s[2:3], 0x4
	v_mov_b32_e32 v0, v1
	s_mul_i32 s20, s16, s14
	s_mul_hi_u32 s22, s17, s14
	s_mul_i32 s19, s17, s14
	s_add_i32 s20, s22, s20
	s_mov_b32 s22, 0
	s_waitcnt lgkmcnt(0)
	s_mul_i32 s21, s21, s1
	s_branch .LBB21_6
	.p2align	6
.LBB21_5:                               ;   in Loop: Header=BB21_6 Depth=2
	v_add_nc_u32_e32 v0, s21, v0
	s_delay_alu instid0(VALU_DEP_1) | instskip(SKIP_1) | instid1(SALU_CYCLE_1)
	v_cmp_le_u32_e32 vcc_lo, s5, v0
	s_or_b32 s22, vcc_lo, s22
	s_and_not1_b32 exec_lo, exec_lo, s22
	s_cbranch_execz .LBB21_2
.LBB21_6:                               ;   Parent Loop BB21_3 Depth=1
                                        ; =>  This Loop Header: Depth=2
                                        ;       Child Loop BB21_8 Depth 3
	s_and_not1_b32 vcc_lo, exec_lo, s13
	s_cbranch_vccnz .LBB21_5
; %bb.7:                                ;   in Loop: Header=BB21_6 Depth=2
	v_add_co_u32 v2, s23, s19, v0
	s_delay_alu instid0(VALU_DEP_1)
	v_add_co_ci_u32_e64 v3, null, s20, 0, s23
	v_mov_b32_e32 v4, s7
	s_mov_b32 s23, s6
	.p2align	6
.LBB21_8:                               ;   Parent Loop BB21_3 Depth=1
                                        ;     Parent Loop BB21_6 Depth=2
                                        ; =>    This Inner Loop Header: Depth=3
	s_delay_alu instid0(VALU_DEP_3) | instskip(NEXT) | instid1(VALU_DEP_3)
	v_add_co_u32 v5, vcc_lo, s10, v2
	v_add_co_ci_u32_e32 v6, vcc_lo, s11, v3, vcc_lo
	s_add_i32 s23, s23, -1
	s_delay_alu instid0(SALU_CYCLE_1)
	s_cmp_eq_u32 s23, 0
	global_load_u8 v7, v[5:6], off
	v_add_co_u32 v5, vcc_lo, s8, v2
	v_add_co_ci_u32_e32 v6, vcc_lo, s9, v3, vcc_lo
	v_add_co_u32 v2, vcc_lo, v2, s15
	v_add_co_ci_u32_e32 v3, vcc_lo, 0, v3, vcc_lo
	s_waitcnt vmcnt(0)
	v_add_nc_u16 v4, v7, v4
	global_store_b8 v[5:6], v4, off
	s_cbranch_scc0 .LBB21_8
	s_branch .LBB21_5
.LBB21_9:
	s_set_inst_prefetch_distance 0x2
	s_nop 0
	s_sendmsg sendmsg(MSG_DEALLOC_VGPRS)
	s_endpgm
	.section	.rodata,"a",@progbits
	.p2align	6, 0x0
	.amdhsa_kernel _ZN2at6native28tensor_kernel_scan_outer_dimIamSt4plusIaEEEvPT_PKS4_jjjS4_T1_
		.amdhsa_group_segment_fixed_size 0
		.amdhsa_private_segment_fixed_size 0
		.amdhsa_kernarg_size 288
		.amdhsa_user_sgpr_count 14
		.amdhsa_user_sgpr_dispatch_ptr 0
		.amdhsa_user_sgpr_queue_ptr 0
		.amdhsa_user_sgpr_kernarg_segment_ptr 1
		.amdhsa_user_sgpr_dispatch_id 0
		.amdhsa_user_sgpr_private_segment_size 0
		.amdhsa_wavefront_size32 1
		.amdhsa_uses_dynamic_stack 0
		.amdhsa_enable_private_segment 0
		.amdhsa_system_sgpr_workgroup_id_x 1
		.amdhsa_system_sgpr_workgroup_id_y 1
		.amdhsa_system_sgpr_workgroup_id_z 0
		.amdhsa_system_sgpr_workgroup_info 0
		.amdhsa_system_vgpr_workitem_id 0
		.amdhsa_next_free_vgpr 8
		.amdhsa_next_free_sgpr 24
		.amdhsa_reserve_vcc 1
		.amdhsa_float_round_mode_32 0
		.amdhsa_float_round_mode_16_64 0
		.amdhsa_float_denorm_mode_32 3
		.amdhsa_float_denorm_mode_16_64 3
		.amdhsa_dx10_clamp 1
		.amdhsa_ieee_mode 1
		.amdhsa_fp16_overflow 0
		.amdhsa_workgroup_processor_mode 1
		.amdhsa_memory_ordered 1
		.amdhsa_forward_progress 0
		.amdhsa_shared_vgpr_count 0
		.amdhsa_exception_fp_ieee_invalid_op 0
		.amdhsa_exception_fp_denorm_src 0
		.amdhsa_exception_fp_ieee_div_zero 0
		.amdhsa_exception_fp_ieee_overflow 0
		.amdhsa_exception_fp_ieee_underflow 0
		.amdhsa_exception_fp_ieee_inexact 0
		.amdhsa_exception_int_div_zero 0
	.end_amdhsa_kernel
	.section	.text._ZN2at6native28tensor_kernel_scan_outer_dimIamSt4plusIaEEEvPT_PKS4_jjjS4_T1_,"axG",@progbits,_ZN2at6native28tensor_kernel_scan_outer_dimIamSt4plusIaEEEvPT_PKS4_jjjS4_T1_,comdat
.Lfunc_end21:
	.size	_ZN2at6native28tensor_kernel_scan_outer_dimIamSt4plusIaEEEvPT_PKS4_jjjS4_T1_, .Lfunc_end21-_ZN2at6native28tensor_kernel_scan_outer_dimIamSt4plusIaEEEvPT_PKS4_jjjS4_T1_
                                        ; -- End function
	.section	.AMDGPU.csdata,"",@progbits
; Kernel info:
; codeLenInByte = 356
; NumSgprs: 26
; NumVgprs: 8
; ScratchSize: 0
; MemoryBound: 0
; FloatMode: 240
; IeeeMode: 1
; LDSByteSize: 0 bytes/workgroup (compile time only)
; SGPRBlocks: 3
; VGPRBlocks: 0
; NumSGPRsForWavesPerEU: 26
; NumVGPRsForWavesPerEU: 8
; Occupancy: 16
; WaveLimiterHint : 0
; COMPUTE_PGM_RSRC2:SCRATCH_EN: 0
; COMPUTE_PGM_RSRC2:USER_SGPR: 14
; COMPUTE_PGM_RSRC2:TRAP_HANDLER: 0
; COMPUTE_PGM_RSRC2:TGID_X_EN: 1
; COMPUTE_PGM_RSRC2:TGID_Y_EN: 1
; COMPUTE_PGM_RSRC2:TGID_Z_EN: 0
; COMPUTE_PGM_RSRC2:TIDIG_COMP_CNT: 0
	.section	.text._ZN2at4cuda3cub15calc_block_sumsILi512ELi16ELb0EiiEEvPKT2_PT3_li,"axG",@progbits,_ZN2at4cuda3cub15calc_block_sumsILi512ELi16ELb0EiiEEvPKT2_PT3_li,comdat
	.protected	_ZN2at4cuda3cub15calc_block_sumsILi512ELi16ELb0EiiEEvPKT2_PT3_li ; -- Begin function _ZN2at4cuda3cub15calc_block_sumsILi512ELi16ELb0EiiEEvPKT2_PT3_li
	.globl	_ZN2at4cuda3cub15calc_block_sumsILi512ELi16ELb0EiiEEvPKT2_PT3_li
	.p2align	8
	.type	_ZN2at4cuda3cub15calc_block_sumsILi512ELi16ELb0EiiEEvPKT2_PT3_li,@function
_ZN2at4cuda3cub15calc_block_sumsILi512ELi16ELb0EiiEEvPKT2_PT3_li: ; @_ZN2at4cuda3cub15calc_block_sumsILi512ELi16ELb0EiiEEvPKT2_PT3_li
; %bb.0:
	s_clause 0x1
	s_load_b32 s26, s[0:1], 0x18
	s_load_b64 s[4:5], s[0:1], 0x10
	s_waitcnt lgkmcnt(0)
	s_lshl_b32 s3, s26, 13
	s_delay_alu instid0(SALU_CYCLE_1)
	s_ashr_i32 s6, s3, 31
	s_mul_hi_u32 s8, s3, s15
	s_mul_i32 s7, s6, s15
	s_mul_i32 s6, s3, s15
	s_add_i32 s7, s8, s7
	s_sub_u32 s24, s4, s6
	s_subb_u32 s25, s5, s7
	s_delay_alu instid0(SALU_CYCLE_1) | instskip(NEXT) | instid1(VALU_DEP_1)
	v_cmp_lt_i64_e64 s3, s[24:25], 1
	s_and_b32 vcc_lo, exec_lo, s3
	s_cbranch_vccnz .LBB22_54
; %bb.1:
	s_load_b128 s[20:23], s[0:1], 0x0
	s_mov_b32 s2, s15
	s_cmp_gt_i32 s26, 0
	s_mov_b32 s3, 0
	s_cbranch_scc1 .LBB22_3
; %bb.2:
	s_mov_b32 s0, 0
	s_mov_b32 s1, s3
	v_mov_b32_e32 v29, s0
	s_and_not1_b32 vcc_lo, exec_lo, s1
	s_mov_b32 s27, s3
	s_cbranch_vccz .LBB22_4
	s_branch .LBB22_52
.LBB22_3:
                                        ; implicit-def: $sgpr0
	v_mov_b32_e32 v29, s0
	s_mov_b32 s27, s3
.LBB22_4:
	v_lshrrev_b32_e32 v1, 3, v0
	s_mul_i32 s0, s2, s26
	v_dual_mov_b32 v2, 0 :: v_dual_add_nc_u32 v21, 0x200, v0
	s_lshl_b32 s1, s0, 13
	s_delay_alu instid0(VALU_DEP_2)
	v_and_b32_e32 v37, 0x7c, v1
	v_lshlrev_b32_e32 v1, 2, v0
	s_sub_i32 s1, s4, s1
	s_lshl_b64 s[4:5], s[6:7], 2
	v_or_b32_e32 v22, 0x400, v0
	s_waitcnt lgkmcnt(0)
	s_add_u32 s4, s20, s4
	s_addc_u32 s5, s21, s5
	v_add_co_u32 v19, s4, s4, v1
	v_add_nc_u32_e32 v23, 0x600, v0
	v_or_b32_e32 v24, 0x800, v0
	v_add_nc_u32_e32 v25, 0xa00, v0
	v_or_b32_e32 v26, 0xc00, v0
	;; [unrolled: 2-line block ×3, first 2 shown]
	v_dual_mov_b32 v29, 0 :: v_dual_add_nc_u32 v30, 0x1200, v0
	v_or_b32_e32 v31, 0x1400, v0
	v_add_nc_u32_e32 v32, 0x1600, v0
	v_or_b32_e32 v33, 0x1800, v0
	v_add_nc_u32_e32 v34, 0x1a00, v0
	;; [unrolled: 2-line block ×3, first 2 shown]
	v_cmp_gt_u32_e64 s0, 32, v0
	v_add_co_ci_u32_e64 v20, null, s5, 0, s4
	v_mbcnt_lo_u32_b32 v38, -1, 0
	s_mov_b32 s4, 0
	s_mov_b32 s27, -1
	s_mov_b32 s20, 0
	s_branch .LBB22_6
.LBB22_5:                               ;   in Loop: Header=BB22_6 Depth=1
	s_add_u32 s24, s24, 0xffffe000
	s_addc_u32 s25, s25, -1
	s_add_i32 s20, s20, 1
	v_add_co_u32 v19, vcc_lo, 0x8000, v19
	s_cmp_lt_i32 s20, s26
	v_add_co_ci_u32_e32 v20, vcc_lo, 0, v20, vcc_lo
	s_cselect_b32 s27, -1, 0
	s_addk_i32 s1, 0xe000
	s_cmp_eq_u32 s26, s20
	s_cselect_b32 s5, -1, 0
	s_barrier
	buffer_gl0_inv
	s_and_not1_b32 vcc_lo, exec_lo, s5
	s_cbranch_vccz .LBB22_52
.LBB22_6:                               ; =>This Inner Loop Header: Depth=1
	v_cmp_gt_i64_e64 s5, 0x2000, s[24:25]
                                        ; implicit-def: $vgpr1
	s_delay_alu instid0(VALU_DEP_1)
	s_and_b32 vcc_lo, exec_lo, s5
	s_mov_b32 s5, -1
	s_cbranch_vccnz .LBB22_9
; %bb.7:                                ;   in Loop: Header=BB22_6 Depth=1
	s_and_b32 vcc_lo, exec_lo, s5
	s_cbranch_vccnz .LBB22_31
.LBB22_8:                               ;   in Loop: Header=BB22_6 Depth=1
	v_cmp_gt_i64_e64 s5, 0x2001, s[24:25]
	s_delay_alu instid0(VALU_DEP_2) | instskip(NEXT) | instid1(VALU_DEP_2)
	v_add_nc_u32_e32 v29, v1, v29
	s_and_b32 vcc_lo, exec_lo, s5
	s_cbranch_vccz .LBB22_5
	s_branch .LBB22_36
.LBB22_9:                               ;   in Loop: Header=BB22_6 Depth=1
	s_mov_b32 s5, s4
	s_mov_b32 s6, s4
	;; [unrolled: 1-line block ×15, first 2 shown]
	v_dual_mov_b32 v3, s4 :: v_dual_mov_b32 v4, s5
	v_dual_mov_b32 v5, s6 :: v_dual_mov_b32 v6, s7
	;; [unrolled: 1-line block ×8, first 2 shown]
	s_mov_b32 s5, exec_lo
	v_cmpx_gt_u32_e64 s1, v0
	s_cbranch_execnz .LBB22_37
; %bb.10:                               ;   in Loop: Header=BB22_6 Depth=1
	s_or_b32 exec_lo, exec_lo, s5
	s_delay_alu instid0(SALU_CYCLE_1)
	s_mov_b32 s5, exec_lo
	v_cmpx_gt_u32_e64 s1, v21
	s_cbranch_execnz .LBB22_38
.LBB22_11:                              ;   in Loop: Header=BB22_6 Depth=1
	s_or_b32 exec_lo, exec_lo, s5
	s_delay_alu instid0(SALU_CYCLE_1)
	s_mov_b32 s5, exec_lo
	v_cmpx_gt_u32_e64 s1, v22
	s_cbranch_execnz .LBB22_39
.LBB22_12:                              ;   in Loop: Header=BB22_6 Depth=1
	s_or_b32 exec_lo, exec_lo, s5
	s_delay_alu instid0(SALU_CYCLE_1)
	s_mov_b32 s5, exec_lo
	v_cmpx_gt_u32_e64 s1, v23
	s_cbranch_execnz .LBB22_40
.LBB22_13:                              ;   in Loop: Header=BB22_6 Depth=1
	s_or_b32 exec_lo, exec_lo, s5
	s_delay_alu instid0(SALU_CYCLE_1)
	s_mov_b32 s5, exec_lo
	v_cmpx_gt_u32_e64 s1, v24
	s_cbranch_execnz .LBB22_41
.LBB22_14:                              ;   in Loop: Header=BB22_6 Depth=1
	s_or_b32 exec_lo, exec_lo, s5
	s_delay_alu instid0(SALU_CYCLE_1)
	s_mov_b32 s5, exec_lo
	v_cmpx_gt_u32_e64 s1, v25
	s_cbranch_execnz .LBB22_42
.LBB22_15:                              ;   in Loop: Header=BB22_6 Depth=1
	s_or_b32 exec_lo, exec_lo, s5
	s_delay_alu instid0(SALU_CYCLE_1)
	s_mov_b32 s5, exec_lo
	v_cmpx_gt_u32_e64 s1, v26
	s_cbranch_execnz .LBB22_43
.LBB22_16:                              ;   in Loop: Header=BB22_6 Depth=1
	s_or_b32 exec_lo, exec_lo, s5
	s_delay_alu instid0(SALU_CYCLE_1)
	s_mov_b32 s5, exec_lo
	v_cmpx_gt_u32_e64 s1, v27
	s_cbranch_execnz .LBB22_44
.LBB22_17:                              ;   in Loop: Header=BB22_6 Depth=1
	s_or_b32 exec_lo, exec_lo, s5
	s_delay_alu instid0(SALU_CYCLE_1)
	s_mov_b32 s5, exec_lo
	v_cmpx_gt_u32_e64 s1, v28
	s_cbranch_execnz .LBB22_45
.LBB22_18:                              ;   in Loop: Header=BB22_6 Depth=1
	s_or_b32 exec_lo, exec_lo, s5
	s_delay_alu instid0(SALU_CYCLE_1)
	s_mov_b32 s5, exec_lo
	v_cmpx_gt_u32_e64 s1, v30
	s_cbranch_execnz .LBB22_46
.LBB22_19:                              ;   in Loop: Header=BB22_6 Depth=1
	s_or_b32 exec_lo, exec_lo, s5
	s_delay_alu instid0(SALU_CYCLE_1)
	s_mov_b32 s5, exec_lo
	v_cmpx_gt_u32_e64 s1, v31
	s_cbranch_execnz .LBB22_47
.LBB22_20:                              ;   in Loop: Header=BB22_6 Depth=1
	s_or_b32 exec_lo, exec_lo, s5
	s_delay_alu instid0(SALU_CYCLE_1)
	s_mov_b32 s5, exec_lo
	v_cmpx_gt_u32_e64 s1, v32
	s_cbranch_execnz .LBB22_48
.LBB22_21:                              ;   in Loop: Header=BB22_6 Depth=1
	s_or_b32 exec_lo, exec_lo, s5
	s_delay_alu instid0(SALU_CYCLE_1)
	s_mov_b32 s5, exec_lo
	v_cmpx_gt_u32_e64 s1, v33
	s_cbranch_execnz .LBB22_49
.LBB22_22:                              ;   in Loop: Header=BB22_6 Depth=1
	s_or_b32 exec_lo, exec_lo, s5
	s_delay_alu instid0(SALU_CYCLE_1)
	s_mov_b32 s5, exec_lo
	v_cmpx_gt_u32_e64 s1, v34
	s_cbranch_execnz .LBB22_50
.LBB22_23:                              ;   in Loop: Header=BB22_6 Depth=1
	s_or_b32 exec_lo, exec_lo, s5
	s_delay_alu instid0(SALU_CYCLE_1)
	s_mov_b32 s5, exec_lo
	v_cmpx_gt_u32_e64 s1, v35
	s_cbranch_execnz .LBB22_51
.LBB22_24:                              ;   in Loop: Header=BB22_6 Depth=1
	s_or_b32 exec_lo, exec_lo, s5
	s_delay_alu instid0(SALU_CYCLE_1)
	s_mov_b32 s5, exec_lo
	v_cmpx_gt_u32_e64 s1, v36
	s_cbranch_execz .LBB22_26
.LBB22_25:                              ;   in Loop: Header=BB22_6 Depth=1
	v_add_co_u32 v39, vcc_lo, 0x7000, v19
	v_add_co_ci_u32_e32 v40, vcc_lo, 0, v20, vcc_lo
	global_load_b32 v18, v[39:40], off offset:2048
.LBB22_26:                              ;   in Loop: Header=BB22_6 Depth=1
	s_or_b32 exec_lo, exec_lo, s5
	s_waitcnt vmcnt(0)
	v_add_nc_u32_e32 v1, v4, v3
	s_mov_b32 s5, exec_lo
	s_barrier
	buffer_gl0_inv
	v_add3_u32 v1, v1, v5, v6
	s_delay_alu instid0(VALU_DEP_1) | instskip(NEXT) | instid1(VALU_DEP_1)
	v_add3_u32 v1, v1, v7, v8
	v_add3_u32 v1, v1, v9, v10
	s_delay_alu instid0(VALU_DEP_1) | instskip(NEXT) | instid1(VALU_DEP_1)
	v_add3_u32 v1, v1, v11, v12
	;; [unrolled: 3-line block ×3, first 2 shown]
	v_add3_u32 v1, v1, v17, v18
	s_delay_alu instid0(VALU_DEP_1) | instskip(NEXT) | instid1(VALU_DEP_1)
	v_mov_b32_dpp v3, v1 quad_perm:[1,0,3,2] row_mask:0xf bank_mask:0xf
	v_add_nc_u32_e32 v1, v1, v3
	s_delay_alu instid0(VALU_DEP_1) | instskip(NEXT) | instid1(VALU_DEP_1)
	v_mov_b32_dpp v3, v1 quad_perm:[2,3,0,1] row_mask:0xf bank_mask:0xf
	v_add_nc_u32_e32 v1, v1, v3
	s_delay_alu instid0(VALU_DEP_1) | instskip(NEXT) | instid1(VALU_DEP_1)
	v_mov_b32_dpp v3, v1 row_ror:4 row_mask:0xf bank_mask:0xf
	v_add_nc_u32_e32 v1, v1, v3
	s_delay_alu instid0(VALU_DEP_1) | instskip(NEXT) | instid1(VALU_DEP_1)
	v_mov_b32_dpp v3, v1 row_ror:8 row_mask:0xf bank_mask:0xf
	v_add_nc_u32_e32 v1, v1, v3
	ds_swizzle_b32 v3, v1 offset:swizzle(BROADCAST,32,15)
	s_waitcnt lgkmcnt(0)
	v_add_nc_u32_e32 v1, v1, v3
	ds_bpermute_b32 v1, v2, v1 offset:124
	v_cmpx_eq_u32_e32 0, v38
	s_cbranch_execz .LBB22_28
; %bb.27:                               ;   in Loop: Header=BB22_6 Depth=1
	s_waitcnt lgkmcnt(0)
	ds_store_b32 v37, v1
.LBB22_28:                              ;   in Loop: Header=BB22_6 Depth=1
	s_or_b32 exec_lo, exec_lo, s5
	s_waitcnt lgkmcnt(0)
	s_barrier
	buffer_gl0_inv
	s_and_saveexec_b32 s5, s0
	s_cbranch_execz .LBB22_30
; %bb.29:                               ;   in Loop: Header=BB22_6 Depth=1
	v_and_b32_e32 v1, 15, v38
	s_delay_alu instid0(VALU_DEP_1) | instskip(SKIP_4) | instid1(VALU_DEP_2)
	v_lshlrev_b32_e32 v3, 2, v1
	v_cmp_ne_u32_e32 vcc_lo, 15, v1
	ds_load_b32 v3, v3
	v_add_co_ci_u32_e32 v4, vcc_lo, 0, v38, vcc_lo
	v_cmp_gt_u32_e32 vcc_lo, 14, v1
	v_lshlrev_b32_e32 v4, 2, v4
	v_cndmask_b32_e64 v5, 0, 1, vcc_lo
	v_cmp_gt_u32_e32 vcc_lo, 12, v1
	s_delay_alu instid0(VALU_DEP_2) | instskip(NEXT) | instid1(VALU_DEP_1)
	v_lshlrev_b32_e32 v5, 1, v5
	v_add_lshl_u32 v5, v5, v38, 2
	s_waitcnt lgkmcnt(0)
	ds_bpermute_b32 v4, v4, v3
	s_waitcnt lgkmcnt(0)
	v_add_nc_u32_e32 v3, v4, v3
	ds_bpermute_b32 v4, v5, v3
	v_cndmask_b32_e64 v5, 0, 1, vcc_lo
	v_cmp_gt_u32_e32 vcc_lo, 8, v1
	s_delay_alu instid0(VALU_DEP_2) | instskip(SKIP_1) | instid1(VALU_DEP_2)
	v_lshlrev_b32_e32 v5, 2, v5
	v_cndmask_b32_e64 v1, 0, 1, vcc_lo
	v_add_lshl_u32 v5, v5, v38, 2
	s_delay_alu instid0(VALU_DEP_2) | instskip(NEXT) | instid1(VALU_DEP_1)
	v_lshlrev_b32_e32 v1, 3, v1
	v_add_lshl_u32 v1, v1, v38, 2
	s_waitcnt lgkmcnt(0)
	v_add_nc_u32_e32 v3, v4, v3
	ds_bpermute_b32 v4, v5, v3
	s_waitcnt lgkmcnt(0)
	v_add_nc_u32_e32 v3, v4, v3
	ds_bpermute_b32 v1, v1, v3
	s_waitcnt lgkmcnt(0)
	v_add_nc_u32_e32 v1, v1, v3
.LBB22_30:                              ;   in Loop: Header=BB22_6 Depth=1
	s_or_b32 exec_lo, exec_lo, s5
	s_branch .LBB22_8
.LBB22_31:                              ;   in Loop: Header=BB22_6 Depth=1
	v_add_co_u32 v3, vcc_lo, 0x1000, v19
	v_add_co_ci_u32_e32 v4, vcc_lo, 0, v20, vcc_lo
	v_add_co_u32 v5, vcc_lo, v19, 0x2000
	v_add_co_ci_u32_e32 v6, vcc_lo, 0, v20, vcc_lo
	v_add_co_u32 v7, vcc_lo, 0x2000, v19
	s_clause 0x1
	global_load_b32 v1, v[19:20], off
	global_load_b32 v11, v[19:20], off offset:2048
	v_add_co_ci_u32_e32 v8, vcc_lo, 0, v20, vcc_lo
	s_clause 0x1
	global_load_b32 v12, v[5:6], off offset:-4096
	global_load_b32 v13, v[5:6], off
	v_add_co_u32 v5, vcc_lo, 0x3000, v19
	v_add_co_ci_u32_e32 v6, vcc_lo, 0, v20, vcc_lo
	v_add_co_u32 v9, vcc_lo, v19, 0x4000
	s_clause 0x2
	global_load_b32 v14, v[3:4], off offset:2048
	global_load_b32 v15, v[7:8], off offset:2048
	;; [unrolled: 1-line block ×3, first 2 shown]
	v_add_co_ci_u32_e32 v10, vcc_lo, 0, v20, vcc_lo
	v_add_co_u32 v3, vcc_lo, 0x4000, v19
	v_add_co_ci_u32_e32 v4, vcc_lo, 0, v20, vcc_lo
	v_add_co_u32 v5, vcc_lo, v19, 0x6000
	;; [unrolled: 2-line block ×3, first 2 shown]
	v_add_co_ci_u32_e32 v8, vcc_lo, 0, v20, vcc_lo
	s_clause 0x4
	global_load_b32 v17, v[9:10], off offset:-4096
	global_load_b32 v9, v[9:10], off
	global_load_b32 v10, v[5:6], off offset:-4096
	global_load_b32 v18, v[3:4], off offset:2048
	global_load_b32 v7, v[7:8], off offset:2048
	v_add_co_u32 v3, vcc_lo, 0x6000, v19
	v_add_co_ci_u32_e32 v4, vcc_lo, 0, v20, vcc_lo
	global_load_b32 v8, v[5:6], off
	v_add_co_u32 v5, vcc_lo, 0x7000, v19
	v_add_co_ci_u32_e32 v6, vcc_lo, 0, v20, vcc_lo
	s_clause 0x2
	global_load_b32 v3, v[3:4], off offset:2048
	global_load_b32 v4, v[5:6], off
	global_load_b32 v5, v[5:6], off offset:2048
	s_mov_b32 s5, exec_lo
	s_waitcnt vmcnt(0)
	s_barrier
	buffer_gl0_inv
	v_add_nc_u32_e32 v1, v11, v1
	s_delay_alu instid0(VALU_DEP_1) | instskip(NEXT) | instid1(VALU_DEP_1)
	v_add3_u32 v1, v1, v12, v14
	v_add3_u32 v1, v1, v13, v15
	s_delay_alu instid0(VALU_DEP_1) | instskip(NEXT) | instid1(VALU_DEP_1)
	v_add3_u32 v1, v1, v17, v16
	v_add3_u32 v1, v1, v9, v18
	s_delay_alu instid0(VALU_DEP_1) | instskip(NEXT) | instid1(VALU_DEP_1)
	v_add3_u32 v1, v1, v10, v7
	v_add3_u32 v1, v1, v8, v3
	s_delay_alu instid0(VALU_DEP_1) | instskip(NEXT) | instid1(VALU_DEP_1)
	v_add3_u32 v1, v1, v4, v5
	v_mov_b32_dpp v3, v1 quad_perm:[1,0,3,2] row_mask:0xf bank_mask:0xf
	s_delay_alu instid0(VALU_DEP_1) | instskip(NEXT) | instid1(VALU_DEP_1)
	v_add_nc_u32_e32 v1, v3, v1
	v_mov_b32_dpp v3, v1 quad_perm:[2,3,0,1] row_mask:0xf bank_mask:0xf
	s_delay_alu instid0(VALU_DEP_1) | instskip(NEXT) | instid1(VALU_DEP_1)
	v_add_nc_u32_e32 v1, v1, v3
	v_mov_b32_dpp v3, v1 row_ror:4 row_mask:0xf bank_mask:0xf
	s_delay_alu instid0(VALU_DEP_1) | instskip(NEXT) | instid1(VALU_DEP_1)
	v_add_nc_u32_e32 v1, v1, v3
	v_mov_b32_dpp v3, v1 row_ror:8 row_mask:0xf bank_mask:0xf
	s_delay_alu instid0(VALU_DEP_1)
	v_add_nc_u32_e32 v1, v1, v3
	ds_swizzle_b32 v3, v1 offset:swizzle(BROADCAST,32,15)
	s_waitcnt lgkmcnt(0)
	v_add_nc_u32_e32 v1, v1, v3
	ds_bpermute_b32 v1, v2, v1 offset:124
	v_cmpx_eq_u32_e32 0, v38
	s_cbranch_execz .LBB22_33
; %bb.32:                               ;   in Loop: Header=BB22_6 Depth=1
	s_waitcnt lgkmcnt(0)
	ds_store_b32 v37, v1
.LBB22_33:                              ;   in Loop: Header=BB22_6 Depth=1
	s_or_b32 exec_lo, exec_lo, s5
	s_waitcnt lgkmcnt(0)
	s_barrier
	buffer_gl0_inv
	s_and_saveexec_b32 s5, s0
	s_cbranch_execz .LBB22_35
; %bb.34:                               ;   in Loop: Header=BB22_6 Depth=1
	v_and_b32_e32 v1, 15, v38
	s_delay_alu instid0(VALU_DEP_1) | instskip(SKIP_4) | instid1(VALU_DEP_2)
	v_lshlrev_b32_e32 v3, 2, v1
	v_cmp_ne_u32_e32 vcc_lo, 15, v1
	ds_load_b32 v3, v3
	v_add_co_ci_u32_e32 v4, vcc_lo, 0, v38, vcc_lo
	v_cmp_gt_u32_e32 vcc_lo, 14, v1
	v_lshlrev_b32_e32 v4, 2, v4
	v_cndmask_b32_e64 v5, 0, 1, vcc_lo
	v_cmp_gt_u32_e32 vcc_lo, 12, v1
	s_delay_alu instid0(VALU_DEP_2) | instskip(NEXT) | instid1(VALU_DEP_1)
	v_lshlrev_b32_e32 v5, 1, v5
	v_add_lshl_u32 v5, v5, v38, 2
	s_waitcnt lgkmcnt(0)
	ds_bpermute_b32 v4, v4, v3
	s_waitcnt lgkmcnt(0)
	v_add_nc_u32_e32 v3, v4, v3
	ds_bpermute_b32 v4, v5, v3
	v_cndmask_b32_e64 v5, 0, 1, vcc_lo
	v_cmp_gt_u32_e32 vcc_lo, 8, v1
	s_delay_alu instid0(VALU_DEP_2) | instskip(SKIP_1) | instid1(VALU_DEP_2)
	v_lshlrev_b32_e32 v5, 2, v5
	v_cndmask_b32_e64 v1, 0, 1, vcc_lo
	v_add_lshl_u32 v5, v5, v38, 2
	s_delay_alu instid0(VALU_DEP_2) | instskip(NEXT) | instid1(VALU_DEP_1)
	v_lshlrev_b32_e32 v1, 3, v1
	v_add_lshl_u32 v1, v1, v38, 2
	s_waitcnt lgkmcnt(0)
	v_add_nc_u32_e32 v3, v4, v3
	ds_bpermute_b32 v4, v5, v3
	s_waitcnt lgkmcnt(0)
	v_add_nc_u32_e32 v3, v4, v3
	ds_bpermute_b32 v1, v1, v3
	s_waitcnt lgkmcnt(0)
	v_add_nc_u32_e32 v1, v1, v3
.LBB22_35:                              ;   in Loop: Header=BB22_6 Depth=1
	s_or_b32 exec_lo, exec_lo, s5
	v_cmp_gt_i64_e64 s5, 0x2001, s[24:25]
	s_delay_alu instid0(VALU_DEP_2) | instskip(NEXT) | instid1(VALU_DEP_2)
	v_add_nc_u32_e32 v29, v1, v29
	s_and_b32 vcc_lo, exec_lo, s5
	s_cbranch_vccz .LBB22_5
.LBB22_36:
                                        ; implicit-def: $sgpr20
                                        ; implicit-def: $sgpr24_sgpr25
                                        ; implicit-def: $sgpr1
                                        ; implicit-def: $vgpr19_vgpr20
	s_branch .LBB22_52
.LBB22_37:                              ;   in Loop: Header=BB22_6 Depth=1
	global_load_b32 v1, v[19:20], off
	v_mov_b32_e32 v16, v2
	v_mov_b32_e32 v3, v2
	;; [unrolled: 1-line block ×14, first 2 shown]
	s_waitcnt vmcnt(0)
	v_mov_b32_e32 v18, v16
	s_delay_alu instid0(VALU_DEP_2)
	v_dual_mov_b32 v17, v15 :: v_dual_mov_b32 v16, v14
	v_mov_b32_e32 v15, v13
	v_mov_b32_e32 v14, v12
	;; [unrolled: 1-line block ×13, first 2 shown]
	s_or_b32 exec_lo, exec_lo, s5
	s_delay_alu instid0(SALU_CYCLE_1)
	s_mov_b32 s5, exec_lo
	v_cmpx_gt_u32_e64 s1, v21
	s_cbranch_execz .LBB22_11
.LBB22_38:                              ;   in Loop: Header=BB22_6 Depth=1
	global_load_b32 v4, v[19:20], off offset:2048
	s_or_b32 exec_lo, exec_lo, s5
	s_delay_alu instid0(SALU_CYCLE_1)
	s_mov_b32 s5, exec_lo
	v_cmpx_gt_u32_e64 s1, v22
	s_cbranch_execz .LBB22_12
.LBB22_39:                              ;   in Loop: Header=BB22_6 Depth=1
	v_add_co_u32 v39, vcc_lo, 0x1000, v19
	v_add_co_ci_u32_e32 v40, vcc_lo, 0, v20, vcc_lo
	global_load_b32 v5, v[39:40], off
	s_or_b32 exec_lo, exec_lo, s5
	s_delay_alu instid0(SALU_CYCLE_1)
	s_mov_b32 s5, exec_lo
	v_cmpx_gt_u32_e64 s1, v23
	s_cbranch_execz .LBB22_13
.LBB22_40:                              ;   in Loop: Header=BB22_6 Depth=1
	v_add_co_u32 v39, vcc_lo, 0x1000, v19
	v_add_co_ci_u32_e32 v40, vcc_lo, 0, v20, vcc_lo
	global_load_b32 v6, v[39:40], off offset:2048
	s_or_b32 exec_lo, exec_lo, s5
	s_delay_alu instid0(SALU_CYCLE_1)
	s_mov_b32 s5, exec_lo
	v_cmpx_gt_u32_e64 s1, v24
	s_cbranch_execz .LBB22_14
.LBB22_41:                              ;   in Loop: Header=BB22_6 Depth=1
	v_add_co_u32 v39, vcc_lo, 0x2000, v19
	v_add_co_ci_u32_e32 v40, vcc_lo, 0, v20, vcc_lo
	global_load_b32 v7, v[39:40], off
	s_or_b32 exec_lo, exec_lo, s5
	s_delay_alu instid0(SALU_CYCLE_1)
	s_mov_b32 s5, exec_lo
	v_cmpx_gt_u32_e64 s1, v25
	s_cbranch_execz .LBB22_15
.LBB22_42:                              ;   in Loop: Header=BB22_6 Depth=1
	v_add_co_u32 v39, vcc_lo, 0x2000, v19
	v_add_co_ci_u32_e32 v40, vcc_lo, 0, v20, vcc_lo
	global_load_b32 v8, v[39:40], off offset:2048
	s_or_b32 exec_lo, exec_lo, s5
	s_delay_alu instid0(SALU_CYCLE_1)
	s_mov_b32 s5, exec_lo
	v_cmpx_gt_u32_e64 s1, v26
	s_cbranch_execz .LBB22_16
.LBB22_43:                              ;   in Loop: Header=BB22_6 Depth=1
	v_add_co_u32 v39, vcc_lo, 0x3000, v19
	v_add_co_ci_u32_e32 v40, vcc_lo, 0, v20, vcc_lo
	global_load_b32 v9, v[39:40], off
	s_or_b32 exec_lo, exec_lo, s5
	s_delay_alu instid0(SALU_CYCLE_1)
	s_mov_b32 s5, exec_lo
	v_cmpx_gt_u32_e64 s1, v27
	s_cbranch_execz .LBB22_17
.LBB22_44:                              ;   in Loop: Header=BB22_6 Depth=1
	v_add_co_u32 v39, vcc_lo, 0x3000, v19
	v_add_co_ci_u32_e32 v40, vcc_lo, 0, v20, vcc_lo
	global_load_b32 v10, v[39:40], off offset:2048
	s_or_b32 exec_lo, exec_lo, s5
	s_delay_alu instid0(SALU_CYCLE_1)
	s_mov_b32 s5, exec_lo
	v_cmpx_gt_u32_e64 s1, v28
	s_cbranch_execz .LBB22_18
.LBB22_45:                              ;   in Loop: Header=BB22_6 Depth=1
	v_add_co_u32 v39, vcc_lo, 0x4000, v19
	v_add_co_ci_u32_e32 v40, vcc_lo, 0, v20, vcc_lo
	global_load_b32 v11, v[39:40], off
	s_or_b32 exec_lo, exec_lo, s5
	s_delay_alu instid0(SALU_CYCLE_1)
	s_mov_b32 s5, exec_lo
	v_cmpx_gt_u32_e64 s1, v30
	s_cbranch_execz .LBB22_19
.LBB22_46:                              ;   in Loop: Header=BB22_6 Depth=1
	v_add_co_u32 v39, vcc_lo, 0x4000, v19
	v_add_co_ci_u32_e32 v40, vcc_lo, 0, v20, vcc_lo
	global_load_b32 v12, v[39:40], off offset:2048
	s_or_b32 exec_lo, exec_lo, s5
	s_delay_alu instid0(SALU_CYCLE_1)
	s_mov_b32 s5, exec_lo
	v_cmpx_gt_u32_e64 s1, v31
	s_cbranch_execz .LBB22_20
.LBB22_47:                              ;   in Loop: Header=BB22_6 Depth=1
	v_add_co_u32 v39, vcc_lo, 0x5000, v19
	v_add_co_ci_u32_e32 v40, vcc_lo, 0, v20, vcc_lo
	global_load_b32 v13, v[39:40], off
	s_or_b32 exec_lo, exec_lo, s5
	s_delay_alu instid0(SALU_CYCLE_1)
	s_mov_b32 s5, exec_lo
	v_cmpx_gt_u32_e64 s1, v32
	s_cbranch_execz .LBB22_21
.LBB22_48:                              ;   in Loop: Header=BB22_6 Depth=1
	v_add_co_u32 v39, vcc_lo, 0x5000, v19
	v_add_co_ci_u32_e32 v40, vcc_lo, 0, v20, vcc_lo
	global_load_b32 v14, v[39:40], off offset:2048
	s_or_b32 exec_lo, exec_lo, s5
	s_delay_alu instid0(SALU_CYCLE_1)
	s_mov_b32 s5, exec_lo
	v_cmpx_gt_u32_e64 s1, v33
	s_cbranch_execz .LBB22_22
.LBB22_49:                              ;   in Loop: Header=BB22_6 Depth=1
	v_add_co_u32 v39, vcc_lo, 0x6000, v19
	v_add_co_ci_u32_e32 v40, vcc_lo, 0, v20, vcc_lo
	global_load_b32 v15, v[39:40], off
	s_or_b32 exec_lo, exec_lo, s5
	s_delay_alu instid0(SALU_CYCLE_1)
	s_mov_b32 s5, exec_lo
	v_cmpx_gt_u32_e64 s1, v34
	s_cbranch_execz .LBB22_23
.LBB22_50:                              ;   in Loop: Header=BB22_6 Depth=1
	v_add_co_u32 v39, vcc_lo, 0x6000, v19
	v_add_co_ci_u32_e32 v40, vcc_lo, 0, v20, vcc_lo
	global_load_b32 v16, v[39:40], off offset:2048
	s_or_b32 exec_lo, exec_lo, s5
	s_delay_alu instid0(SALU_CYCLE_1)
	s_mov_b32 s5, exec_lo
	v_cmpx_gt_u32_e64 s1, v35
	s_cbranch_execz .LBB22_24
.LBB22_51:                              ;   in Loop: Header=BB22_6 Depth=1
	v_add_co_u32 v39, vcc_lo, 0x7000, v19
	v_add_co_ci_u32_e32 v40, vcc_lo, 0, v20, vcc_lo
	global_load_b32 v17, v[39:40], off
	s_or_b32 exec_lo, exec_lo, s5
	s_delay_alu instid0(SALU_CYCLE_1)
	s_mov_b32 s5, exec_lo
	v_cmpx_gt_u32_e64 s1, v36
	s_cbranch_execnz .LBB22_25
	s_branch .LBB22_26
.LBB22_52:
	v_cmp_eq_u32_e32 vcc_lo, 0, v0
	s_xor_b32 s0, s27, -1
	s_delay_alu instid0(SALU_CYCLE_1) | instskip(NEXT) | instid1(SALU_CYCLE_1)
	s_and_b32 s0, vcc_lo, s0
	s_and_saveexec_b32 s1, s0
	s_cbranch_execz .LBB22_54
; %bb.53:
	s_lshl_b64 s[0:1], s[2:3], 2
	v_mov_b32_e32 v0, 0
	s_waitcnt lgkmcnt(0)
	s_add_u32 s0, s22, s0
	s_addc_u32 s1, s23, s1
	global_store_b32 v0, v29, s[0:1]
.LBB22_54:
	s_nop 0
	s_sendmsg sendmsg(MSG_DEALLOC_VGPRS)
	s_endpgm
	.section	.rodata,"a",@progbits
	.p2align	6, 0x0
	.amdhsa_kernel _ZN2at4cuda3cub15calc_block_sumsILi512ELi16ELb0EiiEEvPKT2_PT3_li
		.amdhsa_group_segment_fixed_size 64
		.amdhsa_private_segment_fixed_size 0
		.amdhsa_kernarg_size 28
		.amdhsa_user_sgpr_count 15
		.amdhsa_user_sgpr_dispatch_ptr 0
		.amdhsa_user_sgpr_queue_ptr 0
		.amdhsa_user_sgpr_kernarg_segment_ptr 1
		.amdhsa_user_sgpr_dispatch_id 0
		.amdhsa_user_sgpr_private_segment_size 0
		.amdhsa_wavefront_size32 1
		.amdhsa_uses_dynamic_stack 0
		.amdhsa_enable_private_segment 0
		.amdhsa_system_sgpr_workgroup_id_x 1
		.amdhsa_system_sgpr_workgroup_id_y 0
		.amdhsa_system_sgpr_workgroup_id_z 0
		.amdhsa_system_sgpr_workgroup_info 0
		.amdhsa_system_vgpr_workitem_id 0
		.amdhsa_next_free_vgpr 41
		.amdhsa_next_free_sgpr 28
		.amdhsa_reserve_vcc 1
		.amdhsa_float_round_mode_32 0
		.amdhsa_float_round_mode_16_64 0
		.amdhsa_float_denorm_mode_32 3
		.amdhsa_float_denorm_mode_16_64 3
		.amdhsa_dx10_clamp 1
		.amdhsa_ieee_mode 1
		.amdhsa_fp16_overflow 0
		.amdhsa_workgroup_processor_mode 1
		.amdhsa_memory_ordered 1
		.amdhsa_forward_progress 0
		.amdhsa_shared_vgpr_count 0
		.amdhsa_exception_fp_ieee_invalid_op 0
		.amdhsa_exception_fp_denorm_src 0
		.amdhsa_exception_fp_ieee_div_zero 0
		.amdhsa_exception_fp_ieee_overflow 0
		.amdhsa_exception_fp_ieee_underflow 0
		.amdhsa_exception_fp_ieee_inexact 0
		.amdhsa_exception_int_div_zero 0
	.end_amdhsa_kernel
	.section	.text._ZN2at4cuda3cub15calc_block_sumsILi512ELi16ELb0EiiEEvPKT2_PT3_li,"axG",@progbits,_ZN2at4cuda3cub15calc_block_sumsILi512ELi16ELb0EiiEEvPKT2_PT3_li,comdat
.Lfunc_end22:
	.size	_ZN2at4cuda3cub15calc_block_sumsILi512ELi16ELb0EiiEEvPKT2_PT3_li, .Lfunc_end22-_ZN2at4cuda3cub15calc_block_sumsILi512ELi16ELb0EiiEEvPKT2_PT3_li
                                        ; -- End function
	.section	.AMDGPU.csdata,"",@progbits
; Kernel info:
; codeLenInByte = 3096
; NumSgprs: 30
; NumVgprs: 41
; ScratchSize: 0
; MemoryBound: 0
; FloatMode: 240
; IeeeMode: 1
; LDSByteSize: 64 bytes/workgroup (compile time only)
; SGPRBlocks: 3
; VGPRBlocks: 5
; NumSGPRsForWavesPerEU: 30
; NumVGPRsForWavesPerEU: 41
; Occupancy: 16
; WaveLimiterHint : 1
; COMPUTE_PGM_RSRC2:SCRATCH_EN: 0
; COMPUTE_PGM_RSRC2:USER_SGPR: 15
; COMPUTE_PGM_RSRC2:TRAP_HANDLER: 0
; COMPUTE_PGM_RSRC2:TGID_X_EN: 1
; COMPUTE_PGM_RSRC2:TGID_Y_EN: 0
; COMPUTE_PGM_RSRC2:TGID_Z_EN: 0
; COMPUTE_PGM_RSRC2:TIDIG_COMP_CNT: 0
	.section	.text._ZN2at4cuda3cub17final_scan_kernelILi512ELi16EiEEvPKT1_PS3_S6_li,"axG",@progbits,_ZN2at4cuda3cub17final_scan_kernelILi512ELi16EiEEvPKT1_PS3_S6_li,comdat
	.protected	_ZN2at4cuda3cub17final_scan_kernelILi512ELi16EiEEvPKT1_PS3_S6_li ; -- Begin function _ZN2at4cuda3cub17final_scan_kernelILi512ELi16EiEEvPKT1_PS3_S6_li
	.globl	_ZN2at4cuda3cub17final_scan_kernelILi512ELi16EiEEvPKT1_PS3_S6_li
	.p2align	8
	.type	_ZN2at4cuda3cub17final_scan_kernelILi512ELi16EiEEvPKT1_PS3_S6_li,@function
_ZN2at4cuda3cub17final_scan_kernelILi512ELi16EiEEvPKT1_PS3_S6_li: ; @_ZN2at4cuda3cub17final_scan_kernelILi512ELi16EiEEvPKT1_PS3_S6_li
; %bb.0:
	s_clause 0x1
	s_load_b32 s30, s[0:1], 0x20
	s_load_b256 s[16:23], s[0:1], 0x0
	s_waitcnt lgkmcnt(0)
	s_lshl_b32 s2, s30, 13
	s_delay_alu instid0(SALU_CYCLE_1)
	s_ashr_i32 s3, s2, 31
	s_mul_hi_u32 s4, s2, s15
	s_mul_i32 s3, s3, s15
	s_mul_i32 s12, s2, s15
	s_add_i32 s13, s4, s3
	s_sub_u32 s28, s22, s12
	s_subb_u32 s29, s23, s13
	s_delay_alu instid0(SALU_CYCLE_1) | instskip(NEXT) | instid1(VALU_DEP_1)
	v_cmp_lt_i64_e64 s2, s[28:29], 1
	s_and_b32 vcc_lo, exec_lo, s2
	s_cbranch_vccnz .LBB23_98
; %bb.1:
	v_dual_mov_b32 v3, 0 :: v_dual_lshlrev_b32 v24, 2, v0
	s_mov_b32 s2, exec_lo
	v_cmpx_gt_u32_e64 s15, v0
	s_cbranch_execz .LBB23_3
; %bb.2:
	global_load_b32 v3, v24, s[20:21]
.LBB23_3:
	s_or_b32 exec_lo, exec_lo, s2
	s_load_b32 s0, s[0:1], 0x34
	s_waitcnt lgkmcnt(0)
	s_and_b32 s1, s0, 0xffff
	s_mov_b32 s0, exec_lo
	v_add_nc_u32_e32 v1, s1, v0
	s_delay_alu instid0(VALU_DEP_1)
	v_cmpx_gt_u32_e64 s15, v1
	s_cbranch_execz .LBB23_7
; %bb.4:
	v_mov_b32_e32 v2, 0
	s_mov_b32 s2, 0
.LBB23_5:                               ; =>This Inner Loop Header: Depth=1
	s_delay_alu instid0(VALU_DEP_1) | instskip(SKIP_1) | instid1(VALU_DEP_2)
	v_lshlrev_b64 v[4:5], 2, v[1:2]
	v_add_nc_u32_e32 v1, s1, v1
	v_add_co_u32 v4, vcc_lo, s20, v4
	s_delay_alu instid0(VALU_DEP_3) | instskip(NEXT) | instid1(VALU_DEP_3)
	v_add_co_ci_u32_e32 v5, vcc_lo, s21, v5, vcc_lo
	v_cmp_le_u32_e32 vcc_lo, s15, v1
	global_load_b32 v4, v[4:5], off
	s_or_b32 s2, vcc_lo, s2
	s_waitcnt vmcnt(0)
	v_add_nc_u32_e32 v3, v4, v3
	s_and_not1_b32 exec_lo, exec_lo, s2
	s_cbranch_execnz .LBB23_5
; %bb.6:
	s_or_b32 exec_lo, exec_lo, s2
.LBB23_7:
	s_delay_alu instid0(SALU_CYCLE_1) | instskip(SKIP_2) | instid1(VALU_DEP_1)
	s_or_b32 exec_lo, exec_lo, s0
	s_waitcnt vmcnt(0)
	v_mov_b32_dpp v1, v3 quad_perm:[1,0,3,2] row_mask:0xf bank_mask:0xf
	v_add_nc_u32_e32 v1, v1, v3
	s_delay_alu instid0(VALU_DEP_1) | instskip(NEXT) | instid1(VALU_DEP_1)
	v_mov_b32_dpp v2, v1 quad_perm:[2,3,0,1] row_mask:0xf bank_mask:0xf
	v_add_nc_u32_e32 v1, v1, v2
	s_delay_alu instid0(VALU_DEP_1) | instskip(NEXT) | instid1(VALU_DEP_1)
	v_mov_b32_dpp v2, v1 row_ror:4 row_mask:0xf bank_mask:0xf
	v_add_nc_u32_e32 v1, v1, v2
	s_delay_alu instid0(VALU_DEP_1) | instskip(NEXT) | instid1(VALU_DEP_1)
	v_mov_b32_dpp v2, v1 row_ror:8 row_mask:0xf bank_mask:0xf
	v_add_nc_u32_e32 v1, v1, v2
	ds_swizzle_b32 v2, v1 offset:swizzle(BROADCAST,32,15)
	s_waitcnt lgkmcnt(0)
	v_dual_mov_b32 v2, 0 :: v_dual_add_nc_u32 v1, v1, v2
	ds_bpermute_b32 v25, v2, v1 offset:124
	v_mbcnt_lo_u32_b32 v1, -1, 0
	s_delay_alu instid0(VALU_DEP_1) | instskip(NEXT) | instid1(VALU_DEP_1)
	v_cmp_eq_u32_e64 s0, 0, v1
	s_and_saveexec_b32 s1, s0
	s_cbranch_execz .LBB23_9
; %bb.8:
	v_lshrrev_b32_e32 v2, 3, v0
	s_delay_alu instid0(VALU_DEP_1)
	v_and_b32_e32 v2, 0x7c, v2
	s_waitcnt lgkmcnt(0)
	ds_store_b32 v2, v25
.LBB23_9:
	s_or_b32 exec_lo, exec_lo, s1
	v_cmp_lt_u32_e64 s1, 31, v0
	v_cmp_gt_u32_e64 s2, 32, v0
	v_and_b32_e32 v2, 15, v1
	s_waitcnt lgkmcnt(0)
	s_barrier
	buffer_gl0_inv
	s_and_saveexec_b32 s3, s2
	s_cbranch_execz .LBB23_11
; %bb.10:
	v_lshlrev_b32_e32 v3, 2, v2
	v_cmp_ne_u32_e32 vcc_lo, 15, v2
	ds_load_b32 v3, v3
	v_add_co_ci_u32_e32 v4, vcc_lo, 0, v1, vcc_lo
	v_cmp_gt_u32_e32 vcc_lo, 14, v2
	s_delay_alu instid0(VALU_DEP_2) | instskip(SKIP_2) | instid1(VALU_DEP_2)
	v_lshlrev_b32_e32 v4, 2, v4
	v_cndmask_b32_e64 v5, 0, 1, vcc_lo
	v_cmp_gt_u32_e32 vcc_lo, 12, v2
	v_lshlrev_b32_e32 v5, 1, v5
	s_delay_alu instid0(VALU_DEP_1)
	v_add_lshl_u32 v5, v5, v1, 2
	s_waitcnt lgkmcnt(0)
	ds_bpermute_b32 v4, v4, v3
	s_waitcnt lgkmcnt(0)
	v_add_nc_u32_e32 v3, v4, v3
	ds_bpermute_b32 v4, v5, v3
	v_cndmask_b32_e64 v5, 0, 1, vcc_lo
	v_cmp_gt_u32_e32 vcc_lo, 8, v2
	s_delay_alu instid0(VALU_DEP_2) | instskip(NEXT) | instid1(VALU_DEP_1)
	v_lshlrev_b32_e32 v5, 2, v5
	v_add_lshl_u32 v5, v5, v1, 2
	s_waitcnt lgkmcnt(0)
	v_add_nc_u32_e32 v3, v4, v3
	ds_bpermute_b32 v4, v5, v3
	v_cndmask_b32_e64 v5, 0, 1, vcc_lo
	s_delay_alu instid0(VALU_DEP_1) | instskip(SKIP_2) | instid1(VALU_DEP_2)
	v_lshlrev_b32_e32 v5, 3, v5
	s_waitcnt lgkmcnt(0)
	v_add_nc_u32_e32 v3, v4, v3
	v_add_lshl_u32 v4, v5, v1, 2
	ds_bpermute_b32 v4, v4, v3
	s_waitcnt lgkmcnt(0)
	v_add_nc_u32_e32 v25, v4, v3
.LBB23_11:
	s_or_b32 exec_lo, exec_lo, s3
	s_cmp_lt_i32 s30, 1
	s_barrier
	buffer_gl0_inv
	s_cbranch_scc1 .LBB23_98
; %bb.12:
	v_lshlrev_b32_e32 v3, 4, v0
	v_cmp_eq_u32_e64 s3, 0, v2
	v_cmp_lt_u32_e64 s4, 1, v2
	v_cmp_lt_u32_e64 s5, 3, v2
	v_cmp_lt_u32_e64 s6, 7, v2
	v_and_b32_e32 v3, 0x3e00, v3
	s_lshl_b64 s[12:13], s[12:13], 2
	v_cmp_gt_u32_e64 s9, 16, v0
	v_cmp_eq_u32_e64 s10, 0, v0
	v_lshlrev_b32_e32 v62, 2, v1
	v_or_b32_e32 v26, v1, v3
	v_lshrrev_b32_e32 v3, 5, v3
	s_delay_alu instid0(VALU_DEP_2)
	v_or_b32_e32 v29, 0x60, v26
	v_or_b32_e32 v33, 0xe0, v26
	;; [unrolled: 1-line block ×4, first 2 shown]
	v_add_lshl_u32 v42, v3, v26, 2
	v_lshrrev_b32_e32 v3, 5, v29
	v_lshrrev_b32_e32 v7, 5, v33
	v_or_b32_e32 v30, 0x80, v26
	v_or_b32_e32 v32, 0xc0, v26
	v_lshrrev_b32_e32 v5, 5, v28
	v_add_lshl_u32 v45, v3, v29, 2
	v_add_lshl_u32 v49, v7, v33, 2
	v_lshrrev_b32_e32 v3, 5, v34
	v_and_b32_e32 v7, 0x3e0, v0
	v_or_b32_e32 v36, 0x140, v26
	v_or_b32_e32 v37, 0x160, v26
	v_lshrrev_b32_e32 v6, 5, v30
	v_add_lshl_u32 v44, v5, v28, 2
	v_lshrrev_b32_e32 v5, 5, v32
	v_add_lshl_u32 v50, v3, v34, 2
	v_or_b32_e32 v3, v1, v7
	v_or_b32_e32 v27, 32, v26
	;; [unrolled: 1-line block ×4, first 2 shown]
	v_add_lshl_u32 v46, v6, v30, 2
	v_add_lshl_u32 v48, v5, v32, 2
	v_lshrrev_b32_e32 v5, 5, v36
	v_lshrrev_b32_e32 v6, 5, v37
	v_lshlrev_b32_e32 v9, 4, v3
	v_bfe_u32 v3, v3, 1, 27
	v_or_b32_e32 v31, 0xa0, v26
	v_lshrrev_b32_e32 v4, 5, v27
	v_add_lshl_u32 v52, v5, v36, 2
	v_add_lshl_u32 v53, v6, v37, 2
	v_lshrrev_b32_e32 v5, 5, v39
	v_lshrrev_b32_e32 v6, 5, v40
	v_add_lshl_u32 v58, v3, v9, 2
	v_min_u32_e32 v3, 0x1e0, v7
	v_or_b32_e32 v35, 0x120, v26
	v_add_lshl_u32 v43, v4, v27, 2
	v_lshrrev_b32_e32 v4, 5, v31
	v_add_lshl_u32 v55, v5, v39, 2
	v_add_lshl_u32 v56, v6, v40, 2
	v_lshrrev_b32_e32 v5, 5, v0
	v_add_nc_u32_e32 v6, -1, v1
	v_or_b32_e32 v2, 31, v3
	v_or_b32_e32 v38, 0x180, v26
	v_add_lshl_u32 v47, v4, v31, 2
	v_lshrrev_b32_e32 v4, 5, v35
	v_cmp_gt_i32_e32 vcc_lo, 0, v6
	v_cmp_eq_u32_e64 s8, v2, v0
	v_lshlrev_b32_e32 v2, 11, v5
	v_lshlrev_b32_e32 v59, 2, v5
	v_add_lshl_u32 v51, v4, v35, 2
	v_lshrrev_b32_e32 v4, 5, v38
	v_cndmask_b32_e32 v3, v6, v1, vcc_lo
	v_add_co_u32 v0, s11, s12, v2
	v_add_nc_u32_e32 v60, -4, v59
	s_delay_alu instid0(VALU_DEP_4)
	v_add_lshl_u32 v54, v4, v38, 2
	v_dual_mov_b32 v1, 0 :: v_dual_and_b32 v4, 16, v1
	v_add_co_ci_u32_e64 v2, null, s13, 0, s11
	v_or_b32_e32 v41, 0x1e0, v26
	v_lshlrev_b32_e32 v61, 2, v3
	v_add_co_u32 v3, vcc_lo, v0, s18
	v_cmp_eq_u32_e64 s7, 0, v4
	v_add_co_ci_u32_e32 v4, vcc_lo, s19, v2, vcc_lo
	v_lshrrev_b32_e32 v8, 5, v41
	s_delay_alu instid0(VALU_DEP_4) | instskip(NEXT) | instid1(VALU_DEP_3)
	v_add_co_u32 v18, vcc_lo, 0x780, v3
	v_add_co_ci_u32_e32 v19, vcc_lo, 0, v4, vcc_lo
	v_add_co_u32 v20, vcc_lo, s16, v0
	s_delay_alu instid0(VALU_DEP_4)
	v_add_lshl_u32 v57, v8, v41, 2
	v_add_co_ci_u32_e32 v21, vcc_lo, s17, v2, vcc_lo
	s_mov_b32 s12, 0
	s_branch .LBB23_14
.LBB23_13:                              ;   in Loop: Header=BB23_14 Depth=1
	v_add_co_u32 v18, vcc_lo, 0x8000, v18
	v_add_co_ci_u32_e32 v19, vcc_lo, 0, v19, vcc_lo
	s_add_u32 s28, s28, 0xffffe000
	v_add_co_u32 v20, vcc_lo, 0x8000, v20
	s_addc_u32 s29, s29, -1
	s_add_i32 s30, s30, -1
	v_add_co_ci_u32_e32 v21, vcc_lo, 0, v21, vcc_lo
	s_cmp_eq_u32 s30, 0
	s_waitcnt lgkmcnt(0)
	s_waitcnt_vscnt null, 0x0
	s_cselect_b32 s11, -1, 0
	s_barrier
	buffer_gl0_inv
	s_and_not1_b32 vcc_lo, exec_lo, s11
	s_cbranch_vccz .LBB23_98
.LBB23_14:                              ; =>This Inner Loop Header: Depth=1
	v_cmp_lt_i64_e64 s11, 0x1fff, s[28:29]
	v_cmp_gt_i64_e64 s31, 0x2000, s[28:29]
	s_mov_b32 s13, -1
	s_delay_alu instid0(VALU_DEP_2)
	s_and_b32 vcc_lo, exec_lo, s11
	v_cmp_gt_u32_e64 s11, s28, v26
	s_cbranch_vccnz .LBB23_33
; %bb.15:                               ;   in Loop: Header=BB23_14 Depth=1
	s_mov_b32 s13, s12
	s_mov_b32 s14, s12
	;; [unrolled: 1-line block ×15, first 2 shown]
	v_add_co_u32 v22, vcc_lo, v20, v62
	s_waitcnt lgkmcnt(0)
	v_dual_mov_b32 v2, s12 :: v_dual_mov_b32 v3, s13
	v_dual_mov_b32 v4, s14 :: v_dual_mov_b32 v5, s15
	;; [unrolled: 1-line block ×8, first 2 shown]
	v_add_co_ci_u32_e32 v23, vcc_lo, 0, v21, vcc_lo
	s_and_saveexec_b32 s13, s11
	s_cbranch_execnz .LBB23_83
; %bb.16:                               ;   in Loop: Header=BB23_14 Depth=1
	s_or_b32 exec_lo, exec_lo, s13
	s_delay_alu instid0(SALU_CYCLE_1)
	s_mov_b32 s11, exec_lo
	v_cmpx_gt_u32_e64 s28, v27
	s_cbranch_execnz .LBB23_84
.LBB23_17:                              ;   in Loop: Header=BB23_14 Depth=1
	s_or_b32 exec_lo, exec_lo, s11
	s_delay_alu instid0(SALU_CYCLE_1)
	s_mov_b32 s11, exec_lo
	v_cmpx_gt_u32_e64 s28, v28
	s_cbranch_execnz .LBB23_85
.LBB23_18:                              ;   in Loop: Header=BB23_14 Depth=1
	s_or_b32 exec_lo, exec_lo, s11
	s_delay_alu instid0(SALU_CYCLE_1)
	s_mov_b32 s11, exec_lo
	v_cmpx_gt_u32_e64 s28, v29
	s_cbranch_execnz .LBB23_86
.LBB23_19:                              ;   in Loop: Header=BB23_14 Depth=1
	s_or_b32 exec_lo, exec_lo, s11
	s_delay_alu instid0(SALU_CYCLE_1)
	s_mov_b32 s11, exec_lo
	v_cmpx_gt_u32_e64 s28, v30
	s_cbranch_execnz .LBB23_87
.LBB23_20:                              ;   in Loop: Header=BB23_14 Depth=1
	s_or_b32 exec_lo, exec_lo, s11
	s_delay_alu instid0(SALU_CYCLE_1)
	s_mov_b32 s11, exec_lo
	v_cmpx_gt_u32_e64 s28, v31
	s_cbranch_execnz .LBB23_88
.LBB23_21:                              ;   in Loop: Header=BB23_14 Depth=1
	s_or_b32 exec_lo, exec_lo, s11
	s_delay_alu instid0(SALU_CYCLE_1)
	s_mov_b32 s11, exec_lo
	v_cmpx_gt_u32_e64 s28, v32
	s_cbranch_execnz .LBB23_89
.LBB23_22:                              ;   in Loop: Header=BB23_14 Depth=1
	s_or_b32 exec_lo, exec_lo, s11
	s_delay_alu instid0(SALU_CYCLE_1)
	s_mov_b32 s11, exec_lo
	v_cmpx_gt_u32_e64 s28, v33
	s_cbranch_execnz .LBB23_90
.LBB23_23:                              ;   in Loop: Header=BB23_14 Depth=1
	s_or_b32 exec_lo, exec_lo, s11
	s_delay_alu instid0(SALU_CYCLE_1)
	s_mov_b32 s11, exec_lo
	v_cmpx_gt_u32_e64 s28, v34
	s_cbranch_execnz .LBB23_91
.LBB23_24:                              ;   in Loop: Header=BB23_14 Depth=1
	s_or_b32 exec_lo, exec_lo, s11
	s_delay_alu instid0(SALU_CYCLE_1)
	s_mov_b32 s11, exec_lo
	v_cmpx_gt_u32_e64 s28, v35
	s_cbranch_execnz .LBB23_92
.LBB23_25:                              ;   in Loop: Header=BB23_14 Depth=1
	s_or_b32 exec_lo, exec_lo, s11
	s_delay_alu instid0(SALU_CYCLE_1)
	s_mov_b32 s11, exec_lo
	v_cmpx_gt_u32_e64 s28, v36
	s_cbranch_execnz .LBB23_93
.LBB23_26:                              ;   in Loop: Header=BB23_14 Depth=1
	s_or_b32 exec_lo, exec_lo, s11
	s_delay_alu instid0(SALU_CYCLE_1)
	s_mov_b32 s11, exec_lo
	v_cmpx_gt_u32_e64 s28, v37
	s_cbranch_execnz .LBB23_94
.LBB23_27:                              ;   in Loop: Header=BB23_14 Depth=1
	s_or_b32 exec_lo, exec_lo, s11
	s_delay_alu instid0(SALU_CYCLE_1)
	s_mov_b32 s11, exec_lo
	v_cmpx_gt_u32_e64 s28, v38
	s_cbranch_execnz .LBB23_95
.LBB23_28:                              ;   in Loop: Header=BB23_14 Depth=1
	s_or_b32 exec_lo, exec_lo, s11
	s_delay_alu instid0(SALU_CYCLE_1)
	s_mov_b32 s11, exec_lo
	v_cmpx_gt_u32_e64 s28, v39
	s_cbranch_execnz .LBB23_96
.LBB23_29:                              ;   in Loop: Header=BB23_14 Depth=1
	s_or_b32 exec_lo, exec_lo, s11
	s_delay_alu instid0(SALU_CYCLE_1)
	s_mov_b32 s11, exec_lo
	v_cmpx_gt_u32_e64 s28, v40
	s_cbranch_execnz .LBB23_97
.LBB23_30:                              ;   in Loop: Header=BB23_14 Depth=1
	s_or_b32 exec_lo, exec_lo, s11
	s_delay_alu instid0(SALU_CYCLE_1)
	s_mov_b32 s11, exec_lo
	v_cmpx_gt_u32_e64 s28, v41
	s_cbranch_execz .LBB23_32
.LBB23_31:                              ;   in Loop: Header=BB23_14 Depth=1
	global_load_b32 v17, v[22:23], off offset:1920
.LBB23_32:                              ;   in Loop: Header=BB23_14 Depth=1
	s_or_b32 exec_lo, exec_lo, s11
	s_mov_b32 s13, 0
	ds_store_b32 v42, v2
	s_waitcnt vmcnt(0)
	ds_store_b32 v43, v3
	ds_store_b32 v44, v4
	;; [unrolled: 1-line block ×15, first 2 shown]
	; wave barrier
.LBB23_33:                              ;   in Loop: Header=BB23_14 Depth=1
	s_and_b32 vcc_lo, exec_lo, s13
	s_cbranch_vccz .LBB23_35
; %bb.34:                               ;   in Loop: Header=BB23_14 Depth=1
	v_add_co_u32 v2, vcc_lo, v20, v62
	v_add_co_ci_u32_e32 v3, vcc_lo, 0, v21, vcc_lo
	s_clause 0x7
	global_load_b32 v0, v[2:3], off
	global_load_b32 v4, v[2:3], off offset:128
	global_load_b32 v5, v[2:3], off offset:256
	;; [unrolled: 1-line block ×7, first 2 shown]
	s_waitcnt lgkmcnt(0)
	s_clause 0x7
	global_load_b32 v11, v[2:3], off offset:1024
	global_load_b32 v12, v[2:3], off offset:1152
	;; [unrolled: 1-line block ×8, first 2 shown]
	s_waitcnt vmcnt(15)
	ds_store_b32 v42, v0
	s_waitcnt vmcnt(14)
	ds_store_b32 v43, v4
	;; [unrolled: 2-line block ×16, first 2 shown]
	; wave barrier
.LBB23_35:                              ;   in Loop: Header=BB23_14 Depth=1
	ds_load_2addr_b32 v[8:9], v58 offset1:1
	ds_load_2addr_b32 v[6:7], v58 offset0:2 offset1:3
	ds_load_2addr_b32 v[4:5], v58 offset0:4 offset1:5
	;; [unrolled: 1-line block ×6, first 2 shown]
	s_waitcnt lgkmcnt(7)
	ds_load_2addr_b32 v[10:11], v58 offset0:14 offset1:15
	s_waitcnt lgkmcnt(0)
	s_waitcnt_vscnt null, 0x0
	s_barrier
	buffer_gl0_inv
	v_add_nc_u32_e32 v0, v9, v8
	s_delay_alu instid0(VALU_DEP_1) | instskip(NEXT) | instid1(VALU_DEP_1)
	v_add3_u32 v0, v0, v6, v7
	v_add3_u32 v0, v0, v4, v5
	s_delay_alu instid0(VALU_DEP_1) | instskip(NEXT) | instid1(VALU_DEP_1)
	v_add3_u32 v0, v0, v2, v3
	v_add3_u32 v0, v0, v12, v13
	;; [unrolled: 3-line block ×3, first 2 shown]
	s_delay_alu instid0(VALU_DEP_1) | instskip(NEXT) | instid1(VALU_DEP_1)
	v_add3_u32 v0, v0, v10, v11
	v_mov_b32_dpp v22, v0 row_shr:1 row_mask:0xf bank_mask:0xf
	s_delay_alu instid0(VALU_DEP_1) | instskip(NEXT) | instid1(VALU_DEP_1)
	v_cndmask_b32_e64 v22, v22, 0, s3
	v_add_nc_u32_e32 v0, v0, v22
	s_delay_alu instid0(VALU_DEP_1) | instskip(NEXT) | instid1(VALU_DEP_1)
	v_mov_b32_dpp v22, v0 row_shr:2 row_mask:0xf bank_mask:0xf
	v_cndmask_b32_e64 v22, 0, v22, s4
	s_delay_alu instid0(VALU_DEP_1) | instskip(NEXT) | instid1(VALU_DEP_1)
	v_add_nc_u32_e32 v0, v0, v22
	v_mov_b32_dpp v22, v0 row_shr:4 row_mask:0xf bank_mask:0xf
	s_delay_alu instid0(VALU_DEP_1) | instskip(NEXT) | instid1(VALU_DEP_1)
	v_cndmask_b32_e64 v22, 0, v22, s5
	v_add_nc_u32_e32 v0, v0, v22
	s_delay_alu instid0(VALU_DEP_1) | instskip(NEXT) | instid1(VALU_DEP_1)
	v_mov_b32_dpp v22, v0 row_shr:8 row_mask:0xf bank_mask:0xf
	v_cndmask_b32_e64 v22, 0, v22, s6
	s_delay_alu instid0(VALU_DEP_1) | instskip(SKIP_3) | instid1(VALU_DEP_1)
	v_add_nc_u32_e32 v0, v0, v22
	ds_swizzle_b32 v22, v0 offset:swizzle(BROADCAST,32,15)
	s_waitcnt lgkmcnt(0)
	v_cndmask_b32_e64 v22, v22, 0, s7
	v_add_nc_u32_e32 v0, v0, v22
	s_and_saveexec_b32 s11, s8
	s_cbranch_execz .LBB23_37
; %bb.36:                               ;   in Loop: Header=BB23_14 Depth=1
	ds_store_b32 v59, v0
.LBB23_37:                              ;   in Loop: Header=BB23_14 Depth=1
	s_or_b32 exec_lo, exec_lo, s11
	s_waitcnt lgkmcnt(0)
	s_barrier
	buffer_gl0_inv
	s_and_saveexec_b32 s11, s9
	s_cbranch_execz .LBB23_39
; %bb.38:                               ;   in Loop: Header=BB23_14 Depth=1
	ds_load_b32 v22, v24
	s_waitcnt lgkmcnt(0)
	v_mov_b32_dpp v23, v22 row_shr:1 row_mask:0xf bank_mask:0xf
	s_delay_alu instid0(VALU_DEP_1) | instskip(NEXT) | instid1(VALU_DEP_1)
	v_cndmask_b32_e64 v23, v23, 0, s3
	v_add_nc_u32_e32 v22, v23, v22
	s_delay_alu instid0(VALU_DEP_1) | instskip(NEXT) | instid1(VALU_DEP_1)
	v_mov_b32_dpp v23, v22 row_shr:2 row_mask:0xf bank_mask:0xf
	v_cndmask_b32_e64 v23, 0, v23, s4
	s_delay_alu instid0(VALU_DEP_1) | instskip(NEXT) | instid1(VALU_DEP_1)
	v_add_nc_u32_e32 v22, v22, v23
	v_mov_b32_dpp v23, v22 row_shr:4 row_mask:0xf bank_mask:0xf
	s_delay_alu instid0(VALU_DEP_1) | instskip(NEXT) | instid1(VALU_DEP_1)
	v_cndmask_b32_e64 v23, 0, v23, s5
	v_add_nc_u32_e32 v22, v22, v23
	s_delay_alu instid0(VALU_DEP_1) | instskip(NEXT) | instid1(VALU_DEP_1)
	v_mov_b32_dpp v23, v22 row_shr:8 row_mask:0xf bank_mask:0xf
	v_cndmask_b32_e64 v23, 0, v23, s6
	s_delay_alu instid0(VALU_DEP_1)
	v_add_nc_u32_e32 v22, v22, v23
	ds_store_b32 v24, v22
.LBB23_39:                              ;   in Loop: Header=BB23_14 Depth=1
	s_or_b32 exec_lo, exec_lo, s11
	s_waitcnt lgkmcnt(0)
	s_barrier
	buffer_gl0_inv
                                        ; implicit-def: $vgpr22
	s_and_saveexec_b32 s11, s1
	s_cbranch_execz .LBB23_41
; %bb.40:                               ;   in Loop: Header=BB23_14 Depth=1
	ds_load_b32 v22, v60
	s_waitcnt lgkmcnt(0)
	v_add_nc_u32_e32 v0, v22, v0
.LBB23_41:                              ;   in Loop: Header=BB23_14 Depth=1
	s_or_b32 exec_lo, exec_lo, s11
	ds_bpermute_b32 v0, v61, v0
	s_and_saveexec_b32 s11, s2
	s_cbranch_execz .LBB23_45
; %bb.42:                               ;   in Loop: Header=BB23_14 Depth=1
	ds_load_b32 v23, v1 offset:60
	s_and_saveexec_b32 s13, s10
	s_cbranch_execz .LBB23_44
; %bb.43:                               ;   in Loop: Header=BB23_14 Depth=1
	ds_store_b32 v1, v25 offset:60
.LBB23_44:                              ;   in Loop: Header=BB23_14 Depth=1
	s_or_b32 exec_lo, exec_lo, s13
	s_waitcnt lgkmcnt(0)
	v_add_nc_u32_e32 v25, v23, v25
.LBB23_45:                              ;   in Loop: Header=BB23_14 Depth=1
	s_or_b32 exec_lo, exec_lo, s11
	s_waitcnt lgkmcnt(0)
	s_barrier
	buffer_gl0_inv
	ds_load_b32 v23, v1 offset:60
	v_cndmask_b32_e64 v0, v0, v22, s0
	s_and_b32 vcc_lo, exec_lo, s31
	s_waitcnt lgkmcnt(0)
	s_barrier
	buffer_gl0_inv
	v_cndmask_b32_e64 v0, v0, 0, s10
	s_delay_alu instid0(VALU_DEP_1) | instskip(NEXT) | instid1(VALU_DEP_1)
	v_add3_u32 v0, v0, v8, v23
	v_add_nc_u32_e32 v8, v0, v9
	s_delay_alu instid0(VALU_DEP_1) | instskip(NEXT) | instid1(VALU_DEP_1)
	v_add_nc_u32_e32 v6, v8, v6
	v_add_nc_u32_e32 v7, v6, v7
	s_delay_alu instid0(VALU_DEP_1) | instskip(NEXT) | instid1(VALU_DEP_1)
	v_add_nc_u32_e32 v4, v7, v4
	;; [unrolled: 3-line block ×7, first 2 shown]
	v_add_nc_u32_e32 v23, v10, v11
	s_cbranch_vccz .LBB23_66
; %bb.46:                               ;   in Loop: Header=BB23_14 Depth=1
	ds_store_2addr_b32 v58, v0, v8 offset1:1
	ds_store_2addr_b32 v58, v6, v7 offset0:2 offset1:3
	ds_store_2addr_b32 v58, v4, v5 offset0:4 offset1:5
	ds_store_2addr_b32 v58, v9, v22 offset0:6 offset1:7
	ds_store_2addr_b32 v58, v12, v13 offset0:8 offset1:9
	ds_store_2addr_b32 v58, v14, v15 offset0:10 offset1:11
	ds_store_2addr_b32 v58, v16, v17 offset0:12 offset1:13
	ds_store_2addr_b32 v58, v10, v23 offset0:14 offset1:15
	; wave barrier
	ds_load_b32 v77, v42
	ds_load_b32 v76, v43
	;; [unrolled: 1-line block ×16, first 2 shown]
	v_add_co_u32 v2, vcc_lo, v18, v62
	v_add_co_ci_u32_e32 v3, vcc_lo, 0, v19, vcc_lo
	s_mov_b32 s11, exec_lo
	v_cmpx_gt_u32_e64 s28, v26
	s_cbranch_execnz .LBB23_69
; %bb.47:                               ;   in Loop: Header=BB23_14 Depth=1
	s_or_b32 exec_lo, exec_lo, s11
	s_delay_alu instid0(SALU_CYCLE_1)
	s_mov_b32 s11, exec_lo
	v_cmpx_gt_u32_e64 s28, v27
	s_cbranch_execnz .LBB23_70
.LBB23_48:                              ;   in Loop: Header=BB23_14 Depth=1
	s_or_b32 exec_lo, exec_lo, s11
	s_delay_alu instid0(SALU_CYCLE_1)
	s_mov_b32 s11, exec_lo
	v_cmpx_gt_u32_e64 s28, v28
	s_cbranch_execnz .LBB23_71
.LBB23_49:                              ;   in Loop: Header=BB23_14 Depth=1
	s_or_b32 exec_lo, exec_lo, s11
	s_delay_alu instid0(SALU_CYCLE_1)
	s_mov_b32 s11, exec_lo
	v_cmpx_gt_u32_e64 s28, v29
	s_cbranch_execnz .LBB23_72
.LBB23_50:                              ;   in Loop: Header=BB23_14 Depth=1
	s_or_b32 exec_lo, exec_lo, s11
	s_delay_alu instid0(SALU_CYCLE_1)
	s_mov_b32 s11, exec_lo
	v_cmpx_gt_u32_e64 s28, v30
	s_cbranch_execnz .LBB23_73
.LBB23_51:                              ;   in Loop: Header=BB23_14 Depth=1
	s_or_b32 exec_lo, exec_lo, s11
	s_delay_alu instid0(SALU_CYCLE_1)
	s_mov_b32 s11, exec_lo
	v_cmpx_gt_u32_e64 s28, v31
	s_cbranch_execnz .LBB23_74
.LBB23_52:                              ;   in Loop: Header=BB23_14 Depth=1
	s_or_b32 exec_lo, exec_lo, s11
	s_delay_alu instid0(SALU_CYCLE_1)
	s_mov_b32 s11, exec_lo
	v_cmpx_gt_u32_e64 s28, v32
	s_cbranch_execnz .LBB23_75
.LBB23_53:                              ;   in Loop: Header=BB23_14 Depth=1
	s_or_b32 exec_lo, exec_lo, s11
	s_delay_alu instid0(SALU_CYCLE_1)
	s_mov_b32 s11, exec_lo
	v_cmpx_gt_u32_e64 s28, v33
	s_cbranch_execnz .LBB23_76
.LBB23_54:                              ;   in Loop: Header=BB23_14 Depth=1
	s_or_b32 exec_lo, exec_lo, s11
	s_delay_alu instid0(SALU_CYCLE_1)
	s_mov_b32 s11, exec_lo
	v_cmpx_gt_u32_e64 s28, v34
	s_cbranch_execnz .LBB23_77
.LBB23_55:                              ;   in Loop: Header=BB23_14 Depth=1
	s_or_b32 exec_lo, exec_lo, s11
	s_delay_alu instid0(SALU_CYCLE_1)
	s_mov_b32 s11, exec_lo
	v_cmpx_gt_u32_e64 s28, v35
	s_cbranch_execnz .LBB23_78
.LBB23_56:                              ;   in Loop: Header=BB23_14 Depth=1
	s_or_b32 exec_lo, exec_lo, s11
	s_delay_alu instid0(SALU_CYCLE_1)
	s_mov_b32 s11, exec_lo
	v_cmpx_gt_u32_e64 s28, v36
	s_cbranch_execnz .LBB23_79
.LBB23_57:                              ;   in Loop: Header=BB23_14 Depth=1
	s_or_b32 exec_lo, exec_lo, s11
	s_delay_alu instid0(SALU_CYCLE_1)
	s_mov_b32 s11, exec_lo
	v_cmpx_gt_u32_e64 s28, v37
	s_cbranch_execnz .LBB23_80
.LBB23_58:                              ;   in Loop: Header=BB23_14 Depth=1
	s_or_b32 exec_lo, exec_lo, s11
	s_delay_alu instid0(SALU_CYCLE_1)
	s_mov_b32 s11, exec_lo
	v_cmpx_gt_u32_e64 s28, v38
	s_cbranch_execnz .LBB23_81
.LBB23_59:                              ;   in Loop: Header=BB23_14 Depth=1
	s_or_b32 exec_lo, exec_lo, s11
	s_delay_alu instid0(SALU_CYCLE_1)
	s_mov_b32 s11, exec_lo
	v_cmpx_gt_u32_e64 s28, v39
	s_cbranch_execnz .LBB23_82
.LBB23_60:                              ;   in Loop: Header=BB23_14 Depth=1
	s_or_b32 exec_lo, exec_lo, s11
	s_delay_alu instid0(SALU_CYCLE_1)
	s_mov_b32 s11, exec_lo
	v_cmpx_gt_u32_e64 s28, v40
	s_cbranch_execz .LBB23_62
.LBB23_61:                              ;   in Loop: Header=BB23_14 Depth=1
	s_waitcnt lgkmcnt(1)
	global_store_b32 v[2:3], v63, off offset:-128
.LBB23_62:                              ;   in Loop: Header=BB23_14 Depth=1
	s_or_b32 exec_lo, exec_lo, s11
	v_cmp_gt_u32_e64 s11, s28, v41
	s_branch .LBB23_64
.LBB23_63:                              ;   in Loop: Header=BB23_14 Depth=1
	ds_store_2addr_b32 v58, v0, v8 offset1:1
	ds_store_2addr_b32 v58, v6, v7 offset0:2 offset1:3
	ds_store_2addr_b32 v58, v4, v5 offset0:4 offset1:5
	;; [unrolled: 1-line block ×7, first 2 shown]
	; wave barrier
	ds_load_b32 v0, v42
	ds_load_b32 v4, v43
	;; [unrolled: 1-line block ×15, first 2 shown]
	s_waitcnt lgkmcnt(23)
	ds_load_b32 v11, v57
	v_add_co_u32 v2, vcc_lo, v18, v62
	v_add_co_ci_u32_e32 v3, vcc_lo, 0, v19, vcc_lo
	s_or_b32 s11, s11, exec_lo
	s_waitcnt lgkmcnt(15)
	global_store_b32 v[2:3], v0, off offset:-1920
	s_waitcnt lgkmcnt(14)
	global_store_b32 v[2:3], v4, off offset:-1792
	;; [unrolled: 2-line block ×15, first 2 shown]
.LBB23_64:                              ;   in Loop: Header=BB23_14 Depth=1
	s_delay_alu instid0(VALU_DEP_1)
	s_and_saveexec_b32 s13, s11
	s_cbranch_execnz .LBB23_67
; %bb.65:                               ;   in Loop: Header=BB23_14 Depth=1
	s_or_b32 exec_lo, exec_lo, s13
	v_cmp_gt_i64_e64 s11, 0x2001, s[28:29]
	s_delay_alu instid0(VALU_DEP_1)
	s_and_b32 vcc_lo, exec_lo, s11
	s_cbranch_vccz .LBB23_13
	s_branch .LBB23_68
.LBB23_66:                              ;   in Loop: Header=BB23_14 Depth=1
	s_mov_b32 s11, 0
                                        ; implicit-def: $vgpr11
	s_cbranch_execnz .LBB23_63
	s_branch .LBB23_64
.LBB23_67:                              ;   in Loop: Header=BB23_14 Depth=1
	v_add_co_u32 v2, vcc_lo, v18, v62
	v_add_co_ci_u32_e32 v3, vcc_lo, 0, v19, vcc_lo
	s_waitcnt lgkmcnt(0)
	global_store_b32 v[2:3], v11, off
	s_or_b32 exec_lo, exec_lo, s13
	v_cmp_gt_i64_e64 s11, 0x2001, s[28:29]
	s_delay_alu instid0(VALU_DEP_1)
	s_and_b32 vcc_lo, exec_lo, s11
	s_cbranch_vccz .LBB23_13
.LBB23_68:
                                        ; implicit-def: $vgpr25
                                        ; implicit-def: $sgpr28_sgpr29
                                        ; implicit-def: $sgpr30
                                        ; implicit-def: $vgpr18_vgpr19
                                        ; implicit-def: $vgpr20_vgpr21
	s_branch .LBB23_98
.LBB23_69:                              ;   in Loop: Header=BB23_14 Depth=1
	s_waitcnt lgkmcnt(15)
	global_store_b32 v[2:3], v77, off offset:-1920
	s_or_b32 exec_lo, exec_lo, s11
	s_delay_alu instid0(SALU_CYCLE_1)
	s_mov_b32 s11, exec_lo
	v_cmpx_gt_u32_e64 s28, v27
	s_cbranch_execz .LBB23_48
.LBB23_70:                              ;   in Loop: Header=BB23_14 Depth=1
	s_waitcnt lgkmcnt(14)
	global_store_b32 v[2:3], v76, off offset:-1792
	s_or_b32 exec_lo, exec_lo, s11
	s_delay_alu instid0(SALU_CYCLE_1)
	s_mov_b32 s11, exec_lo
	v_cmpx_gt_u32_e64 s28, v28
	s_cbranch_execz .LBB23_49
.LBB23_71:                              ;   in Loop: Header=BB23_14 Depth=1
	s_waitcnt lgkmcnt(13)
	global_store_b32 v[2:3], v75, off offset:-1664
	s_or_b32 exec_lo, exec_lo, s11
	s_delay_alu instid0(SALU_CYCLE_1)
	s_mov_b32 s11, exec_lo
	v_cmpx_gt_u32_e64 s28, v29
	s_cbranch_execz .LBB23_50
.LBB23_72:                              ;   in Loop: Header=BB23_14 Depth=1
	s_waitcnt lgkmcnt(12)
	global_store_b32 v[2:3], v74, off offset:-1536
	s_or_b32 exec_lo, exec_lo, s11
	s_delay_alu instid0(SALU_CYCLE_1)
	s_mov_b32 s11, exec_lo
	v_cmpx_gt_u32_e64 s28, v30
	s_cbranch_execz .LBB23_51
.LBB23_73:                              ;   in Loop: Header=BB23_14 Depth=1
	s_waitcnt lgkmcnt(11)
	global_store_b32 v[2:3], v73, off offset:-1408
	s_or_b32 exec_lo, exec_lo, s11
	s_delay_alu instid0(SALU_CYCLE_1)
	s_mov_b32 s11, exec_lo
	v_cmpx_gt_u32_e64 s28, v31
	s_cbranch_execz .LBB23_52
.LBB23_74:                              ;   in Loop: Header=BB23_14 Depth=1
	s_waitcnt lgkmcnt(10)
	global_store_b32 v[2:3], v72, off offset:-1280
	s_or_b32 exec_lo, exec_lo, s11
	s_delay_alu instid0(SALU_CYCLE_1)
	s_mov_b32 s11, exec_lo
	v_cmpx_gt_u32_e64 s28, v32
	s_cbranch_execz .LBB23_53
.LBB23_75:                              ;   in Loop: Header=BB23_14 Depth=1
	s_waitcnt lgkmcnt(9)
	global_store_b32 v[2:3], v71, off offset:-1152
	s_or_b32 exec_lo, exec_lo, s11
	s_delay_alu instid0(SALU_CYCLE_1)
	s_mov_b32 s11, exec_lo
	v_cmpx_gt_u32_e64 s28, v33
	s_cbranch_execz .LBB23_54
.LBB23_76:                              ;   in Loop: Header=BB23_14 Depth=1
	s_waitcnt lgkmcnt(8)
	global_store_b32 v[2:3], v70, off offset:-1024
	s_or_b32 exec_lo, exec_lo, s11
	s_delay_alu instid0(SALU_CYCLE_1)
	s_mov_b32 s11, exec_lo
	v_cmpx_gt_u32_e64 s28, v34
	s_cbranch_execz .LBB23_55
.LBB23_77:                              ;   in Loop: Header=BB23_14 Depth=1
	s_waitcnt lgkmcnt(7)
	global_store_b32 v[2:3], v69, off offset:-896
	s_or_b32 exec_lo, exec_lo, s11
	s_delay_alu instid0(SALU_CYCLE_1)
	s_mov_b32 s11, exec_lo
	v_cmpx_gt_u32_e64 s28, v35
	s_cbranch_execz .LBB23_56
.LBB23_78:                              ;   in Loop: Header=BB23_14 Depth=1
	s_waitcnt lgkmcnt(6)
	global_store_b32 v[2:3], v68, off offset:-768
	s_or_b32 exec_lo, exec_lo, s11
	s_delay_alu instid0(SALU_CYCLE_1)
	s_mov_b32 s11, exec_lo
	v_cmpx_gt_u32_e64 s28, v36
	s_cbranch_execz .LBB23_57
.LBB23_79:                              ;   in Loop: Header=BB23_14 Depth=1
	s_waitcnt lgkmcnt(5)
	global_store_b32 v[2:3], v67, off offset:-640
	s_or_b32 exec_lo, exec_lo, s11
	s_delay_alu instid0(SALU_CYCLE_1)
	s_mov_b32 s11, exec_lo
	v_cmpx_gt_u32_e64 s28, v37
	s_cbranch_execz .LBB23_58
.LBB23_80:                              ;   in Loop: Header=BB23_14 Depth=1
	s_waitcnt lgkmcnt(4)
	global_store_b32 v[2:3], v66, off offset:-512
	s_or_b32 exec_lo, exec_lo, s11
	s_delay_alu instid0(SALU_CYCLE_1)
	s_mov_b32 s11, exec_lo
	v_cmpx_gt_u32_e64 s28, v38
	s_cbranch_execz .LBB23_59
.LBB23_81:                              ;   in Loop: Header=BB23_14 Depth=1
	s_waitcnt lgkmcnt(3)
	global_store_b32 v[2:3], v65, off offset:-384
	s_or_b32 exec_lo, exec_lo, s11
	s_delay_alu instid0(SALU_CYCLE_1)
	s_mov_b32 s11, exec_lo
	v_cmpx_gt_u32_e64 s28, v39
	s_cbranch_execz .LBB23_60
.LBB23_82:                              ;   in Loop: Header=BB23_14 Depth=1
	s_waitcnt lgkmcnt(2)
	global_store_b32 v[2:3], v64, off offset:-256
	s_or_b32 exec_lo, exec_lo, s11
	s_delay_alu instid0(SALU_CYCLE_1)
	s_mov_b32 s11, exec_lo
	v_cmpx_gt_u32_e64 s28, v40
	s_cbranch_execnz .LBB23_61
	s_branch .LBB23_62
.LBB23_83:                              ;   in Loop: Header=BB23_14 Depth=1
	global_load_b32 v0, v[22:23], off
	v_mov_b32_e32 v15, v1
	v_mov_b32_e32 v2, v1
	v_mov_b32_e32 v3, v1
	v_mov_b32_e32 v4, v1
	v_mov_b32_e32 v5, v1
	v_mov_b32_e32 v6, v1
	v_mov_b32_e32 v7, v1
	v_mov_b32_e32 v8, v1
	v_mov_b32_e32 v9, v1
	v_mov_b32_e32 v10, v1
	v_mov_b32_e32 v11, v1
	v_mov_b32_e32 v12, v1
	v_mov_b32_e32 v13, v1
	v_mov_b32_e32 v14, v1
	s_waitcnt vmcnt(0)
	v_mov_b32_e32 v17, v15
	s_delay_alu instid0(VALU_DEP_2)
	v_dual_mov_b32 v16, v14 :: v_dual_mov_b32 v15, v13
	v_mov_b32_e32 v14, v12
	v_mov_b32_e32 v13, v11
	;; [unrolled: 1-line block ×13, first 2 shown]
	s_or_b32 exec_lo, exec_lo, s13
	s_delay_alu instid0(SALU_CYCLE_1)
	s_mov_b32 s11, exec_lo
	v_cmpx_gt_u32_e64 s28, v27
	s_cbranch_execz .LBB23_17
.LBB23_84:                              ;   in Loop: Header=BB23_14 Depth=1
	global_load_b32 v3, v[22:23], off offset:128
	s_or_b32 exec_lo, exec_lo, s11
	s_delay_alu instid0(SALU_CYCLE_1)
	s_mov_b32 s11, exec_lo
	v_cmpx_gt_u32_e64 s28, v28
	s_cbranch_execz .LBB23_18
.LBB23_85:                              ;   in Loop: Header=BB23_14 Depth=1
	global_load_b32 v4, v[22:23], off offset:256
	s_or_b32 exec_lo, exec_lo, s11
	s_delay_alu instid0(SALU_CYCLE_1)
	s_mov_b32 s11, exec_lo
	v_cmpx_gt_u32_e64 s28, v29
	s_cbranch_execz .LBB23_19
.LBB23_86:                              ;   in Loop: Header=BB23_14 Depth=1
	global_load_b32 v5, v[22:23], off offset:384
	s_or_b32 exec_lo, exec_lo, s11
	s_delay_alu instid0(SALU_CYCLE_1)
	s_mov_b32 s11, exec_lo
	v_cmpx_gt_u32_e64 s28, v30
	s_cbranch_execz .LBB23_20
.LBB23_87:                              ;   in Loop: Header=BB23_14 Depth=1
	global_load_b32 v6, v[22:23], off offset:512
	s_or_b32 exec_lo, exec_lo, s11
	s_delay_alu instid0(SALU_CYCLE_1)
	s_mov_b32 s11, exec_lo
	v_cmpx_gt_u32_e64 s28, v31
	s_cbranch_execz .LBB23_21
.LBB23_88:                              ;   in Loop: Header=BB23_14 Depth=1
	global_load_b32 v7, v[22:23], off offset:640
	s_or_b32 exec_lo, exec_lo, s11
	s_delay_alu instid0(SALU_CYCLE_1)
	s_mov_b32 s11, exec_lo
	v_cmpx_gt_u32_e64 s28, v32
	s_cbranch_execz .LBB23_22
.LBB23_89:                              ;   in Loop: Header=BB23_14 Depth=1
	global_load_b32 v8, v[22:23], off offset:768
	s_or_b32 exec_lo, exec_lo, s11
	s_delay_alu instid0(SALU_CYCLE_1)
	s_mov_b32 s11, exec_lo
	v_cmpx_gt_u32_e64 s28, v33
	s_cbranch_execz .LBB23_23
.LBB23_90:                              ;   in Loop: Header=BB23_14 Depth=1
	global_load_b32 v9, v[22:23], off offset:896
	s_or_b32 exec_lo, exec_lo, s11
	s_delay_alu instid0(SALU_CYCLE_1)
	s_mov_b32 s11, exec_lo
	v_cmpx_gt_u32_e64 s28, v34
	s_cbranch_execz .LBB23_24
.LBB23_91:                              ;   in Loop: Header=BB23_14 Depth=1
	global_load_b32 v10, v[22:23], off offset:1024
	s_or_b32 exec_lo, exec_lo, s11
	s_delay_alu instid0(SALU_CYCLE_1)
	s_mov_b32 s11, exec_lo
	v_cmpx_gt_u32_e64 s28, v35
	s_cbranch_execz .LBB23_25
.LBB23_92:                              ;   in Loop: Header=BB23_14 Depth=1
	global_load_b32 v11, v[22:23], off offset:1152
	s_or_b32 exec_lo, exec_lo, s11
	s_delay_alu instid0(SALU_CYCLE_1)
	s_mov_b32 s11, exec_lo
	v_cmpx_gt_u32_e64 s28, v36
	s_cbranch_execz .LBB23_26
.LBB23_93:                              ;   in Loop: Header=BB23_14 Depth=1
	global_load_b32 v12, v[22:23], off offset:1280
	s_or_b32 exec_lo, exec_lo, s11
	s_delay_alu instid0(SALU_CYCLE_1)
	s_mov_b32 s11, exec_lo
	v_cmpx_gt_u32_e64 s28, v37
	s_cbranch_execz .LBB23_27
.LBB23_94:                              ;   in Loop: Header=BB23_14 Depth=1
	global_load_b32 v13, v[22:23], off offset:1408
	s_or_b32 exec_lo, exec_lo, s11
	s_delay_alu instid0(SALU_CYCLE_1)
	s_mov_b32 s11, exec_lo
	v_cmpx_gt_u32_e64 s28, v38
	s_cbranch_execz .LBB23_28
.LBB23_95:                              ;   in Loop: Header=BB23_14 Depth=1
	global_load_b32 v14, v[22:23], off offset:1536
	s_or_b32 exec_lo, exec_lo, s11
	s_delay_alu instid0(SALU_CYCLE_1)
	s_mov_b32 s11, exec_lo
	v_cmpx_gt_u32_e64 s28, v39
	s_cbranch_execz .LBB23_29
.LBB23_96:                              ;   in Loop: Header=BB23_14 Depth=1
	global_load_b32 v15, v[22:23], off offset:1664
	s_or_b32 exec_lo, exec_lo, s11
	s_delay_alu instid0(SALU_CYCLE_1)
	s_mov_b32 s11, exec_lo
	v_cmpx_gt_u32_e64 s28, v40
	s_cbranch_execz .LBB23_30
.LBB23_97:                              ;   in Loop: Header=BB23_14 Depth=1
	global_load_b32 v16, v[22:23], off offset:1792
	s_or_b32 exec_lo, exec_lo, s11
	s_delay_alu instid0(SALU_CYCLE_1)
	s_mov_b32 s11, exec_lo
	v_cmpx_gt_u32_e64 s28, v41
	s_cbranch_execnz .LBB23_31
	s_branch .LBB23_32
.LBB23_98:
	s_nop 0
	s_sendmsg sendmsg(MSG_DEALLOC_VGPRS)
	s_endpgm
	.section	.rodata,"a",@progbits
	.p2align	6, 0x0
	.amdhsa_kernel _ZN2at4cuda3cub17final_scan_kernelILi512ELi16EiEEvPKT1_PS3_S6_li
		.amdhsa_group_segment_fixed_size 33792
		.amdhsa_private_segment_fixed_size 0
		.amdhsa_kernarg_size 296
		.amdhsa_user_sgpr_count 15
		.amdhsa_user_sgpr_dispatch_ptr 0
		.amdhsa_user_sgpr_queue_ptr 0
		.amdhsa_user_sgpr_kernarg_segment_ptr 1
		.amdhsa_user_sgpr_dispatch_id 0
		.amdhsa_user_sgpr_private_segment_size 0
		.amdhsa_wavefront_size32 1
		.amdhsa_uses_dynamic_stack 0
		.amdhsa_enable_private_segment 0
		.amdhsa_system_sgpr_workgroup_id_x 1
		.amdhsa_system_sgpr_workgroup_id_y 0
		.amdhsa_system_sgpr_workgroup_id_z 0
		.amdhsa_system_sgpr_workgroup_info 0
		.amdhsa_system_vgpr_workitem_id 0
		.amdhsa_next_free_vgpr 78
		.amdhsa_next_free_sgpr 32
		.amdhsa_reserve_vcc 1
		.amdhsa_float_round_mode_32 0
		.amdhsa_float_round_mode_16_64 0
		.amdhsa_float_denorm_mode_32 3
		.amdhsa_float_denorm_mode_16_64 3
		.amdhsa_dx10_clamp 1
		.amdhsa_ieee_mode 1
		.amdhsa_fp16_overflow 0
		.amdhsa_workgroup_processor_mode 1
		.amdhsa_memory_ordered 1
		.amdhsa_forward_progress 0
		.amdhsa_shared_vgpr_count 0
		.amdhsa_exception_fp_ieee_invalid_op 0
		.amdhsa_exception_fp_denorm_src 0
		.amdhsa_exception_fp_ieee_div_zero 0
		.amdhsa_exception_fp_ieee_overflow 0
		.amdhsa_exception_fp_ieee_underflow 0
		.amdhsa_exception_fp_ieee_inexact 0
		.amdhsa_exception_int_div_zero 0
	.end_amdhsa_kernel
	.section	.text._ZN2at4cuda3cub17final_scan_kernelILi512ELi16EiEEvPKT1_PS3_S6_li,"axG",@progbits,_ZN2at4cuda3cub17final_scan_kernelILi512ELi16EiEEvPKT1_PS3_S6_li,comdat
.Lfunc_end23:
	.size	_ZN2at4cuda3cub17final_scan_kernelILi512ELi16EiEEvPKT1_PS3_S6_li, .Lfunc_end23-_ZN2at4cuda3cub17final_scan_kernelILi512ELi16EiEEvPKT1_PS3_S6_li
                                        ; -- End function
	.section	.AMDGPU.csdata,"",@progbits
; Kernel info:
; codeLenInByte = 5288
; NumSgprs: 34
; NumVgprs: 78
; ScratchSize: 0
; MemoryBound: 0
; FloatMode: 240
; IeeeMode: 1
; LDSByteSize: 33792 bytes/workgroup (compile time only)
; SGPRBlocks: 4
; VGPRBlocks: 9
; NumSGPRsForWavesPerEU: 34
; NumVGPRsForWavesPerEU: 78
; Occupancy: 16
; WaveLimiterHint : 1
; COMPUTE_PGM_RSRC2:SCRATCH_EN: 0
; COMPUTE_PGM_RSRC2:USER_SGPR: 15
; COMPUTE_PGM_RSRC2:TRAP_HANDLER: 0
; COMPUTE_PGM_RSRC2:TGID_X_EN: 1
; COMPUTE_PGM_RSRC2:TGID_Y_EN: 0
; COMPUTE_PGM_RSRC2:TGID_Z_EN: 0
; COMPUTE_PGM_RSRC2:TIDIG_COMP_CNT: 0
	.section	.text._ZN7rocprim17ROCPRIM_304000_NS6detail31init_lookback_scan_state_kernelINS1_19lookback_scan_stateIiLb1ELb1EEEEEvT_jjPNS5_10value_typeE,"axG",@progbits,_ZN7rocprim17ROCPRIM_304000_NS6detail31init_lookback_scan_state_kernelINS1_19lookback_scan_stateIiLb1ELb1EEEEEvT_jjPNS5_10value_typeE,comdat
	.protected	_ZN7rocprim17ROCPRIM_304000_NS6detail31init_lookback_scan_state_kernelINS1_19lookback_scan_stateIiLb1ELb1EEEEEvT_jjPNS5_10value_typeE ; -- Begin function _ZN7rocprim17ROCPRIM_304000_NS6detail31init_lookback_scan_state_kernelINS1_19lookback_scan_stateIiLb1ELb1EEEEEvT_jjPNS5_10value_typeE
	.globl	_ZN7rocprim17ROCPRIM_304000_NS6detail31init_lookback_scan_state_kernelINS1_19lookback_scan_stateIiLb1ELb1EEEEEvT_jjPNS5_10value_typeE
	.p2align	8
	.type	_ZN7rocprim17ROCPRIM_304000_NS6detail31init_lookback_scan_state_kernelINS1_19lookback_scan_stateIiLb1ELb1EEEEEvT_jjPNS5_10value_typeE,@function
_ZN7rocprim17ROCPRIM_304000_NS6detail31init_lookback_scan_state_kernelINS1_19lookback_scan_stateIiLb1ELb1EEEEEvT_jjPNS5_10value_typeE: ; @_ZN7rocprim17ROCPRIM_304000_NS6detail31init_lookback_scan_state_kernelINS1_19lookback_scan_stateIiLb1ELb1EEEEEvT_jjPNS5_10value_typeE
; %bb.0:
	s_clause 0x2
	s_load_b32 s6, s[0:1], 0x24
	s_load_b64 s[4:5], s[0:1], 0x10
	s_load_b128 s[0:3], s[0:1], 0x0
	s_waitcnt lgkmcnt(0)
	s_and_b32 s6, s6, 0xffff
	s_cmp_eq_u64 s[4:5], 0
	v_mad_u64_u32 v[1:2], null, s15, s6, v[0:1]
	s_cbranch_scc1 .LBB24_9
; %bb.1:
	s_cmp_lt_u32 s3, s2
	s_mov_b32 s7, 0
	s_cselect_b32 s6, s3, 0
	s_mov_b32 s8, exec_lo
	s_delay_alu instid0(VALU_DEP_1)
	v_cmpx_eq_u32_e64 s6, v1
	s_cbranch_execz .LBB24_8
; %bb.2:
	s_add_i32 s6, s3, 32
	v_mov_b32_e32 v2, 0
	s_lshl_b64 s[6:7], s[6:7], 3
	s_delay_alu instid0(SALU_CYCLE_1) | instskip(SKIP_4) | instid1(VALU_DEP_1)
	s_add_u32 s6, s0, s6
	s_addc_u32 s7, s1, s7
	global_load_b64 v[4:5], v2, s[6:7] glc
	s_waitcnt vmcnt(0)
	v_and_b32_e32 v3, 0xff, v5
	v_cmp_ne_u64_e32 vcc_lo, 0, v[2:3]
	s_cbranch_vccnz .LBB24_7
; %bb.3:
	s_mov_b32 s3, 1
.LBB24_4:                               ; =>This Loop Header: Depth=1
                                        ;     Child Loop BB24_5 Depth 2
	s_delay_alu instid0(SALU_CYCLE_1)
	s_max_u32 s9, s3, 1
.LBB24_5:                               ;   Parent Loop BB24_4 Depth=1
                                        ; =>  This Inner Loop Header: Depth=2
	s_delay_alu instid0(SALU_CYCLE_1)
	s_add_i32 s9, s9, -1
	s_sleep 1
	s_cmp_eq_u32 s9, 0
	s_cbranch_scc0 .LBB24_5
; %bb.6:                                ;   in Loop: Header=BB24_4 Depth=1
	global_load_b64 v[4:5], v2, s[6:7] glc
	s_cmp_lt_u32 s3, 32
	s_cselect_b32 s9, -1, 0
	s_delay_alu instid0(SALU_CYCLE_1) | instskip(SKIP_3) | instid1(VALU_DEP_1)
	s_cmp_lg_u32 s9, 0
	s_addc_u32 s3, s3, 0
	s_waitcnt vmcnt(0)
	v_and_b32_e32 v3, 0xff, v5
	v_cmp_ne_u64_e32 vcc_lo, 0, v[2:3]
	s_cbranch_vccz .LBB24_4
.LBB24_7:
	v_mov_b32_e32 v0, 0
	global_store_b32 v0, v4, s[4:5]
.LBB24_8:
	s_or_b32 exec_lo, exec_lo, s8
.LBB24_9:
	s_delay_alu instid0(VALU_DEP_1)
	v_cmp_gt_u32_e32 vcc_lo, s2, v1
	s_and_saveexec_b32 s2, vcc_lo
	s_cbranch_execz .LBB24_11
; %bb.10:
	v_dual_mov_b32 v3, 0 :: v_dual_add_nc_u32 v2, 32, v1
	s_delay_alu instid0(VALU_DEP_1) | instskip(SKIP_1) | instid1(VALU_DEP_2)
	v_lshlrev_b64 v[4:5], 3, v[2:3]
	v_mov_b32_e32 v2, v3
	v_add_co_u32 v4, vcc_lo, s0, v4
	s_delay_alu instid0(VALU_DEP_3)
	v_add_co_ci_u32_e32 v5, vcc_lo, s1, v5, vcc_lo
	global_store_b64 v[4:5], v[2:3], off
.LBB24_11:
	s_or_b32 exec_lo, exec_lo, s2
	s_delay_alu instid0(SALU_CYCLE_1)
	s_mov_b32 s2, exec_lo
	v_cmpx_gt_u32_e32 32, v1
	s_cbranch_execz .LBB24_13
; %bb.12:
	v_dual_mov_b32 v2, 0 :: v_dual_mov_b32 v3, 0xff
	s_delay_alu instid0(VALU_DEP_1) | instskip(NEXT) | instid1(VALU_DEP_1)
	v_lshlrev_b64 v[0:1], 3, v[1:2]
	v_add_co_u32 v0, vcc_lo, s0, v0
	s_delay_alu instid0(VALU_DEP_2)
	v_add_co_ci_u32_e32 v1, vcc_lo, s1, v1, vcc_lo
	global_store_b64 v[0:1], v[2:3], off
.LBB24_13:
	s_nop 0
	s_sendmsg sendmsg(MSG_DEALLOC_VGPRS)
	s_endpgm
	.section	.rodata,"a",@progbits
	.p2align	6, 0x0
	.amdhsa_kernel _ZN7rocprim17ROCPRIM_304000_NS6detail31init_lookback_scan_state_kernelINS1_19lookback_scan_stateIiLb1ELb1EEEEEvT_jjPNS5_10value_typeE
		.amdhsa_group_segment_fixed_size 0
		.amdhsa_private_segment_fixed_size 0
		.amdhsa_kernarg_size 280
		.amdhsa_user_sgpr_count 15
		.amdhsa_user_sgpr_dispatch_ptr 0
		.amdhsa_user_sgpr_queue_ptr 0
		.amdhsa_user_sgpr_kernarg_segment_ptr 1
		.amdhsa_user_sgpr_dispatch_id 0
		.amdhsa_user_sgpr_private_segment_size 0
		.amdhsa_wavefront_size32 1
		.amdhsa_uses_dynamic_stack 0
		.amdhsa_enable_private_segment 0
		.amdhsa_system_sgpr_workgroup_id_x 1
		.amdhsa_system_sgpr_workgroup_id_y 0
		.amdhsa_system_sgpr_workgroup_id_z 0
		.amdhsa_system_sgpr_workgroup_info 0
		.amdhsa_system_vgpr_workitem_id 0
		.amdhsa_next_free_vgpr 6
		.amdhsa_next_free_sgpr 16
		.amdhsa_reserve_vcc 1
		.amdhsa_float_round_mode_32 0
		.amdhsa_float_round_mode_16_64 0
		.amdhsa_float_denorm_mode_32 3
		.amdhsa_float_denorm_mode_16_64 3
		.amdhsa_dx10_clamp 1
		.amdhsa_ieee_mode 1
		.amdhsa_fp16_overflow 0
		.amdhsa_workgroup_processor_mode 1
		.amdhsa_memory_ordered 1
		.amdhsa_forward_progress 0
		.amdhsa_shared_vgpr_count 0
		.amdhsa_exception_fp_ieee_invalid_op 0
		.amdhsa_exception_fp_denorm_src 0
		.amdhsa_exception_fp_ieee_div_zero 0
		.amdhsa_exception_fp_ieee_overflow 0
		.amdhsa_exception_fp_ieee_underflow 0
		.amdhsa_exception_fp_ieee_inexact 0
		.amdhsa_exception_int_div_zero 0
	.end_amdhsa_kernel
	.section	.text._ZN7rocprim17ROCPRIM_304000_NS6detail31init_lookback_scan_state_kernelINS1_19lookback_scan_stateIiLb1ELb1EEEEEvT_jjPNS5_10value_typeE,"axG",@progbits,_ZN7rocprim17ROCPRIM_304000_NS6detail31init_lookback_scan_state_kernelINS1_19lookback_scan_stateIiLb1ELb1EEEEEvT_jjPNS5_10value_typeE,comdat
.Lfunc_end24:
	.size	_ZN7rocprim17ROCPRIM_304000_NS6detail31init_lookback_scan_state_kernelINS1_19lookback_scan_stateIiLb1ELb1EEEEEvT_jjPNS5_10value_typeE, .Lfunc_end24-_ZN7rocprim17ROCPRIM_304000_NS6detail31init_lookback_scan_state_kernelINS1_19lookback_scan_stateIiLb1ELb1EEEEEvT_jjPNS5_10value_typeE
                                        ; -- End function
	.section	.AMDGPU.csdata,"",@progbits
; Kernel info:
; codeLenInByte = 380
; NumSgprs: 18
; NumVgprs: 6
; ScratchSize: 0
; MemoryBound: 0
; FloatMode: 240
; IeeeMode: 1
; LDSByteSize: 0 bytes/workgroup (compile time only)
; SGPRBlocks: 2
; VGPRBlocks: 0
; NumSGPRsForWavesPerEU: 18
; NumVGPRsForWavesPerEU: 6
; Occupancy: 16
; WaveLimiterHint : 0
; COMPUTE_PGM_RSRC2:SCRATCH_EN: 0
; COMPUTE_PGM_RSRC2:USER_SGPR: 15
; COMPUTE_PGM_RSRC2:TRAP_HANDLER: 0
; COMPUTE_PGM_RSRC2:TGID_X_EN: 1
; COMPUTE_PGM_RSRC2:TGID_Y_EN: 0
; COMPUTE_PGM_RSRC2:TGID_Z_EN: 0
; COMPUTE_PGM_RSRC2:TIDIG_COMP_CNT: 0
	.section	.text._ZN7rocprim17ROCPRIM_304000_NS6detail31init_lookback_scan_state_kernelINS1_19lookback_scan_stateIiLb0ELb1EEEEEvT_jjPNS5_10value_typeE,"axG",@progbits,_ZN7rocprim17ROCPRIM_304000_NS6detail31init_lookback_scan_state_kernelINS1_19lookback_scan_stateIiLb0ELb1EEEEEvT_jjPNS5_10value_typeE,comdat
	.protected	_ZN7rocprim17ROCPRIM_304000_NS6detail31init_lookback_scan_state_kernelINS1_19lookback_scan_stateIiLb0ELb1EEEEEvT_jjPNS5_10value_typeE ; -- Begin function _ZN7rocprim17ROCPRIM_304000_NS6detail31init_lookback_scan_state_kernelINS1_19lookback_scan_stateIiLb0ELb1EEEEEvT_jjPNS5_10value_typeE
	.globl	_ZN7rocprim17ROCPRIM_304000_NS6detail31init_lookback_scan_state_kernelINS1_19lookback_scan_stateIiLb0ELb1EEEEEvT_jjPNS5_10value_typeE
	.p2align	8
	.type	_ZN7rocprim17ROCPRIM_304000_NS6detail31init_lookback_scan_state_kernelINS1_19lookback_scan_stateIiLb0ELb1EEEEEvT_jjPNS5_10value_typeE,@function
_ZN7rocprim17ROCPRIM_304000_NS6detail31init_lookback_scan_state_kernelINS1_19lookback_scan_stateIiLb0ELb1EEEEEvT_jjPNS5_10value_typeE: ; @_ZN7rocprim17ROCPRIM_304000_NS6detail31init_lookback_scan_state_kernelINS1_19lookback_scan_stateIiLb0ELb1EEEEEvT_jjPNS5_10value_typeE
; %bb.0:
	s_clause 0x2
	s_load_b32 s6, s[0:1], 0x24
	s_load_b64 s[4:5], s[0:1], 0x10
	s_load_b128 s[0:3], s[0:1], 0x0
	s_waitcnt lgkmcnt(0)
	s_and_b32 s6, s6, 0xffff
	s_cmp_eq_u64 s[4:5], 0
	v_mad_u64_u32 v[1:2], null, s15, s6, v[0:1]
	s_cbranch_scc1 .LBB25_6
; %bb.1:
	s_cmp_lt_u32 s3, s2
	s_mov_b32 s7, 0
	s_cselect_b32 s6, s3, 0
	s_mov_b32 s8, exec_lo
	s_delay_alu instid0(VALU_DEP_1)
	v_cmpx_eq_u32_e64 s6, v1
	s_cbranch_execz .LBB25_5
; %bb.2:
	s_add_i32 s6, s3, 32
	v_mov_b32_e32 v4, 0
	s_lshl_b64 s[6:7], s[6:7], 3
	s_delay_alu instid0(SALU_CYCLE_1) | instskip(SKIP_4) | instid1(VALU_DEP_1)
	s_add_u32 s6, s0, s6
	s_addc_u32 s7, s1, s7
	global_load_b64 v[2:3], v4, s[6:7] glc
	s_waitcnt vmcnt(0)
	v_and_b32_e32 v5, 0xff, v3
	v_cmp_ne_u64_e32 vcc_lo, 0, v[4:5]
	s_cbranch_vccnz .LBB25_4
.LBB25_3:                               ; =>This Inner Loop Header: Depth=1
	global_load_b64 v[2:3], v4, s[6:7] glc
	s_waitcnt vmcnt(0)
	v_and_b32_e32 v5, 0xff, v3
	s_delay_alu instid0(VALU_DEP_1)
	v_cmp_eq_u64_e32 vcc_lo, 0, v[4:5]
	s_cbranch_vccnz .LBB25_3
.LBB25_4:
	v_mov_b32_e32 v0, 0
	global_store_b32 v0, v2, s[4:5]
.LBB25_5:
	s_or_b32 exec_lo, exec_lo, s8
.LBB25_6:
	s_delay_alu instid0(VALU_DEP_1)
	v_cmp_gt_u32_e32 vcc_lo, s2, v1
	s_and_saveexec_b32 s2, vcc_lo
	s_cbranch_execz .LBB25_8
; %bb.7:
	v_dual_mov_b32 v3, 0 :: v_dual_add_nc_u32 v2, 32, v1
	s_delay_alu instid0(VALU_DEP_1) | instskip(SKIP_1) | instid1(VALU_DEP_2)
	v_lshlrev_b64 v[4:5], 3, v[2:3]
	v_mov_b32_e32 v2, v3
	v_add_co_u32 v4, vcc_lo, s0, v4
	s_delay_alu instid0(VALU_DEP_3)
	v_add_co_ci_u32_e32 v5, vcc_lo, s1, v5, vcc_lo
	global_store_b64 v[4:5], v[2:3], off
.LBB25_8:
	s_or_b32 exec_lo, exec_lo, s2
	s_delay_alu instid0(SALU_CYCLE_1)
	s_mov_b32 s2, exec_lo
	v_cmpx_gt_u32_e32 32, v1
	s_cbranch_execz .LBB25_10
; %bb.9:
	v_dual_mov_b32 v2, 0 :: v_dual_mov_b32 v3, 0xff
	s_delay_alu instid0(VALU_DEP_1) | instskip(NEXT) | instid1(VALU_DEP_1)
	v_lshlrev_b64 v[0:1], 3, v[1:2]
	v_add_co_u32 v0, vcc_lo, s0, v0
	s_delay_alu instid0(VALU_DEP_2)
	v_add_co_ci_u32_e32 v1, vcc_lo, s1, v1, vcc_lo
	global_store_b64 v[0:1], v[2:3], off
.LBB25_10:
	s_nop 0
	s_sendmsg sendmsg(MSG_DEALLOC_VGPRS)
	s_endpgm
	.section	.rodata,"a",@progbits
	.p2align	6, 0x0
	.amdhsa_kernel _ZN7rocprim17ROCPRIM_304000_NS6detail31init_lookback_scan_state_kernelINS1_19lookback_scan_stateIiLb0ELb1EEEEEvT_jjPNS5_10value_typeE
		.amdhsa_group_segment_fixed_size 0
		.amdhsa_private_segment_fixed_size 0
		.amdhsa_kernarg_size 280
		.amdhsa_user_sgpr_count 15
		.amdhsa_user_sgpr_dispatch_ptr 0
		.amdhsa_user_sgpr_queue_ptr 0
		.amdhsa_user_sgpr_kernarg_segment_ptr 1
		.amdhsa_user_sgpr_dispatch_id 0
		.amdhsa_user_sgpr_private_segment_size 0
		.amdhsa_wavefront_size32 1
		.amdhsa_uses_dynamic_stack 0
		.amdhsa_enable_private_segment 0
		.amdhsa_system_sgpr_workgroup_id_x 1
		.amdhsa_system_sgpr_workgroup_id_y 0
		.amdhsa_system_sgpr_workgroup_id_z 0
		.amdhsa_system_sgpr_workgroup_info 0
		.amdhsa_system_vgpr_workitem_id 0
		.amdhsa_next_free_vgpr 6
		.amdhsa_next_free_sgpr 16
		.amdhsa_reserve_vcc 1
		.amdhsa_float_round_mode_32 0
		.amdhsa_float_round_mode_16_64 0
		.amdhsa_float_denorm_mode_32 3
		.amdhsa_float_denorm_mode_16_64 3
		.amdhsa_dx10_clamp 1
		.amdhsa_ieee_mode 1
		.amdhsa_fp16_overflow 0
		.amdhsa_workgroup_processor_mode 1
		.amdhsa_memory_ordered 1
		.amdhsa_forward_progress 0
		.amdhsa_shared_vgpr_count 0
		.amdhsa_exception_fp_ieee_invalid_op 0
		.amdhsa_exception_fp_denorm_src 0
		.amdhsa_exception_fp_ieee_div_zero 0
		.amdhsa_exception_fp_ieee_overflow 0
		.amdhsa_exception_fp_ieee_underflow 0
		.amdhsa_exception_fp_ieee_inexact 0
		.amdhsa_exception_int_div_zero 0
	.end_amdhsa_kernel
	.section	.text._ZN7rocprim17ROCPRIM_304000_NS6detail31init_lookback_scan_state_kernelINS1_19lookback_scan_stateIiLb0ELb1EEEEEvT_jjPNS5_10value_typeE,"axG",@progbits,_ZN7rocprim17ROCPRIM_304000_NS6detail31init_lookback_scan_state_kernelINS1_19lookback_scan_stateIiLb0ELb1EEEEEvT_jjPNS5_10value_typeE,comdat
.Lfunc_end25:
	.size	_ZN7rocprim17ROCPRIM_304000_NS6detail31init_lookback_scan_state_kernelINS1_19lookback_scan_stateIiLb0ELb1EEEEEvT_jjPNS5_10value_typeE, .Lfunc_end25-_ZN7rocprim17ROCPRIM_304000_NS6detail31init_lookback_scan_state_kernelINS1_19lookback_scan_stateIiLb0ELb1EEEEEvT_jjPNS5_10value_typeE
                                        ; -- End function
	.section	.AMDGPU.csdata,"",@progbits
; Kernel info:
; codeLenInByte = 332
; NumSgprs: 18
; NumVgprs: 6
; ScratchSize: 0
; MemoryBound: 0
; FloatMode: 240
; IeeeMode: 1
; LDSByteSize: 0 bytes/workgroup (compile time only)
; SGPRBlocks: 2
; VGPRBlocks: 0
; NumSGPRsForWavesPerEU: 18
; NumVGPRsForWavesPerEU: 6
; Occupancy: 16
; WaveLimiterHint : 0
; COMPUTE_PGM_RSRC2:SCRATCH_EN: 0
; COMPUTE_PGM_RSRC2:USER_SGPR: 15
; COMPUTE_PGM_RSRC2:TRAP_HANDLER: 0
; COMPUTE_PGM_RSRC2:TGID_X_EN: 1
; COMPUTE_PGM_RSRC2:TGID_Y_EN: 0
; COMPUTE_PGM_RSRC2:TGID_Z_EN: 0
; COMPUTE_PGM_RSRC2:TIDIG_COMP_CNT: 0
	.section	.text._ZN7rocprim17ROCPRIM_304000_NS6detail20lookback_scan_kernelILNS1_25lookback_scan_determinismE0ELb0ENS1_19wrapped_scan_configINS0_14default_configEiEEPKiPiSt4plusIiEiiNS1_19lookback_scan_stateIiLb1ELb1EEEEEvT2_T3_mT5_T4_T7_jPT6_SK_bb,"axG",@progbits,_ZN7rocprim17ROCPRIM_304000_NS6detail20lookback_scan_kernelILNS1_25lookback_scan_determinismE0ELb0ENS1_19wrapped_scan_configINS0_14default_configEiEEPKiPiSt4plusIiEiiNS1_19lookback_scan_stateIiLb1ELb1EEEEEvT2_T3_mT5_T4_T7_jPT6_SK_bb,comdat
	.protected	_ZN7rocprim17ROCPRIM_304000_NS6detail20lookback_scan_kernelILNS1_25lookback_scan_determinismE0ELb0ENS1_19wrapped_scan_configINS0_14default_configEiEEPKiPiSt4plusIiEiiNS1_19lookback_scan_stateIiLb1ELb1EEEEEvT2_T3_mT5_T4_T7_jPT6_SK_bb ; -- Begin function _ZN7rocprim17ROCPRIM_304000_NS6detail20lookback_scan_kernelILNS1_25lookback_scan_determinismE0ELb0ENS1_19wrapped_scan_configINS0_14default_configEiEEPKiPiSt4plusIiEiiNS1_19lookback_scan_stateIiLb1ELb1EEEEEvT2_T3_mT5_T4_T7_jPT6_SK_bb
	.globl	_ZN7rocprim17ROCPRIM_304000_NS6detail20lookback_scan_kernelILNS1_25lookback_scan_determinismE0ELb0ENS1_19wrapped_scan_configINS0_14default_configEiEEPKiPiSt4plusIiEiiNS1_19lookback_scan_stateIiLb1ELb1EEEEEvT2_T3_mT5_T4_T7_jPT6_SK_bb
	.p2align	8
	.type	_ZN7rocprim17ROCPRIM_304000_NS6detail20lookback_scan_kernelILNS1_25lookback_scan_determinismE0ELb0ENS1_19wrapped_scan_configINS0_14default_configEiEEPKiPiSt4plusIiEiiNS1_19lookback_scan_stateIiLb1ELb1EEEEEvT2_T3_mT5_T4_T7_jPT6_SK_bb,@function
_ZN7rocprim17ROCPRIM_304000_NS6detail20lookback_scan_kernelILNS1_25lookback_scan_determinismE0ELb0ENS1_19wrapped_scan_configINS0_14default_configEiEEPKiPiSt4plusIiEiiNS1_19lookback_scan_stateIiLb1ELb1EEEEEvT2_T3_mT5_T4_T7_jPT6_SK_bb: ; @_ZN7rocprim17ROCPRIM_304000_NS6detail20lookback_scan_kernelILNS1_25lookback_scan_determinismE0ELb0ENS1_19wrapped_scan_configINS0_14default_configEiEEPKiPiSt4plusIiEiiNS1_19lookback_scan_stateIiLb1ELb1EEEEEvT2_T3_mT5_T4_T7_jPT6_SK_bb
; %bb.0:
	s_endpgm
	.section	.rodata,"a",@progbits
	.p2align	6, 0x0
	.amdhsa_kernel _ZN7rocprim17ROCPRIM_304000_NS6detail20lookback_scan_kernelILNS1_25lookback_scan_determinismE0ELb0ENS1_19wrapped_scan_configINS0_14default_configEiEEPKiPiSt4plusIiEiiNS1_19lookback_scan_stateIiLb1ELb1EEEEEvT2_T3_mT5_T4_T7_jPT6_SK_bb
		.amdhsa_group_segment_fixed_size 0
		.amdhsa_private_segment_fixed_size 0
		.amdhsa_kernarg_size 68
		.amdhsa_user_sgpr_count 15
		.amdhsa_user_sgpr_dispatch_ptr 0
		.amdhsa_user_sgpr_queue_ptr 0
		.amdhsa_user_sgpr_kernarg_segment_ptr 1
		.amdhsa_user_sgpr_dispatch_id 0
		.amdhsa_user_sgpr_private_segment_size 0
		.amdhsa_wavefront_size32 1
		.amdhsa_uses_dynamic_stack 0
		.amdhsa_enable_private_segment 0
		.amdhsa_system_sgpr_workgroup_id_x 1
		.amdhsa_system_sgpr_workgroup_id_y 0
		.amdhsa_system_sgpr_workgroup_id_z 0
		.amdhsa_system_sgpr_workgroup_info 0
		.amdhsa_system_vgpr_workitem_id 0
		.amdhsa_next_free_vgpr 1
		.amdhsa_next_free_sgpr 1
		.amdhsa_reserve_vcc 0
		.amdhsa_float_round_mode_32 0
		.amdhsa_float_round_mode_16_64 0
		.amdhsa_float_denorm_mode_32 3
		.amdhsa_float_denorm_mode_16_64 3
		.amdhsa_dx10_clamp 1
		.amdhsa_ieee_mode 1
		.amdhsa_fp16_overflow 0
		.amdhsa_workgroup_processor_mode 1
		.amdhsa_memory_ordered 1
		.amdhsa_forward_progress 0
		.amdhsa_shared_vgpr_count 0
		.amdhsa_exception_fp_ieee_invalid_op 0
		.amdhsa_exception_fp_denorm_src 0
		.amdhsa_exception_fp_ieee_div_zero 0
		.amdhsa_exception_fp_ieee_overflow 0
		.amdhsa_exception_fp_ieee_underflow 0
		.amdhsa_exception_fp_ieee_inexact 0
		.amdhsa_exception_int_div_zero 0
	.end_amdhsa_kernel
	.section	.text._ZN7rocprim17ROCPRIM_304000_NS6detail20lookback_scan_kernelILNS1_25lookback_scan_determinismE0ELb0ENS1_19wrapped_scan_configINS0_14default_configEiEEPKiPiSt4plusIiEiiNS1_19lookback_scan_stateIiLb1ELb1EEEEEvT2_T3_mT5_T4_T7_jPT6_SK_bb,"axG",@progbits,_ZN7rocprim17ROCPRIM_304000_NS6detail20lookback_scan_kernelILNS1_25lookback_scan_determinismE0ELb0ENS1_19wrapped_scan_configINS0_14default_configEiEEPKiPiSt4plusIiEiiNS1_19lookback_scan_stateIiLb1ELb1EEEEEvT2_T3_mT5_T4_T7_jPT6_SK_bb,comdat
.Lfunc_end26:
	.size	_ZN7rocprim17ROCPRIM_304000_NS6detail20lookback_scan_kernelILNS1_25lookback_scan_determinismE0ELb0ENS1_19wrapped_scan_configINS0_14default_configEiEEPKiPiSt4plusIiEiiNS1_19lookback_scan_stateIiLb1ELb1EEEEEvT2_T3_mT5_T4_T7_jPT6_SK_bb, .Lfunc_end26-_ZN7rocprim17ROCPRIM_304000_NS6detail20lookback_scan_kernelILNS1_25lookback_scan_determinismE0ELb0ENS1_19wrapped_scan_configINS0_14default_configEiEEPKiPiSt4plusIiEiiNS1_19lookback_scan_stateIiLb1ELb1EEEEEvT2_T3_mT5_T4_T7_jPT6_SK_bb
                                        ; -- End function
	.section	.AMDGPU.csdata,"",@progbits
; Kernel info:
; codeLenInByte = 4
; NumSgprs: 0
; NumVgprs: 0
; ScratchSize: 0
; MemoryBound: 0
; FloatMode: 240
; IeeeMode: 1
; LDSByteSize: 0 bytes/workgroup (compile time only)
; SGPRBlocks: 0
; VGPRBlocks: 0
; NumSGPRsForWavesPerEU: 1
; NumVGPRsForWavesPerEU: 1
; Occupancy: 16
; WaveLimiterHint : 0
; COMPUTE_PGM_RSRC2:SCRATCH_EN: 0
; COMPUTE_PGM_RSRC2:USER_SGPR: 15
; COMPUTE_PGM_RSRC2:TRAP_HANDLER: 0
; COMPUTE_PGM_RSRC2:TGID_X_EN: 1
; COMPUTE_PGM_RSRC2:TGID_Y_EN: 0
; COMPUTE_PGM_RSRC2:TGID_Z_EN: 0
; COMPUTE_PGM_RSRC2:TIDIG_COMP_CNT: 0
	.section	.text._ZN7rocprim17ROCPRIM_304000_NS6detail20lookback_scan_kernelILNS1_25lookback_scan_determinismE0ELb0ENS1_19wrapped_scan_configINS0_14default_configEiEEPKiPiSt4plusIiEiiNS1_19lookback_scan_stateIiLb0ELb1EEEEEvT2_T3_mT5_T4_T7_jPT6_SK_bb,"axG",@progbits,_ZN7rocprim17ROCPRIM_304000_NS6detail20lookback_scan_kernelILNS1_25lookback_scan_determinismE0ELb0ENS1_19wrapped_scan_configINS0_14default_configEiEEPKiPiSt4plusIiEiiNS1_19lookback_scan_stateIiLb0ELb1EEEEEvT2_T3_mT5_T4_T7_jPT6_SK_bb,comdat
	.protected	_ZN7rocprim17ROCPRIM_304000_NS6detail20lookback_scan_kernelILNS1_25lookback_scan_determinismE0ELb0ENS1_19wrapped_scan_configINS0_14default_configEiEEPKiPiSt4plusIiEiiNS1_19lookback_scan_stateIiLb0ELb1EEEEEvT2_T3_mT5_T4_T7_jPT6_SK_bb ; -- Begin function _ZN7rocprim17ROCPRIM_304000_NS6detail20lookback_scan_kernelILNS1_25lookback_scan_determinismE0ELb0ENS1_19wrapped_scan_configINS0_14default_configEiEEPKiPiSt4plusIiEiiNS1_19lookback_scan_stateIiLb0ELb1EEEEEvT2_T3_mT5_T4_T7_jPT6_SK_bb
	.globl	_ZN7rocprim17ROCPRIM_304000_NS6detail20lookback_scan_kernelILNS1_25lookback_scan_determinismE0ELb0ENS1_19wrapped_scan_configINS0_14default_configEiEEPKiPiSt4plusIiEiiNS1_19lookback_scan_stateIiLb0ELb1EEEEEvT2_T3_mT5_T4_T7_jPT6_SK_bb
	.p2align	8
	.type	_ZN7rocprim17ROCPRIM_304000_NS6detail20lookback_scan_kernelILNS1_25lookback_scan_determinismE0ELb0ENS1_19wrapped_scan_configINS0_14default_configEiEEPKiPiSt4plusIiEiiNS1_19lookback_scan_stateIiLb0ELb1EEEEEvT2_T3_mT5_T4_T7_jPT6_SK_bb,@function
_ZN7rocprim17ROCPRIM_304000_NS6detail20lookback_scan_kernelILNS1_25lookback_scan_determinismE0ELb0ENS1_19wrapped_scan_configINS0_14default_configEiEEPKiPiSt4plusIiEiiNS1_19lookback_scan_stateIiLb0ELb1EEEEEvT2_T3_mT5_T4_T7_jPT6_SK_bb: ; @_ZN7rocprim17ROCPRIM_304000_NS6detail20lookback_scan_kernelILNS1_25lookback_scan_determinismE0ELb0ENS1_19wrapped_scan_configINS0_14default_configEiEEPKiPiSt4plusIiEiiNS1_19lookback_scan_stateIiLb0ELb1EEEEEvT2_T3_mT5_T4_T7_jPT6_SK_bb
; %bb.0:
	s_clause 0x2
	s_load_b32 s10, s[0:1], 0x28
	s_load_b64 s[2:3], s[0:1], 0x10
	s_load_b128 s[4:7], s[0:1], 0x0
	s_lshl_b32 s8, s15, 10
	s_mov_b32 s9, 0
	v_lshlrev_b32_e32 v48, 2, v0
	v_lshrrev_b32_e32 v19, 3, v0
	v_or_b32_e32 v47, 64, v0
	v_or_b32_e32 v46, 0x80, v0
	;; [unrolled: 1-line block ×13, first 2 shown]
	s_waitcnt lgkmcnt(0)
	s_add_i32 s10, s10, -1
	v_or_b32_e32 v34, 0x380, v0
	s_lshl_b32 s11, s10, 10
	v_or_b32_e32 v33, 0x3c0, v0
	s_sub_u32 s14, s2, s11
	s_subb_u32 s33, s3, 0
	s_cmp_lg_u32 s15, s10
	s_mov_b32 s3, -1
	s_cselect_b32 s34, -1, 0
	s_lshl_b64 s[12:13], s[8:9], 2
	s_delay_alu instid0(SALU_CYCLE_1)
	s_add_u32 s4, s4, s12
	s_addc_u32 s5, s5, s13
	s_and_b32 vcc_lo, exec_lo, s34
	s_cbranch_vccz .LBB27_2
; %bb.1:
	s_clause 0xf
	global_load_b32 v1, v48, s[4:5]
	global_load_b32 v2, v48, s[4:5] offset:256
	global_load_b32 v3, v48, s[4:5] offset:512
	;; [unrolled: 1-line block ×15, first 2 shown]
	v_lshrrev_b32_e32 v18, 3, v47
	v_lshrrev_b32_e32 v20, 3, v46
	;; [unrolled: 1-line block ×4, first 2 shown]
	v_and_b32_e32 v17, 4, v19
	v_lshrrev_b32_e32 v23, 3, v43
	v_lshrrev_b32_e32 v24, 3, v42
	;; [unrolled: 1-line block ×11, first 2 shown]
	v_and_b32_e32 v18, 12, v18
	v_and_b32_e32 v20, 20, v20
	;; [unrolled: 1-line block ×4, first 2 shown]
	v_add_nc_u32_e32 v17, v17, v48
	v_and_b32_e32 v23, 44, v23
	v_and_b32_e32 v24, 52, v24
	;; [unrolled: 1-line block ×11, first 2 shown]
	v_add_nc_u32_e32 v18, v18, v48
	v_add_nc_u32_e32 v20, v20, v48
	;; [unrolled: 1-line block ×4, first 2 shown]
	s_mov_b32 s3, 0
	v_add_nc_u32_e32 v23, v23, v48
	v_add_nc_u32_e32 v24, v24, v48
	;; [unrolled: 1-line block ×11, first 2 shown]
	s_waitcnt vmcnt(15)
	ds_store_b32 v17, v1
	s_waitcnt vmcnt(14)
	ds_store_b32 v18, v2 offset:256
	s_waitcnt vmcnt(13)
	ds_store_b32 v20, v3 offset:512
	;; [unrolled: 2-line block ×15, first 2 shown]
	s_waitcnt lgkmcnt(0)
	s_barrier
.LBB27_2:
	v_cmp_gt_u32_e64 s2, s14, v0
	s_and_not1_b32 vcc_lo, exec_lo, s3
	s_cbranch_vccnz .LBB27_21
; %bb.3:
	s_load_b32 s16, s[4:5], 0x0
	v_add_co_u32 v17, s3, s4, v48
	s_delay_alu instid0(VALU_DEP_1)
	v_add_co_ci_u32_e64 v18, null, s5, 0, s3
	s_waitcnt lgkmcnt(0)
	s_mov_b32 s17, s16
	s_mov_b32 s18, s16
	;; [unrolled: 1-line block ×15, first 2 shown]
	v_dual_mov_b32 v1, s16 :: v_dual_mov_b32 v2, s17
	v_dual_mov_b32 v3, s18 :: v_dual_mov_b32 v4, s19
	;; [unrolled: 1-line block ×8, first 2 shown]
	v_mov_b32_e32 v20, s16
	s_and_saveexec_b32 s3, s2
	s_cbranch_execnz .LBB27_132
; %bb.4:
	s_or_b32 exec_lo, exec_lo, s3
	s_delay_alu instid0(SALU_CYCLE_1)
	s_mov_b32 s2, exec_lo
	v_cmpx_gt_u32_e64 s14, v47
	s_cbranch_execnz .LBB27_133
.LBB27_5:
	s_or_b32 exec_lo, exec_lo, s2
	s_delay_alu instid0(SALU_CYCLE_1)
	s_mov_b32 s2, exec_lo
	v_cmpx_gt_u32_e64 s14, v46
	s_cbranch_execnz .LBB27_134
.LBB27_6:
	s_or_b32 exec_lo, exec_lo, s2
	s_delay_alu instid0(SALU_CYCLE_1)
	s_mov_b32 s2, exec_lo
	v_cmpx_gt_u32_e64 s14, v45
	s_cbranch_execnz .LBB27_135
.LBB27_7:
	s_or_b32 exec_lo, exec_lo, s2
	s_delay_alu instid0(SALU_CYCLE_1)
	s_mov_b32 s2, exec_lo
	v_cmpx_gt_u32_e64 s14, v44
	s_cbranch_execnz .LBB27_136
.LBB27_8:
	s_or_b32 exec_lo, exec_lo, s2
	s_delay_alu instid0(SALU_CYCLE_1)
	s_mov_b32 s2, exec_lo
	v_cmpx_gt_u32_e64 s14, v43
	s_cbranch_execnz .LBB27_137
.LBB27_9:
	s_or_b32 exec_lo, exec_lo, s2
	s_delay_alu instid0(SALU_CYCLE_1)
	s_mov_b32 s2, exec_lo
	v_cmpx_gt_u32_e64 s14, v42
	s_cbranch_execnz .LBB27_138
.LBB27_10:
	s_or_b32 exec_lo, exec_lo, s2
	s_delay_alu instid0(SALU_CYCLE_1)
	s_mov_b32 s2, exec_lo
	v_cmpx_gt_u32_e64 s14, v41
	s_cbranch_execnz .LBB27_139
.LBB27_11:
	s_or_b32 exec_lo, exec_lo, s2
	s_delay_alu instid0(SALU_CYCLE_1)
	s_mov_b32 s2, exec_lo
	v_cmpx_gt_u32_e64 s14, v40
	s_cbranch_execnz .LBB27_140
.LBB27_12:
	s_or_b32 exec_lo, exec_lo, s2
	s_delay_alu instid0(SALU_CYCLE_1)
	s_mov_b32 s2, exec_lo
	v_cmpx_gt_u32_e64 s14, v39
	s_cbranch_execnz .LBB27_141
.LBB27_13:
	s_or_b32 exec_lo, exec_lo, s2
	s_delay_alu instid0(SALU_CYCLE_1)
	s_mov_b32 s2, exec_lo
	v_cmpx_gt_u32_e64 s14, v38
	s_cbranch_execnz .LBB27_142
.LBB27_14:
	s_or_b32 exec_lo, exec_lo, s2
	s_delay_alu instid0(SALU_CYCLE_1)
	s_mov_b32 s2, exec_lo
	v_cmpx_gt_u32_e64 s14, v37
	s_cbranch_execnz .LBB27_143
.LBB27_15:
	s_or_b32 exec_lo, exec_lo, s2
	s_delay_alu instid0(SALU_CYCLE_1)
	s_mov_b32 s2, exec_lo
	v_cmpx_gt_u32_e64 s14, v36
	s_cbranch_execnz .LBB27_144
.LBB27_16:
	s_or_b32 exec_lo, exec_lo, s2
	s_delay_alu instid0(SALU_CYCLE_1)
	s_mov_b32 s2, exec_lo
	v_cmpx_gt_u32_e64 s14, v35
	s_cbranch_execnz .LBB27_145
.LBB27_17:
	s_or_b32 exec_lo, exec_lo, s2
	s_delay_alu instid0(SALU_CYCLE_1)
	s_mov_b32 s2, exec_lo
	v_cmpx_gt_u32_e64 s14, v34
	s_cbranch_execnz .LBB27_146
.LBB27_18:
	s_or_b32 exec_lo, exec_lo, s2
	s_delay_alu instid0(SALU_CYCLE_1)
	s_mov_b32 s2, exec_lo
	v_cmpx_gt_u32_e64 s14, v33
	s_cbranch_execz .LBB27_20
.LBB27_19:
	global_load_b32 v16, v[17:18], off offset:3840
.LBB27_20:
	s_or_b32 exec_lo, exec_lo, s2
	v_lshrrev_b32_e32 v1, 3, v47
	v_lshrrev_b32_e32 v17, 3, v46
	v_and_b32_e32 v18, 4, v19
	v_lshrrev_b32_e32 v19, 3, v45
	v_lshrrev_b32_e32 v21, 3, v44
	;; [unrolled: 1-line block ×5, first 2 shown]
	v_and_b32_e32 v1, 12, v1
	v_and_b32_e32 v17, 28, v17
	;; [unrolled: 1-line block ×4, first 2 shown]
	v_add_nc_u32_e32 v18, v18, v48
	v_and_b32_e32 v22, 60, v22
	v_and_b32_e32 v23, 60, v23
	;; [unrolled: 1-line block ×3, first 2 shown]
	v_add_nc_u32_e32 v1, v1, v48
	v_add_nc_u32_e32 v17, v17, v48
	v_lshrrev_b32_e32 v25, 3, v40
	v_add_nc_u32_e32 v19, v19, v48
	v_lshrrev_b32_e32 v26, 3, v39
	;; [unrolled: 2-line block ×3, first 2 shown]
	v_add_nc_u32_e32 v22, v22, v48
	v_add_nc_u32_e32 v23, v23, v48
	;; [unrolled: 1-line block ×3, first 2 shown]
	s_waitcnt vmcnt(0)
	ds_store_b32 v18, v20
	ds_store_b32 v1, v2 offset:256
	ds_store_b32 v17, v3 offset:512
	;; [unrolled: 1-line block ×7, first 2 shown]
	v_lshrrev_b32_e32 v4, 3, v37
	v_lshrrev_b32_e32 v5, 3, v36
	v_and_b32_e32 v25, 0x7c, v25
	v_lshrrev_b32_e32 v6, 3, v35
	v_lshrrev_b32_e32 v7, 3, v34
	;; [unrolled: 1-line block ×3, first 2 shown]
	v_and_b32_e32 v26, 0x7c, v26
	v_and_b32_e32 v27, 0x7c, v27
	v_and_b32_e32 v4, 0x7c, v4
	v_and_b32_e32 v5, 0x7c, v5
	v_add_nc_u32_e32 v1, v25, v48
	v_and_b32_e32 v6, 0x7c, v6
	v_and_b32_e32 v7, 0x7c, v7
	;; [unrolled: 1-line block ×3, first 2 shown]
	v_add_nc_u32_e32 v2, v26, v48
	v_add_nc_u32_e32 v3, v27, v48
	;; [unrolled: 1-line block ×7, first 2 shown]
	ds_store_b32 v1, v9 offset:2048
	ds_store_b32 v2, v10 offset:2304
	;; [unrolled: 1-line block ×8, first 2 shown]
	s_waitcnt lgkmcnt(0)
	s_barrier
.LBB27_21:
	v_lshlrev_b32_e32 v1, 4, v0
	v_lshrrev_b32_e32 v50, 1, v0
	buffer_gl0_inv
	s_load_b64 s[4:5], s[0:1], 0x20
	v_lshrrev_b32_e32 v49, 5, v0
	v_cmp_gt_u32_e32 vcc_lo, 32, v0
	v_add_lshl_u32 v1, v50, v1, 2
	s_cmp_lg_u32 s15, 0
	ds_load_2addr_b32 v[29:30], v1 offset1:1
	ds_load_2addr_b32 v[31:32], v1 offset0:2 offset1:3
	ds_load_2addr_b32 v[27:28], v1 offset0:4 offset1:5
	;; [unrolled: 1-line block ×7, first 2 shown]
	s_waitcnt lgkmcnt(0)
	s_barrier
	buffer_gl0_inv
	s_cbranch_scc0 .LBB27_46
; %bb.22:
	v_add_nc_u32_e32 v1, v30, v29
	v_add_lshl_u32 v2, v49, v0, 2
	s_delay_alu instid0(VALU_DEP_2) | instskip(NEXT) | instid1(VALU_DEP_1)
	v_add3_u32 v1, v1, v31, v32
	v_add3_u32 v1, v1, v27, v28
	s_delay_alu instid0(VALU_DEP_1) | instskip(NEXT) | instid1(VALU_DEP_1)
	v_add3_u32 v1, v1, v25, v26
	v_add3_u32 v1, v1, v23, v24
	s_delay_alu instid0(VALU_DEP_1) | instskip(NEXT) | instid1(VALU_DEP_1)
	v_add3_u32 v1, v1, v21, v22
	v_add3_u32 v1, v1, v19, v20
	s_delay_alu instid0(VALU_DEP_1)
	v_add3_u32 v1, v1, v17, v18
	ds_store_b32 v2, v1
	s_waitcnt lgkmcnt(0)
	s_barrier
	buffer_gl0_inv
	s_and_saveexec_b32 s3, vcc_lo
	s_cbranch_execz .LBB27_24
; %bb.23:
	v_lshrrev_b32_e32 v2, 2, v0
	v_mbcnt_lo_u32_b32 v5, -1, 0
	s_delay_alu instid0(VALU_DEP_2) | instskip(NEXT) | instid1(VALU_DEP_2)
	v_and_b32_e32 v2, 12, v2
	v_and_b32_e32 v7, 15, v5
	v_add_nc_u32_e32 v9, -1, v5
	s_delay_alu instid0(VALU_DEP_3) | instskip(NEXT) | instid1(VALU_DEP_3)
	v_lshl_or_b32 v4, v0, 3, v2
	v_cmp_ne_u32_e64 s2, 0, v7
	ds_load_2addr_b32 v[2:3], v4 offset1:1
	s_waitcnt lgkmcnt(0)
	v_add_nc_u32_e32 v6, v3, v2
	s_delay_alu instid0(VALU_DEP_1) | instskip(NEXT) | instid1(VALU_DEP_1)
	v_mov_b32_dpp v8, v6 row_shr:1 row_mask:0xf bank_mask:0xf
	v_cndmask_b32_e64 v8, 0, v8, s2
	v_cmp_lt_u32_e64 s2, 1, v7
	s_delay_alu instid0(VALU_DEP_2) | instskip(NEXT) | instid1(VALU_DEP_1)
	v_add_nc_u32_e32 v6, v8, v6
	v_mov_b32_dpp v8, v6 row_shr:2 row_mask:0xf bank_mask:0xf
	s_delay_alu instid0(VALU_DEP_1) | instskip(SKIP_1) | instid1(VALU_DEP_2)
	v_cndmask_b32_e64 v8, 0, v8, s2
	v_cmp_lt_u32_e64 s2, 3, v7
	v_add_nc_u32_e32 v6, v6, v8
	s_delay_alu instid0(VALU_DEP_1) | instskip(NEXT) | instid1(VALU_DEP_1)
	v_mov_b32_dpp v8, v6 row_shr:4 row_mask:0xf bank_mask:0xf
	v_cndmask_b32_e64 v8, 0, v8, s2
	v_cmp_lt_u32_e64 s2, 7, v7
	s_delay_alu instid0(VALU_DEP_2) | instskip(NEXT) | instid1(VALU_DEP_1)
	v_add_nc_u32_e32 v6, v6, v8
	v_mov_b32_dpp v8, v6 row_shr:8 row_mask:0xf bank_mask:0xf
	s_delay_alu instid0(VALU_DEP_1) | instskip(SKIP_2) | instid1(VALU_DEP_3)
	v_cndmask_b32_e64 v7, 0, v8, s2
	v_bfe_i32 v8, v5, 4, 1
	v_cmp_gt_i32_e64 s2, 0, v9
	v_add_nc_u32_e32 v6, v6, v7
	s_delay_alu instid0(VALU_DEP_2)
	v_cndmask_b32_e64 v5, v9, v5, s2
	v_cmp_eq_u32_e64 s2, 0, v0
	ds_swizzle_b32 v7, v6 offset:swizzle(BROADCAST,32,15)
	v_lshlrev_b32_e32 v5, 2, v5
	s_waitcnt lgkmcnt(0)
	v_and_b32_e32 v7, v8, v7
	s_delay_alu instid0(VALU_DEP_1) | instskip(SKIP_3) | instid1(VALU_DEP_1)
	v_add_nc_u32_e32 v6, v6, v7
	ds_bpermute_b32 v5, v5, v6
	s_waitcnt lgkmcnt(0)
	v_add_nc_u32_e32 v2, v5, v2
	v_cndmask_b32_e64 v1, v2, v1, s2
	s_delay_alu instid0(VALU_DEP_1)
	v_add_nc_u32_e32 v2, v1, v3
	ds_store_2addr_b32 v4, v1, v2 offset1:1
.LBB27_24:
	s_or_b32 exec_lo, exec_lo, s3
	v_cmp_eq_u32_e64 s2, 0, v0
	v_mov_b32_e32 v8, 0
	s_mov_b32 s8, exec_lo
	s_waitcnt lgkmcnt(0)
	s_barrier
	buffer_gl0_inv
	v_cmpx_ne_u32_e32 0, v0
	s_cbranch_execz .LBB27_26
; %bb.25:
	v_add_nc_u32_e32 v1, -1, v0
	s_delay_alu instid0(VALU_DEP_1) | instskip(NEXT) | instid1(VALU_DEP_1)
	v_lshrrev_b32_e32 v2, 5, v1
	v_add_lshl_u32 v1, v2, v1, 2
	ds_load_b32 v8, v1
.LBB27_26:
	s_or_b32 exec_lo, exec_lo, s8
	s_and_saveexec_b32 s10, vcc_lo
	s_cbranch_execz .LBB27_45
; %bb.27:
	v_mov_b32_e32 v4, 0
	v_mbcnt_lo_u32_b32 v16, -1, 0
	ds_load_b32 v1, v4 offset:256
	v_cmp_eq_u32_e64 s3, 0, v16
	s_delay_alu instid0(VALU_DEP_1)
	s_and_saveexec_b32 s11, s3
	s_cbranch_execz .LBB27_29
; %bb.28:
	s_add_i32 s8, s15, 32
	v_mov_b32_e32 v2, 1
	s_lshl_b64 s[8:9], s[8:9], 3
	s_delay_alu instid0(SALU_CYCLE_1)
	s_add_u32 s8, s4, s8
	s_addc_u32 s9, s5, s9
	s_waitcnt lgkmcnt(0)
	global_store_b64 v4, v[1:2], s[8:9]
.LBB27_29:
	s_or_b32 exec_lo, exec_lo, s11
	v_xad_u32 v2, v16, -1, s15
	s_mov_b32 s8, exec_lo
	s_delay_alu instid0(VALU_DEP_1) | instskip(NEXT) | instid1(VALU_DEP_1)
	v_add_nc_u32_e32 v3, 32, v2
	v_lshlrev_b64 v[3:4], 3, v[3:4]
	s_delay_alu instid0(VALU_DEP_1) | instskip(NEXT) | instid1(VALU_DEP_2)
	v_add_co_u32 v6, vcc_lo, s4, v3
	v_add_co_ci_u32_e32 v7, vcc_lo, s5, v4, vcc_lo
	global_load_b64 v[4:5], v[6:7], off glc
	s_waitcnt vmcnt(0)
	v_and_b32_e32 v3, 0xff, v5
	s_delay_alu instid0(VALU_DEP_1)
	v_cmpx_eq_u16_e32 0, v3
	s_cbranch_execz .LBB27_33
; %bb.30:
	s_mov_b32 s9, 0
.LBB27_31:                              ; =>This Inner Loop Header: Depth=1
	global_load_b64 v[4:5], v[6:7], off glc
	s_waitcnt vmcnt(0)
	v_and_b32_e32 v3, 0xff, v5
	s_delay_alu instid0(VALU_DEP_1) | instskip(SKIP_1) | instid1(SALU_CYCLE_1)
	v_cmp_ne_u16_e32 vcc_lo, 0, v3
	s_or_b32 s9, vcc_lo, s9
	s_and_not1_b32 exec_lo, exec_lo, s9
	s_cbranch_execnz .LBB27_31
; %bb.32:
	s_or_b32 exec_lo, exec_lo, s9
.LBB27_33:
	s_delay_alu instid0(SALU_CYCLE_1)
	s_or_b32 exec_lo, exec_lo, s8
	v_cmp_ne_u32_e32 vcc_lo, 31, v16
	v_lshlrev_b32_e64 v10, v16, -1
	v_add_nc_u32_e32 v11, 1, v16
	v_add_nc_u32_e32 v13, 2, v16
	;; [unrolled: 1-line block ×3, first 2 shown]
	v_add_co_ci_u32_e32 v3, vcc_lo, 0, v16, vcc_lo
	v_add_nc_u32_e32 v52, 8, v16
	v_add_nc_u32_e32 v54, 16, v16
	s_delay_alu instid0(VALU_DEP_3)
	v_lshlrev_b32_e32 v9, 2, v3
	v_and_b32_e32 v3, 0xff, v5
	ds_bpermute_b32 v6, v9, v4
	v_cmp_eq_u16_e32 vcc_lo, 2, v3
	v_and_or_b32 v3, vcc_lo, v10, 0x80000000
	v_cmp_gt_u32_e32 vcc_lo, 30, v16
	s_delay_alu instid0(VALU_DEP_2) | instskip(SKIP_1) | instid1(VALU_DEP_2)
	v_ctz_i32_b32_e32 v3, v3
	v_cndmask_b32_e64 v7, 0, 1, vcc_lo
	v_cmp_le_u32_e32 vcc_lo, v11, v3
	s_waitcnt lgkmcnt(0)
	s_delay_alu instid0(VALU_DEP_2) | instskip(NEXT) | instid1(VALU_DEP_1)
	v_dual_cndmask_b32 v6, 0, v6 :: v_dual_lshlrev_b32 v7, 1, v7
	v_add_lshl_u32 v12, v7, v16, 2
	v_cmp_gt_u32_e32 vcc_lo, 28, v16
	s_delay_alu instid0(VALU_DEP_3) | instskip(SKIP_4) | instid1(VALU_DEP_1)
	v_add_nc_u32_e32 v4, v6, v4
	v_cndmask_b32_e64 v7, 0, 1, vcc_lo
	v_cmp_le_u32_e32 vcc_lo, v13, v3
	ds_bpermute_b32 v6, v12, v4
	v_lshlrev_b32_e32 v7, 2, v7
	v_add_lshl_u32 v14, v7, v16, 2
	s_waitcnt lgkmcnt(0)
	v_cndmask_b32_e32 v6, 0, v6, vcc_lo
	v_cmp_gt_u32_e32 vcc_lo, 24, v16
	s_delay_alu instid0(VALU_DEP_2) | instskip(SKIP_4) | instid1(VALU_DEP_1)
	v_add_nc_u32_e32 v4, v4, v6
	v_cndmask_b32_e64 v7, 0, 1, vcc_lo
	v_cmp_le_u32_e32 vcc_lo, v15, v3
	ds_bpermute_b32 v6, v14, v4
	v_lshlrev_b32_e32 v7, 3, v7
	v_add_lshl_u32 v51, v7, v16, 2
	s_waitcnt lgkmcnt(0)
	v_cndmask_b32_e32 v6, 0, v6, vcc_lo
	v_cmp_gt_u32_e32 vcc_lo, 16, v16
	s_delay_alu instid0(VALU_DEP_2) | instskip(SKIP_4) | instid1(VALU_DEP_1)
	v_add_nc_u32_e32 v4, v4, v6
	v_cndmask_b32_e64 v7, 0, 1, vcc_lo
	v_cmp_le_u32_e32 vcc_lo, v52, v3
	ds_bpermute_b32 v6, v51, v4
	v_lshlrev_b32_e32 v7, 4, v7
	v_add_lshl_u32 v53, v7, v16, 2
	s_waitcnt lgkmcnt(0)
	v_cndmask_b32_e32 v6, 0, v6, vcc_lo
	v_cmp_le_u32_e32 vcc_lo, v54, v3
	s_delay_alu instid0(VALU_DEP_2) | instskip(SKIP_3) | instid1(VALU_DEP_1)
	v_add_nc_u32_e32 v4, v4, v6
	ds_bpermute_b32 v6, v53, v4
	s_waitcnt lgkmcnt(0)
	v_cndmask_b32_e32 v3, 0, v6, vcc_lo
	v_dual_mov_b32 v3, 0 :: v_dual_add_nc_u32 v4, v4, v3
	s_branch .LBB27_35
.LBB27_34:                              ;   in Loop: Header=BB27_35 Depth=1
	s_or_b32 exec_lo, exec_lo, s8
	ds_bpermute_b32 v7, v9, v4
	v_and_b32_e32 v6, 0xff, v5
	v_subrev_nc_u32_e32 v2, 32, v2
	s_delay_alu instid0(VALU_DEP_2) | instskip(SKIP_1) | instid1(VALU_DEP_1)
	v_cmp_eq_u16_e32 vcc_lo, 2, v6
	v_and_or_b32 v6, vcc_lo, v10, 0x80000000
	v_ctz_i32_b32_e32 v6, v6
	s_delay_alu instid0(VALU_DEP_1) | instskip(SKIP_3) | instid1(VALU_DEP_2)
	v_cmp_le_u32_e32 vcc_lo, v11, v6
	s_waitcnt lgkmcnt(0)
	v_cndmask_b32_e32 v7, 0, v7, vcc_lo
	v_cmp_le_u32_e32 vcc_lo, v13, v6
	v_add_nc_u32_e32 v4, v7, v4
	ds_bpermute_b32 v7, v12, v4
	s_waitcnt lgkmcnt(0)
	v_cndmask_b32_e32 v7, 0, v7, vcc_lo
	v_cmp_le_u32_e32 vcc_lo, v15, v6
	s_delay_alu instid0(VALU_DEP_2) | instskip(SKIP_4) | instid1(VALU_DEP_2)
	v_add_nc_u32_e32 v4, v4, v7
	ds_bpermute_b32 v7, v14, v4
	s_waitcnt lgkmcnt(0)
	v_cndmask_b32_e32 v7, 0, v7, vcc_lo
	v_cmp_le_u32_e32 vcc_lo, v52, v6
	v_add_nc_u32_e32 v4, v4, v7
	ds_bpermute_b32 v7, v51, v4
	s_waitcnt lgkmcnt(0)
	v_cndmask_b32_e32 v7, 0, v7, vcc_lo
	v_cmp_le_u32_e32 vcc_lo, v54, v6
	s_delay_alu instid0(VALU_DEP_2) | instskip(SKIP_3) | instid1(VALU_DEP_1)
	v_add_nc_u32_e32 v4, v4, v7
	ds_bpermute_b32 v7, v53, v4
	s_waitcnt lgkmcnt(0)
	v_cndmask_b32_e32 v6, 0, v7, vcc_lo
	v_add3_u32 v4, v6, v16, v4
.LBB27_35:                              ; =>This Loop Header: Depth=1
                                        ;     Child Loop BB27_38 Depth 2
	s_delay_alu instid0(VALU_DEP_1) | instskip(NEXT) | instid1(VALU_DEP_1)
	v_dual_mov_b32 v16, v4 :: v_dual_and_b32 v5, 0xff, v5
	v_cmp_ne_u16_e32 vcc_lo, 2, v5
	v_cndmask_b32_e64 v5, 0, 1, vcc_lo
	;;#ASMSTART
	;;#ASMEND
	s_delay_alu instid0(VALU_DEP_1)
	v_cmp_ne_u32_e32 vcc_lo, 0, v5
	s_cmp_lg_u32 vcc_lo, exec_lo
	s_cbranch_scc1 .LBB27_40
; %bb.36:                               ;   in Loop: Header=BB27_35 Depth=1
	v_lshlrev_b64 v[4:5], 3, v[2:3]
	s_mov_b32 s8, exec_lo
	s_delay_alu instid0(VALU_DEP_1) | instskip(NEXT) | instid1(VALU_DEP_2)
	v_add_co_u32 v6, vcc_lo, s4, v4
	v_add_co_ci_u32_e32 v7, vcc_lo, s5, v5, vcc_lo
	global_load_b64 v[4:5], v[6:7], off glc
	s_waitcnt vmcnt(0)
	v_and_b32_e32 v55, 0xff, v5
	s_delay_alu instid0(VALU_DEP_1)
	v_cmpx_eq_u16_e32 0, v55
	s_cbranch_execz .LBB27_34
; %bb.37:                               ;   in Loop: Header=BB27_35 Depth=1
	s_mov_b32 s9, 0
.LBB27_38:                              ;   Parent Loop BB27_35 Depth=1
                                        ; =>  This Inner Loop Header: Depth=2
	global_load_b64 v[4:5], v[6:7], off glc
	s_waitcnt vmcnt(0)
	v_and_b32_e32 v55, 0xff, v5
	s_delay_alu instid0(VALU_DEP_1) | instskip(SKIP_1) | instid1(SALU_CYCLE_1)
	v_cmp_ne_u16_e32 vcc_lo, 0, v55
	s_or_b32 s9, vcc_lo, s9
	s_and_not1_b32 exec_lo, exec_lo, s9
	s_cbranch_execnz .LBB27_38
; %bb.39:                               ;   in Loop: Header=BB27_35 Depth=1
	s_or_b32 exec_lo, exec_lo, s9
	s_branch .LBB27_34
.LBB27_40:                              ;   in Loop: Header=BB27_35 Depth=1
                                        ; implicit-def: $vgpr4
                                        ; implicit-def: $vgpr5
	s_cbranch_execz .LBB27_35
; %bb.41:
	s_and_saveexec_b32 s8, s3
	s_cbranch_execz .LBB27_43
; %bb.42:
	s_add_i32 s16, s15, 32
	s_mov_b32 s17, 0
	v_dual_mov_b32 v3, 0 :: v_dual_mov_b32 v2, 2
	s_lshl_b64 s[16:17], s[16:17], 3
	v_add_nc_u32_e32 v1, v16, v1
	s_add_u32 s16, s4, s16
	s_addc_u32 s17, s5, s17
	global_store_b64 v3, v[1:2], s[16:17]
.LBB27_43:
	s_or_b32 exec_lo, exec_lo, s8
	s_delay_alu instid0(SALU_CYCLE_1)
	s_and_b32 exec_lo, exec_lo, s2
	s_cbranch_execz .LBB27_45
; %bb.44:
	v_mov_b32_e32 v1, 0
	ds_store_b32 v1, v16
.LBB27_45:
	s_or_b32 exec_lo, exec_lo, s10
	v_mov_b32_e32 v1, 0
	s_waitcnt lgkmcnt(0)
	s_waitcnt_vscnt null, 0x0
	s_barrier
	buffer_gl0_inv
	ds_load_b32 v1, v1
	s_waitcnt lgkmcnt(0)
	v_add3_u32 v1, v8, v29, v1
	s_delay_alu instid0(VALU_DEP_1) | instskip(NEXT) | instid1(VALU_DEP_1)
	v_add_nc_u32_e32 v2, v1, v30
	v_add_nc_u32_e32 v3, v2, v31
	s_delay_alu instid0(VALU_DEP_1) | instskip(NEXT) | instid1(VALU_DEP_1)
	v_add_nc_u32_e32 v4, v3, v32
	v_add_nc_u32_e32 v5, v4, v27
	;; [unrolled: 3-line block ×7, first 2 shown]
	s_delay_alu instid0(VALU_DEP_1)
	v_add_nc_u32_e32 v16, v15, v18
	s_load_b128 s[8:11], s[0:1], 0x30
	s_branch .LBB27_56
.LBB27_46:
                                        ; implicit-def: $vgpr1_vgpr2_vgpr3_vgpr4_vgpr5_vgpr6_vgpr7_vgpr8_vgpr9_vgpr10_vgpr11_vgpr12_vgpr13_vgpr14_vgpr15_vgpr16
	s_load_b128 s[8:11], s[0:1], 0x30
	s_cbranch_execz .LBB27_56
; %bb.47:
	s_load_b32 s2, s[0:1], 0x40
	v_cmp_eq_u32_e32 vcc_lo, 0, v0
	s_waitcnt lgkmcnt(0)
	s_bitcmp1_b32 s2, 0
	v_cmp_ne_u32_e64 s2, 0, v0
	s_cselect_b32 s3, -1, 0
	s_delay_alu instid0(SALU_CYCLE_1) | instskip(NEXT) | instid1(SALU_CYCLE_1)
	s_and_b32 s15, vcc_lo, s3
	s_and_saveexec_b32 s3, s15
	s_cbranch_execz .LBB27_49
; %bb.48:
	s_load_b32 s8, s[8:9], 0x0
	s_waitcnt lgkmcnt(0)
	v_add_nc_u32_e32 v29, s8, v29
.LBB27_49:
	s_or_b32 exec_lo, exec_lo, s3
	s_delay_alu instid0(VALU_DEP_1) | instskip(SKIP_2) | instid1(VALU_DEP_2)
	v_add_nc_u32_e32 v1, v30, v29
	v_add_lshl_u32 v2, v49, v0, 2
	s_mov_b32 s8, exec_lo
	v_add3_u32 v1, v1, v31, v32
	s_delay_alu instid0(VALU_DEP_1) | instskip(NEXT) | instid1(VALU_DEP_1)
	v_add3_u32 v1, v1, v27, v28
	v_add3_u32 v1, v1, v25, v26
	s_delay_alu instid0(VALU_DEP_1) | instskip(NEXT) | instid1(VALU_DEP_1)
	v_add3_u32 v1, v1, v23, v24
	;; [unrolled: 3-line block ×3, first 2 shown]
	v_add3_u32 v1, v1, v17, v18
	ds_store_b32 v2, v1
	s_waitcnt lgkmcnt(0)
	s_barrier
	buffer_gl0_inv
	v_cmpx_gt_u32_e32 32, v0
	s_cbranch_execz .LBB27_51
; %bb.50:
	v_lshrrev_b32_e32 v2, 2, v0
	v_mbcnt_lo_u32_b32 v5, -1, 0
	s_delay_alu instid0(VALU_DEP_2) | instskip(NEXT) | instid1(VALU_DEP_2)
	v_and_b32_e32 v2, 12, v2
	v_and_b32_e32 v7, 15, v5
	v_add_nc_u32_e32 v9, -1, v5
	s_delay_alu instid0(VALU_DEP_3) | instskip(NEXT) | instid1(VALU_DEP_3)
	v_lshl_or_b32 v4, v0, 3, v2
	v_cmp_ne_u32_e64 s3, 0, v7
	ds_load_2addr_b32 v[2:3], v4 offset1:1
	s_waitcnt lgkmcnt(0)
	v_add_nc_u32_e32 v6, v3, v2
	s_delay_alu instid0(VALU_DEP_1) | instskip(NEXT) | instid1(VALU_DEP_1)
	v_mov_b32_dpp v8, v6 row_shr:1 row_mask:0xf bank_mask:0xf
	v_cndmask_b32_e64 v8, 0, v8, s3
	v_cmp_lt_u32_e64 s3, 1, v7
	s_delay_alu instid0(VALU_DEP_2) | instskip(NEXT) | instid1(VALU_DEP_1)
	v_add_nc_u32_e32 v6, v8, v6
	v_mov_b32_dpp v8, v6 row_shr:2 row_mask:0xf bank_mask:0xf
	s_delay_alu instid0(VALU_DEP_1) | instskip(SKIP_1) | instid1(VALU_DEP_2)
	v_cndmask_b32_e64 v8, 0, v8, s3
	v_cmp_lt_u32_e64 s3, 3, v7
	v_add_nc_u32_e32 v6, v6, v8
	s_delay_alu instid0(VALU_DEP_1) | instskip(NEXT) | instid1(VALU_DEP_1)
	v_mov_b32_dpp v8, v6 row_shr:4 row_mask:0xf bank_mask:0xf
	v_cndmask_b32_e64 v8, 0, v8, s3
	v_cmp_lt_u32_e64 s3, 7, v7
	s_delay_alu instid0(VALU_DEP_2) | instskip(NEXT) | instid1(VALU_DEP_1)
	v_add_nc_u32_e32 v6, v6, v8
	v_mov_b32_dpp v8, v6 row_shr:8 row_mask:0xf bank_mask:0xf
	s_delay_alu instid0(VALU_DEP_1) | instskip(SKIP_2) | instid1(VALU_DEP_3)
	v_cndmask_b32_e64 v7, 0, v8, s3
	v_bfe_i32 v8, v5, 4, 1
	v_cmp_gt_i32_e64 s3, 0, v9
	v_add_nc_u32_e32 v6, v6, v7
	s_delay_alu instid0(VALU_DEP_2) | instskip(SKIP_4) | instid1(VALU_DEP_1)
	v_cndmask_b32_e64 v5, v9, v5, s3
	ds_swizzle_b32 v7, v6 offset:swizzle(BROADCAST,32,15)
	v_lshlrev_b32_e32 v5, 2, v5
	s_waitcnt lgkmcnt(0)
	v_and_b32_e32 v7, v8, v7
	v_add_nc_u32_e32 v6, v6, v7
	ds_bpermute_b32 v5, v5, v6
	s_waitcnt lgkmcnt(0)
	v_add_nc_u32_e32 v2, v5, v2
	s_delay_alu instid0(VALU_DEP_1) | instskip(NEXT) | instid1(VALU_DEP_1)
	v_cndmask_b32_e32 v1, v2, v1, vcc_lo
	v_add_nc_u32_e32 v2, v1, v3
	ds_store_2addr_b32 v4, v1, v2 offset1:1
.LBB27_51:
	s_or_b32 exec_lo, exec_lo, s8
	v_mov_b32_e32 v1, 0
	s_waitcnt lgkmcnt(0)
	s_barrier
	buffer_gl0_inv
	s_and_saveexec_b32 s3, s2
	s_cbranch_execz .LBB27_53
; %bb.52:
	v_add_nc_u32_e32 v1, -1, v0
	s_delay_alu instid0(VALU_DEP_1) | instskip(NEXT) | instid1(VALU_DEP_1)
	v_lshrrev_b32_e32 v2, 5, v1
	v_add_lshl_u32 v1, v2, v1, 2
	ds_load_b32 v1, v1
.LBB27_53:
	s_or_b32 exec_lo, exec_lo, s3
	s_waitcnt lgkmcnt(0)
	v_add_nc_u32_e32 v1, v1, v29
	s_delay_alu instid0(VALU_DEP_1) | instskip(NEXT) | instid1(VALU_DEP_1)
	v_add_nc_u32_e32 v2, v1, v30
	v_add_nc_u32_e32 v3, v2, v31
	s_delay_alu instid0(VALU_DEP_1) | instskip(NEXT) | instid1(VALU_DEP_1)
	v_add_nc_u32_e32 v4, v3, v32
	v_add_nc_u32_e32 v5, v4, v27
	s_delay_alu instid0(VALU_DEP_1) | instskip(NEXT) | instid1(VALU_DEP_1)
	v_add_nc_u32_e32 v6, v5, v28
	v_add_nc_u32_e32 v7, v6, v25
	s_delay_alu instid0(VALU_DEP_1) | instskip(NEXT) | instid1(VALU_DEP_1)
	v_add_nc_u32_e32 v8, v7, v26
	v_add_nc_u32_e32 v9, v8, v23
	s_delay_alu instid0(VALU_DEP_1) | instskip(NEXT) | instid1(VALU_DEP_1)
	v_add_nc_u32_e32 v10, v9, v24
	v_add_nc_u32_e32 v11, v10, v21
	s_delay_alu instid0(VALU_DEP_1) | instskip(NEXT) | instid1(VALU_DEP_1)
	v_add_nc_u32_e32 v12, v11, v22
	v_add_nc_u32_e32 v13, v12, v19
	s_delay_alu instid0(VALU_DEP_1) | instskip(NEXT) | instid1(VALU_DEP_1)
	v_add_nc_u32_e32 v14, v13, v20
	v_add_nc_u32_e32 v15, v14, v17
	s_delay_alu instid0(VALU_DEP_1)
	v_add_nc_u32_e32 v16, v15, v18
	s_and_saveexec_b32 s2, vcc_lo
	s_cbranch_execz .LBB27_55
; %bb.54:
	v_dual_mov_b32 v19, 0 :: v_dual_mov_b32 v18, 2
	ds_load_b32 v17, v19 offset:256
	s_waitcnt lgkmcnt(0)
	global_store_b64 v19, v[17:18], s[4:5] offset:256
.LBB27_55:
	s_or_b32 exec_lo, exec_lo, s2
.LBB27_56:
	v_lshlrev_b32_e32 v17, 6, v0
	s_add_u32 s2, s6, s12
	s_addc_u32 s3, s7, s13
	s_and_b32 vcc_lo, exec_lo, s34
	s_mov_b32 s4, -1
	s_waitcnt lgkmcnt(0)
	s_waitcnt_vscnt null, 0x0
	s_barrier
	buffer_gl0_inv
	s_cbranch_vccz .LBB27_58
; %bb.57:
	v_lshl_add_u32 v18, v50, 2, v17
	v_lshrrev_b32_e32 v26, 5, v40
	v_lshrrev_b32_e32 v27, 5, v39
	;; [unrolled: 1-line block ×4, first 2 shown]
	ds_store_2addr_b32 v18, v1, v2 offset1:1
	ds_store_2addr_b32 v18, v3, v4 offset0:2 offset1:3
	ds_store_2addr_b32 v18, v5, v6 offset0:4 offset1:5
	;; [unrolled: 1-line block ×7, first 2 shown]
	v_lshrrev_b32_e32 v18, 5, v47
	v_lshrrev_b32_e32 v21, 5, v45
	v_lshrrev_b32_e32 v29, 5, v37
	v_lshrrev_b32_e32 v22, 5, v44
	v_lshrrev_b32_e32 v23, 5, v43
	v_lshrrev_b32_e32 v24, 5, v42
	v_lshrrev_b32_e32 v25, 5, v41
	v_lshrrev_b32_e32 v30, 5, v36
	v_lshrrev_b32_e32 v31, 5, v35
	v_lshrrev_b32_e32 v32, 5, v34
	v_lshrrev_b32_e32 v51, 5, v33
	v_add_lshl_u32 v20, v49, v0, 2
	v_add_lshl_u32 v26, v26, v0, 2
	;; [unrolled: 1-line block ×16, first 2 shown]
	s_waitcnt lgkmcnt(0)
	s_barrier
	buffer_gl0_inv
	ds_load_b32 v20, v20
	ds_load_b32 v18, v18 offset:256
	ds_load_b32 v19, v19 offset:512
	;; [unrolled: 1-line block ×15, first 2 shown]
	s_waitcnt lgkmcnt(15)
	global_store_b32 v48, v20, s[2:3]
	s_waitcnt lgkmcnt(14)
	global_store_b32 v48, v18, s[2:3] offset:256
	s_waitcnt lgkmcnt(13)
	global_store_b32 v48, v19, s[2:3] offset:512
	;; [unrolled: 2-line block ×7, first 2 shown]
	s_mov_b32 s4, 0
	s_waitcnt lgkmcnt(7)
	global_store_b32 v48, v26, s[2:3] offset:2048
	s_waitcnt lgkmcnt(6)
	global_store_b32 v48, v27, s[2:3] offset:2304
	;; [unrolled: 2-line block ×8, first 2 shown]
.LBB27_58:
	s_and_not1_b32 vcc_lo, exec_lo, s4
	s_cbranch_vccnz .LBB27_131
; %bb.59:
	v_lshl_add_u32 v17, v50, 2, v17
	ds_store_2addr_b32 v17, v1, v2 offset1:1
	ds_store_2addr_b32 v17, v3, v4 offset0:2 offset1:3
	ds_store_2addr_b32 v17, v5, v6 offset0:4 offset1:5
	;; [unrolled: 1-line block ×7, first 2 shown]
	v_lshrrev_b32_e32 v1, 5, v47
	v_lshrrev_b32_e32 v2, 5, v46
	;; [unrolled: 1-line block ×6, first 2 shown]
	v_add_lshl_u32 v3, v49, v0, 2
	v_lshrrev_b32_e32 v8, 5, v41
	v_add_lshl_u32 v1, v1, v0, 2
	v_lshrrev_b32_e32 v14, 5, v40
	;; [unrolled: 2-line block ×3, first 2 shown]
	v_lshrrev_b32_e32 v16, 5, v38
	v_add_lshl_u32 v9, v4, v0, 2
	v_add_lshl_u32 v10, v5, v0, 2
	;; [unrolled: 1-line block ×4, first 2 shown]
	s_waitcnt lgkmcnt(0)
	s_waitcnt_vscnt null, 0x0
	s_barrier
	buffer_gl0_inv
	v_add_lshl_u32 v13, v8, v0, 2
	ds_load_b32 v5, v3
	ds_load_b32 v4, v1 offset:256
	ds_load_b32 v6, v2 offset:512
	;; [unrolled: 1-line block ×7, first 2 shown]
	v_lshrrev_b32_e32 v12, 5, v37
	v_add_lshl_u32 v1, v14, v0, 2
	v_lshrrev_b32_e32 v13, 5, v36
	v_lshrrev_b32_e32 v14, 5, v35
	v_add_lshl_u32 v2, v15, v0, 2
	v_add_lshl_u32 v3, v16, v0, 2
	v_lshrrev_b32_e32 v15, 5, v34
	v_lshrrev_b32_e32 v16, 5, v33
	v_add_lshl_u32 v17, v12, v0, 2
	v_add_lshl_u32 v18, v13, v0, 2
	;; [unrolled: 1-line block ×5, first 2 shown]
	ds_load_b32 v12, v1 offset:2048
	ds_load_b32 v13, v2 offset:2304
	;; [unrolled: 1-line block ×8, first 2 shown]
	v_add_co_u32 v2, s2, s2, v48
	v_mov_b32_e32 v1, 0
	v_add_co_ci_u32_e64 v3, null, s3, 0, s2
	s_mov_b32 s2, exec_lo
	v_cmpx_gt_u32_e64 s14, v0
	s_cbranch_execnz .LBB27_147
; %bb.60:
	s_or_b32 exec_lo, exec_lo, s2
	s_delay_alu instid0(SALU_CYCLE_1)
	s_mov_b32 s2, exec_lo
	v_cmpx_gt_u32_e64 s14, v47
	s_cbranch_execnz .LBB27_148
.LBB27_61:
	s_or_b32 exec_lo, exec_lo, s2
	s_delay_alu instid0(SALU_CYCLE_1)
	s_mov_b32 s2, exec_lo
	v_cmpx_gt_u32_e64 s14, v46
	s_cbranch_execnz .LBB27_149
.LBB27_62:
	s_or_b32 exec_lo, exec_lo, s2
	s_delay_alu instid0(SALU_CYCLE_1)
	s_mov_b32 s2, exec_lo
	v_cmpx_gt_u32_e64 s14, v45
	s_cbranch_execnz .LBB27_150
.LBB27_63:
	s_or_b32 exec_lo, exec_lo, s2
	s_delay_alu instid0(SALU_CYCLE_1)
	s_mov_b32 s2, exec_lo
	v_cmpx_gt_u32_e64 s14, v44
	s_cbranch_execnz .LBB27_151
.LBB27_64:
	s_or_b32 exec_lo, exec_lo, s2
	s_delay_alu instid0(SALU_CYCLE_1)
	s_mov_b32 s2, exec_lo
	v_cmpx_gt_u32_e64 s14, v43
	s_cbranch_execnz .LBB27_152
.LBB27_65:
	s_or_b32 exec_lo, exec_lo, s2
	s_delay_alu instid0(SALU_CYCLE_1)
	s_mov_b32 s2, exec_lo
	v_cmpx_gt_u32_e64 s14, v42
	s_cbranch_execnz .LBB27_153
.LBB27_66:
	s_or_b32 exec_lo, exec_lo, s2
	s_delay_alu instid0(SALU_CYCLE_1)
	s_mov_b32 s2, exec_lo
	v_cmpx_gt_u32_e64 s14, v41
	s_cbranch_execnz .LBB27_154
.LBB27_67:
	s_or_b32 exec_lo, exec_lo, s2
	s_delay_alu instid0(SALU_CYCLE_1)
	s_mov_b32 s2, exec_lo
	v_cmpx_gt_u32_e64 s14, v40
	s_cbranch_execnz .LBB27_155
.LBB27_68:
	s_or_b32 exec_lo, exec_lo, s2
	s_delay_alu instid0(SALU_CYCLE_1)
	s_mov_b32 s2, exec_lo
	v_cmpx_gt_u32_e64 s14, v39
	s_cbranch_execnz .LBB27_156
.LBB27_69:
	s_or_b32 exec_lo, exec_lo, s2
	s_delay_alu instid0(SALU_CYCLE_1)
	s_mov_b32 s2, exec_lo
	v_cmpx_gt_u32_e64 s14, v38
	s_cbranch_execnz .LBB27_157
.LBB27_70:
	s_or_b32 exec_lo, exec_lo, s2
	s_delay_alu instid0(SALU_CYCLE_1)
	s_mov_b32 s2, exec_lo
	v_cmpx_gt_u32_e64 s14, v37
	s_cbranch_execnz .LBB27_158
.LBB27_71:
	s_or_b32 exec_lo, exec_lo, s2
	s_delay_alu instid0(SALU_CYCLE_1)
	s_mov_b32 s2, exec_lo
	v_cmpx_gt_u32_e64 s14, v36
	s_cbranch_execnz .LBB27_159
.LBB27_72:
	s_or_b32 exec_lo, exec_lo, s2
	s_delay_alu instid0(SALU_CYCLE_1)
	s_mov_b32 s2, exec_lo
	v_cmpx_gt_u32_e64 s14, v35
	s_cbranch_execnz .LBB27_160
.LBB27_73:
	s_or_b32 exec_lo, exec_lo, s2
	s_delay_alu instid0(SALU_CYCLE_1)
	s_mov_b32 s2, exec_lo
	v_cmpx_gt_u32_e64 s14, v34
	s_cbranch_execnz .LBB27_161
.LBB27_74:
	s_or_b32 exec_lo, exec_lo, s2
	s_delay_alu instid0(SALU_CYCLE_1)
	s_mov_b32 s2, exec_lo
	v_cmpx_gt_u32_e64 s14, v33
	s_cbranch_execz .LBB27_76
.LBB27_75:
	s_waitcnt lgkmcnt(0)
	global_store_b32 v[2:3], v19, off offset:3840
.LBB27_76:
	s_or_b32 exec_lo, exec_lo, s2
	s_load_b32 s0, s[0:1], 0x40
	s_waitcnt lgkmcnt(0)
	s_bfe_u32 s0, s0, 0x10008
	s_delay_alu instid0(SALU_CYCLE_1)
	s_cmp_eq_u32 s0, 0
	s_cbranch_scc1 .LBB27_131
; %bb.77:
	s_add_u32 s0, s14, -1
	s_addc_u32 s1, s33, -1
	s_delay_alu instid0(SALU_CYCLE_1)
	s_lshr_b64 s[2:3], s[0:1], 4
	s_mov_b32 s1, exec_lo
	v_cmpx_eq_u64_e64 s[2:3], v[0:1]
	s_cbranch_execz .LBB27_131
; %bb.78:
	s_and_b32 s0, s0, 15
	s_mov_b32 s1, 0
	s_delay_alu instid0(SALU_CYCLE_1) | instskip(NEXT) | instid1(VALU_DEP_1)
	v_cmp_lt_i64_e64 s2, s[0:1], 8
	s_and_b32 vcc_lo, exec_lo, s2
	s_mov_b32 s2, -1
	s_cbranch_vccnz .LBB27_105
; %bb.79:
	v_cmp_lt_i64_e64 s2, s[0:1], 12
	s_delay_alu instid0(VALU_DEP_1)
	s_and_b32 vcc_lo, exec_lo, s2
	s_mov_b32 s2, -1
	s_cbranch_vccnz .LBB27_92
; %bb.80:
	v_cmp_lt_i64_e64 s2, s[0:1], 14
	s_delay_alu instid0(VALU_DEP_1)
	s_and_b32 vcc_lo, exec_lo, s2
	s_mov_b32 s2, -1
	s_cbranch_vccnz .LBB27_86
; %bb.81:
	v_cmp_gt_i64_e64 s2, s[0:1], 14
	s_delay_alu instid0(VALU_DEP_1)
	s_and_b32 vcc_lo, exec_lo, s2
	s_mov_b32 s2, -1
	s_cbranch_vccz .LBB27_83
; %bb.82:
	v_mov_b32_e32 v0, 0
	s_mov_b32 s2, 0
	global_store_b32 v0, v19, s[10:11]
.LBB27_83:
	s_and_not1_b32 vcc_lo, exec_lo, s2
	s_cbranch_vccnz .LBB27_85
; %bb.84:
	v_mov_b32_e32 v0, 0
	global_store_b32 v0, v18, s[10:11]
.LBB27_85:
	s_mov_b32 s2, 0
.LBB27_86:
	s_delay_alu instid0(SALU_CYCLE_1)
	s_and_not1_b32 vcc_lo, exec_lo, s2
	s_cbranch_vccnz .LBB27_91
; %bb.87:
	v_cmp_gt_i64_e64 s2, s[0:1], 12
	s_delay_alu instid0(VALU_DEP_1)
	s_and_b32 vcc_lo, exec_lo, s2
	s_mov_b32 s2, -1
	s_cbranch_vccz .LBB27_89
; %bb.88:
	v_mov_b32_e32 v0, 0
	s_mov_b32 s2, 0
	global_store_b32 v0, v17, s[10:11]
.LBB27_89:
	s_and_not1_b32 vcc_lo, exec_lo, s2
	s_cbranch_vccnz .LBB27_91
; %bb.90:
	v_mov_b32_e32 v0, 0
	global_store_b32 v0, v16, s[10:11]
.LBB27_91:
	s_mov_b32 s2, 0
.LBB27_92:
	s_delay_alu instid0(SALU_CYCLE_1)
	s_and_not1_b32 vcc_lo, exec_lo, s2
	s_cbranch_vccnz .LBB27_104
; %bb.93:
	v_cmp_lt_i64_e64 s2, s[0:1], 10
	s_delay_alu instid0(VALU_DEP_1)
	s_and_b32 vcc_lo, exec_lo, s2
	s_mov_b32 s2, -1
	s_cbranch_vccnz .LBB27_99
; %bb.94:
	v_cmp_gt_i64_e64 s2, s[0:1], 10
	s_delay_alu instid0(VALU_DEP_1)
	s_and_b32 vcc_lo, exec_lo, s2
	s_mov_b32 s2, -1
	s_cbranch_vccz .LBB27_96
; %bb.95:
	v_mov_b32_e32 v0, 0
	s_mov_b32 s2, 0
	global_store_b32 v0, v15, s[10:11]
.LBB27_96:
	s_and_not1_b32 vcc_lo, exec_lo, s2
	s_cbranch_vccnz .LBB27_98
; %bb.97:
	v_mov_b32_e32 v0, 0
	global_store_b32 v0, v14, s[10:11]
.LBB27_98:
	s_mov_b32 s2, 0
.LBB27_99:
	s_delay_alu instid0(SALU_CYCLE_1)
	s_and_not1_b32 vcc_lo, exec_lo, s2
	s_cbranch_vccnz .LBB27_104
; %bb.100:
	v_cmp_gt_i64_e64 s2, s[0:1], 8
	s_delay_alu instid0(VALU_DEP_1)
	s_and_b32 vcc_lo, exec_lo, s2
	s_mov_b32 s2, -1
	s_cbranch_vccz .LBB27_102
; %bb.101:
	v_mov_b32_e32 v0, 0
	s_mov_b32 s2, 0
	global_store_b32 v0, v13, s[10:11]
.LBB27_102:
	s_and_not1_b32 vcc_lo, exec_lo, s2
	s_cbranch_vccnz .LBB27_104
; %bb.103:
	v_mov_b32_e32 v0, 0
	global_store_b32 v0, v12, s[10:11]
.LBB27_104:
	s_mov_b32 s2, 0
.LBB27_105:
	s_delay_alu instid0(SALU_CYCLE_1)
	s_and_not1_b32 vcc_lo, exec_lo, s2
	s_cbranch_vccnz .LBB27_131
; %bb.106:
	v_cmp_lt_i64_e64 s2, s[0:1], 4
	s_delay_alu instid0(VALU_DEP_1)
	s_and_b32 vcc_lo, exec_lo, s2
	s_mov_b32 s2, -1
	s_cbranch_vccnz .LBB27_119
; %bb.107:
	v_cmp_lt_i64_e64 s2, s[0:1], 6
	s_delay_alu instid0(VALU_DEP_1)
	s_and_b32 vcc_lo, exec_lo, s2
	s_mov_b32 s2, -1
	s_cbranch_vccnz .LBB27_113
; %bb.108:
	v_cmp_gt_i64_e64 s2, s[0:1], 6
	s_delay_alu instid0(VALU_DEP_1)
	s_and_b32 vcc_lo, exec_lo, s2
	s_mov_b32 s2, -1
	s_cbranch_vccz .LBB27_110
; %bb.109:
	v_mov_b32_e32 v0, 0
	s_mov_b32 s2, 0
	global_store_b32 v0, v11, s[10:11]
.LBB27_110:
	s_and_not1_b32 vcc_lo, exec_lo, s2
	s_cbranch_vccnz .LBB27_112
; %bb.111:
	v_mov_b32_e32 v0, 0
	global_store_b32 v0, v10, s[10:11]
.LBB27_112:
	s_mov_b32 s2, 0
.LBB27_113:
	s_delay_alu instid0(SALU_CYCLE_1)
	s_and_not1_b32 vcc_lo, exec_lo, s2
	s_cbranch_vccnz .LBB27_118
; %bb.114:
	v_cmp_gt_i64_e64 s2, s[0:1], 4
	s_delay_alu instid0(VALU_DEP_1)
	s_and_b32 vcc_lo, exec_lo, s2
	s_mov_b32 s2, -1
	s_cbranch_vccz .LBB27_116
; %bb.115:
	v_mov_b32_e32 v0, 0
	s_mov_b32 s2, 0
	global_store_b32 v0, v9, s[10:11]
.LBB27_116:
	s_and_not1_b32 vcc_lo, exec_lo, s2
	s_cbranch_vccnz .LBB27_118
; %bb.117:
	v_mov_b32_e32 v0, 0
	global_store_b32 v0, v8, s[10:11]
.LBB27_118:
	s_mov_b32 s2, 0
.LBB27_119:
	s_delay_alu instid0(SALU_CYCLE_1)
	s_and_not1_b32 vcc_lo, exec_lo, s2
	s_cbranch_vccnz .LBB27_131
; %bb.120:
	v_cmp_lt_i64_e64 s2, s[0:1], 2
	s_delay_alu instid0(VALU_DEP_1)
	s_and_b32 vcc_lo, exec_lo, s2
	s_mov_b32 s2, -1
	s_cbranch_vccnz .LBB27_126
; %bb.121:
	v_cmp_gt_i64_e64 s2, s[0:1], 2
	s_delay_alu instid0(VALU_DEP_1)
	s_and_b32 vcc_lo, exec_lo, s2
	s_mov_b32 s2, -1
	s_cbranch_vccz .LBB27_123
; %bb.122:
	v_mov_b32_e32 v0, 0
	s_mov_b32 s2, 0
	global_store_b32 v0, v7, s[10:11]
.LBB27_123:
	s_and_not1_b32 vcc_lo, exec_lo, s2
	s_cbranch_vccnz .LBB27_125
; %bb.124:
	v_mov_b32_e32 v0, 0
	global_store_b32 v0, v6, s[10:11]
.LBB27_125:
	s_mov_b32 s2, 0
.LBB27_126:
	s_delay_alu instid0(SALU_CYCLE_1)
	s_and_not1_b32 vcc_lo, exec_lo, s2
	s_cbranch_vccnz .LBB27_131
; %bb.127:
	s_cmp_eq_u64 s[0:1], 1
	s_mov_b32 s0, -1
	s_cbranch_scc1 .LBB27_129
; %bb.128:
	v_mov_b32_e32 v0, 0
	s_mov_b32 s0, 0
	global_store_b32 v0, v5, s[10:11]
.LBB27_129:
	s_and_not1_b32 vcc_lo, exec_lo, s0
	s_cbranch_vccnz .LBB27_131
; %bb.130:
	v_mov_b32_e32 v0, 0
	global_store_b32 v0, v4, s[10:11]
.LBB27_131:
	s_nop 0
	s_sendmsg sendmsg(MSG_DEALLOC_VGPRS)
	s_endpgm
.LBB27_132:
	global_load_b32 v20, v[17:18], off
	v_dual_mov_b32 v1, s16 :: v_dual_mov_b32 v2, s17
	v_dual_mov_b32 v3, s18 :: v_dual_mov_b32 v4, s19
	v_dual_mov_b32 v5, s20 :: v_dual_mov_b32 v6, s21
	v_dual_mov_b32 v7, s22 :: v_dual_mov_b32 v8, s23
	v_dual_mov_b32 v9, s24 :: v_dual_mov_b32 v10, s25
	v_dual_mov_b32 v11, s26 :: v_dual_mov_b32 v12, s27
	v_dual_mov_b32 v13, s28 :: v_dual_mov_b32 v14, s29
	v_dual_mov_b32 v15, s30 :: v_dual_mov_b32 v16, s31
                                        ; kill: def $vgpr1 killed $vgpr20 killed $exec
	s_or_b32 exec_lo, exec_lo, s3
	s_delay_alu instid0(SALU_CYCLE_1)
	s_mov_b32 s2, exec_lo
	v_cmpx_gt_u32_e64 s14, v47
	s_cbranch_execz .LBB27_5
.LBB27_133:
	global_load_b32 v2, v[17:18], off offset:256
	s_or_b32 exec_lo, exec_lo, s2
	s_delay_alu instid0(SALU_CYCLE_1)
	s_mov_b32 s2, exec_lo
	v_cmpx_gt_u32_e64 s14, v46
	s_cbranch_execz .LBB27_6
.LBB27_134:
	global_load_b32 v3, v[17:18], off offset:512
	s_or_b32 exec_lo, exec_lo, s2
	s_delay_alu instid0(SALU_CYCLE_1)
	s_mov_b32 s2, exec_lo
	v_cmpx_gt_u32_e64 s14, v45
	s_cbranch_execz .LBB27_7
.LBB27_135:
	global_load_b32 v4, v[17:18], off offset:768
	s_or_b32 exec_lo, exec_lo, s2
	s_delay_alu instid0(SALU_CYCLE_1)
	s_mov_b32 s2, exec_lo
	v_cmpx_gt_u32_e64 s14, v44
	s_cbranch_execz .LBB27_8
.LBB27_136:
	global_load_b32 v5, v[17:18], off offset:1024
	s_or_b32 exec_lo, exec_lo, s2
	s_delay_alu instid0(SALU_CYCLE_1)
	s_mov_b32 s2, exec_lo
	v_cmpx_gt_u32_e64 s14, v43
	s_cbranch_execz .LBB27_9
.LBB27_137:
	global_load_b32 v6, v[17:18], off offset:1280
	s_or_b32 exec_lo, exec_lo, s2
	s_delay_alu instid0(SALU_CYCLE_1)
	s_mov_b32 s2, exec_lo
	v_cmpx_gt_u32_e64 s14, v42
	s_cbranch_execz .LBB27_10
.LBB27_138:
	global_load_b32 v7, v[17:18], off offset:1536
	s_or_b32 exec_lo, exec_lo, s2
	s_delay_alu instid0(SALU_CYCLE_1)
	s_mov_b32 s2, exec_lo
	v_cmpx_gt_u32_e64 s14, v41
	s_cbranch_execz .LBB27_11
.LBB27_139:
	global_load_b32 v8, v[17:18], off offset:1792
	s_or_b32 exec_lo, exec_lo, s2
	s_delay_alu instid0(SALU_CYCLE_1)
	s_mov_b32 s2, exec_lo
	v_cmpx_gt_u32_e64 s14, v40
	s_cbranch_execz .LBB27_12
.LBB27_140:
	global_load_b32 v9, v[17:18], off offset:2048
	s_or_b32 exec_lo, exec_lo, s2
	s_delay_alu instid0(SALU_CYCLE_1)
	s_mov_b32 s2, exec_lo
	v_cmpx_gt_u32_e64 s14, v39
	s_cbranch_execz .LBB27_13
.LBB27_141:
	global_load_b32 v10, v[17:18], off offset:2304
	s_or_b32 exec_lo, exec_lo, s2
	s_delay_alu instid0(SALU_CYCLE_1)
	s_mov_b32 s2, exec_lo
	v_cmpx_gt_u32_e64 s14, v38
	s_cbranch_execz .LBB27_14
.LBB27_142:
	global_load_b32 v11, v[17:18], off offset:2560
	s_or_b32 exec_lo, exec_lo, s2
	s_delay_alu instid0(SALU_CYCLE_1)
	s_mov_b32 s2, exec_lo
	v_cmpx_gt_u32_e64 s14, v37
	s_cbranch_execz .LBB27_15
.LBB27_143:
	global_load_b32 v12, v[17:18], off offset:2816
	s_or_b32 exec_lo, exec_lo, s2
	s_delay_alu instid0(SALU_CYCLE_1)
	s_mov_b32 s2, exec_lo
	v_cmpx_gt_u32_e64 s14, v36
	s_cbranch_execz .LBB27_16
.LBB27_144:
	global_load_b32 v13, v[17:18], off offset:3072
	s_or_b32 exec_lo, exec_lo, s2
	s_delay_alu instid0(SALU_CYCLE_1)
	s_mov_b32 s2, exec_lo
	v_cmpx_gt_u32_e64 s14, v35
	s_cbranch_execz .LBB27_17
.LBB27_145:
	global_load_b32 v14, v[17:18], off offset:3328
	s_or_b32 exec_lo, exec_lo, s2
	s_delay_alu instid0(SALU_CYCLE_1)
	s_mov_b32 s2, exec_lo
	v_cmpx_gt_u32_e64 s14, v34
	s_cbranch_execz .LBB27_18
.LBB27_146:
	global_load_b32 v15, v[17:18], off offset:3584
	s_or_b32 exec_lo, exec_lo, s2
	s_delay_alu instid0(SALU_CYCLE_1)
	s_mov_b32 s2, exec_lo
	v_cmpx_gt_u32_e64 s14, v33
	s_cbranch_execnz .LBB27_19
	s_branch .LBB27_20
.LBB27_147:
	s_waitcnt lgkmcnt(15)
	global_store_b32 v[2:3], v5, off
	s_or_b32 exec_lo, exec_lo, s2
	s_delay_alu instid0(SALU_CYCLE_1)
	s_mov_b32 s2, exec_lo
	v_cmpx_gt_u32_e64 s14, v47
	s_cbranch_execz .LBB27_61
.LBB27_148:
	s_waitcnt lgkmcnt(14)
	global_store_b32 v[2:3], v4, off offset:256
	s_or_b32 exec_lo, exec_lo, s2
	s_delay_alu instid0(SALU_CYCLE_1)
	s_mov_b32 s2, exec_lo
	v_cmpx_gt_u32_e64 s14, v46
	s_cbranch_execz .LBB27_62
.LBB27_149:
	s_waitcnt lgkmcnt(13)
	global_store_b32 v[2:3], v6, off offset:512
	s_or_b32 exec_lo, exec_lo, s2
	s_delay_alu instid0(SALU_CYCLE_1)
	s_mov_b32 s2, exec_lo
	v_cmpx_gt_u32_e64 s14, v45
	s_cbranch_execz .LBB27_63
.LBB27_150:
	s_waitcnt lgkmcnt(12)
	global_store_b32 v[2:3], v7, off offset:768
	s_or_b32 exec_lo, exec_lo, s2
	s_delay_alu instid0(SALU_CYCLE_1)
	s_mov_b32 s2, exec_lo
	v_cmpx_gt_u32_e64 s14, v44
	s_cbranch_execz .LBB27_64
.LBB27_151:
	s_waitcnt lgkmcnt(11)
	global_store_b32 v[2:3], v8, off offset:1024
	s_or_b32 exec_lo, exec_lo, s2
	s_delay_alu instid0(SALU_CYCLE_1)
	s_mov_b32 s2, exec_lo
	v_cmpx_gt_u32_e64 s14, v43
	s_cbranch_execz .LBB27_65
.LBB27_152:
	s_waitcnt lgkmcnt(10)
	global_store_b32 v[2:3], v9, off offset:1280
	s_or_b32 exec_lo, exec_lo, s2
	s_delay_alu instid0(SALU_CYCLE_1)
	s_mov_b32 s2, exec_lo
	v_cmpx_gt_u32_e64 s14, v42
	s_cbranch_execz .LBB27_66
.LBB27_153:
	s_waitcnt lgkmcnt(9)
	global_store_b32 v[2:3], v10, off offset:1536
	s_or_b32 exec_lo, exec_lo, s2
	s_delay_alu instid0(SALU_CYCLE_1)
	s_mov_b32 s2, exec_lo
	v_cmpx_gt_u32_e64 s14, v41
	s_cbranch_execz .LBB27_67
.LBB27_154:
	s_waitcnt lgkmcnt(8)
	global_store_b32 v[2:3], v11, off offset:1792
	s_or_b32 exec_lo, exec_lo, s2
	s_delay_alu instid0(SALU_CYCLE_1)
	s_mov_b32 s2, exec_lo
	v_cmpx_gt_u32_e64 s14, v40
	s_cbranch_execz .LBB27_68
.LBB27_155:
	s_waitcnt lgkmcnt(7)
	global_store_b32 v[2:3], v12, off offset:2048
	s_or_b32 exec_lo, exec_lo, s2
	s_delay_alu instid0(SALU_CYCLE_1)
	s_mov_b32 s2, exec_lo
	v_cmpx_gt_u32_e64 s14, v39
	s_cbranch_execz .LBB27_69
.LBB27_156:
	s_waitcnt lgkmcnt(6)
	global_store_b32 v[2:3], v13, off offset:2304
	s_or_b32 exec_lo, exec_lo, s2
	s_delay_alu instid0(SALU_CYCLE_1)
	s_mov_b32 s2, exec_lo
	v_cmpx_gt_u32_e64 s14, v38
	s_cbranch_execz .LBB27_70
.LBB27_157:
	s_waitcnt lgkmcnt(5)
	global_store_b32 v[2:3], v14, off offset:2560
	s_or_b32 exec_lo, exec_lo, s2
	s_delay_alu instid0(SALU_CYCLE_1)
	s_mov_b32 s2, exec_lo
	v_cmpx_gt_u32_e64 s14, v37
	s_cbranch_execz .LBB27_71
.LBB27_158:
	s_waitcnt lgkmcnt(4)
	global_store_b32 v[2:3], v15, off offset:2816
	s_or_b32 exec_lo, exec_lo, s2
	s_delay_alu instid0(SALU_CYCLE_1)
	s_mov_b32 s2, exec_lo
	v_cmpx_gt_u32_e64 s14, v36
	s_cbranch_execz .LBB27_72
.LBB27_159:
	s_waitcnt lgkmcnt(3)
	global_store_b32 v[2:3], v16, off offset:3072
	s_or_b32 exec_lo, exec_lo, s2
	s_delay_alu instid0(SALU_CYCLE_1)
	s_mov_b32 s2, exec_lo
	v_cmpx_gt_u32_e64 s14, v35
	s_cbranch_execz .LBB27_73
.LBB27_160:
	s_waitcnt lgkmcnt(2)
	global_store_b32 v[2:3], v17, off offset:3328
	s_or_b32 exec_lo, exec_lo, s2
	s_delay_alu instid0(SALU_CYCLE_1)
	s_mov_b32 s2, exec_lo
	v_cmpx_gt_u32_e64 s14, v34
	s_cbranch_execz .LBB27_74
.LBB27_161:
	s_waitcnt lgkmcnt(1)
	global_store_b32 v[2:3], v18, off offset:3584
	s_or_b32 exec_lo, exec_lo, s2
	s_delay_alu instid0(SALU_CYCLE_1)
	s_mov_b32 s2, exec_lo
	v_cmpx_gt_u32_e64 s14, v33
	s_cbranch_execnz .LBB27_75
	s_branch .LBB27_76
	.section	.rodata,"a",@progbits
	.p2align	6, 0x0
	.amdhsa_kernel _ZN7rocprim17ROCPRIM_304000_NS6detail20lookback_scan_kernelILNS1_25lookback_scan_determinismE0ELb0ENS1_19wrapped_scan_configINS0_14default_configEiEEPKiPiSt4plusIiEiiNS1_19lookback_scan_stateIiLb0ELb1EEEEEvT2_T3_mT5_T4_T7_jPT6_SK_bb
		.amdhsa_group_segment_fixed_size 4224
		.amdhsa_private_segment_fixed_size 0
		.amdhsa_kernarg_size 68
		.amdhsa_user_sgpr_count 15
		.amdhsa_user_sgpr_dispatch_ptr 0
		.amdhsa_user_sgpr_queue_ptr 0
		.amdhsa_user_sgpr_kernarg_segment_ptr 1
		.amdhsa_user_sgpr_dispatch_id 0
		.amdhsa_user_sgpr_private_segment_size 0
		.amdhsa_wavefront_size32 1
		.amdhsa_uses_dynamic_stack 0
		.amdhsa_enable_private_segment 0
		.amdhsa_system_sgpr_workgroup_id_x 1
		.amdhsa_system_sgpr_workgroup_id_y 0
		.amdhsa_system_sgpr_workgroup_id_z 0
		.amdhsa_system_sgpr_workgroup_info 0
		.amdhsa_system_vgpr_workitem_id 0
		.amdhsa_next_free_vgpr 56
		.amdhsa_next_free_sgpr 35
		.amdhsa_reserve_vcc 1
		.amdhsa_float_round_mode_32 0
		.amdhsa_float_round_mode_16_64 0
		.amdhsa_float_denorm_mode_32 3
		.amdhsa_float_denorm_mode_16_64 3
		.amdhsa_dx10_clamp 1
		.amdhsa_ieee_mode 1
		.amdhsa_fp16_overflow 0
		.amdhsa_workgroup_processor_mode 1
		.amdhsa_memory_ordered 1
		.amdhsa_forward_progress 0
		.amdhsa_shared_vgpr_count 0
		.amdhsa_exception_fp_ieee_invalid_op 0
		.amdhsa_exception_fp_denorm_src 0
		.amdhsa_exception_fp_ieee_div_zero 0
		.amdhsa_exception_fp_ieee_overflow 0
		.amdhsa_exception_fp_ieee_underflow 0
		.amdhsa_exception_fp_ieee_inexact 0
		.amdhsa_exception_int_div_zero 0
	.end_amdhsa_kernel
	.section	.text._ZN7rocprim17ROCPRIM_304000_NS6detail20lookback_scan_kernelILNS1_25lookback_scan_determinismE0ELb0ENS1_19wrapped_scan_configINS0_14default_configEiEEPKiPiSt4plusIiEiiNS1_19lookback_scan_stateIiLb0ELb1EEEEEvT2_T3_mT5_T4_T7_jPT6_SK_bb,"axG",@progbits,_ZN7rocprim17ROCPRIM_304000_NS6detail20lookback_scan_kernelILNS1_25lookback_scan_determinismE0ELb0ENS1_19wrapped_scan_configINS0_14default_configEiEEPKiPiSt4plusIiEiiNS1_19lookback_scan_stateIiLb0ELb1EEEEEvT2_T3_mT5_T4_T7_jPT6_SK_bb,comdat
.Lfunc_end27:
	.size	_ZN7rocprim17ROCPRIM_304000_NS6detail20lookback_scan_kernelILNS1_25lookback_scan_determinismE0ELb0ENS1_19wrapped_scan_configINS0_14default_configEiEEPKiPiSt4plusIiEiiNS1_19lookback_scan_stateIiLb0ELb1EEEEEvT2_T3_mT5_T4_T7_jPT6_SK_bb, .Lfunc_end27-_ZN7rocprim17ROCPRIM_304000_NS6detail20lookback_scan_kernelILNS1_25lookback_scan_determinismE0ELb0ENS1_19wrapped_scan_configINS0_14default_configEiEEPKiPiSt4plusIiEiiNS1_19lookback_scan_stateIiLb0ELb1EEEEEvT2_T3_mT5_T4_T7_jPT6_SK_bb
                                        ; -- End function
	.section	.AMDGPU.csdata,"",@progbits
; Kernel info:
; codeLenInByte = 7488
; NumSgprs: 37
; NumVgprs: 56
; ScratchSize: 0
; MemoryBound: 0
; FloatMode: 240
; IeeeMode: 1
; LDSByteSize: 4224 bytes/workgroup (compile time only)
; SGPRBlocks: 4
; VGPRBlocks: 6
; NumSGPRsForWavesPerEU: 37
; NumVGPRsForWavesPerEU: 56
; Occupancy: 16
; WaveLimiterHint : 1
; COMPUTE_PGM_RSRC2:SCRATCH_EN: 0
; COMPUTE_PGM_RSRC2:USER_SGPR: 15
; COMPUTE_PGM_RSRC2:TRAP_HANDLER: 0
; COMPUTE_PGM_RSRC2:TGID_X_EN: 1
; COMPUTE_PGM_RSRC2:TGID_Y_EN: 0
; COMPUTE_PGM_RSRC2:TGID_Z_EN: 0
; COMPUTE_PGM_RSRC2:TIDIG_COMP_CNT: 0
	.section	.text._ZN7rocprim17ROCPRIM_304000_NS6detail16transform_kernelINS1_24wrapped_transform_configINS0_14default_configEiEEiPiS6_NS0_8identityIiEEEEvT1_mT2_T3_,"axG",@progbits,_ZN7rocprim17ROCPRIM_304000_NS6detail16transform_kernelINS1_24wrapped_transform_configINS0_14default_configEiEEiPiS6_NS0_8identityIiEEEEvT1_mT2_T3_,comdat
	.protected	_ZN7rocprim17ROCPRIM_304000_NS6detail16transform_kernelINS1_24wrapped_transform_configINS0_14default_configEiEEiPiS6_NS0_8identityIiEEEEvT1_mT2_T3_ ; -- Begin function _ZN7rocprim17ROCPRIM_304000_NS6detail16transform_kernelINS1_24wrapped_transform_configINS0_14default_configEiEEiPiS6_NS0_8identityIiEEEEvT1_mT2_T3_
	.globl	_ZN7rocprim17ROCPRIM_304000_NS6detail16transform_kernelINS1_24wrapped_transform_configINS0_14default_configEiEEiPiS6_NS0_8identityIiEEEEvT1_mT2_T3_
	.p2align	8
	.type	_ZN7rocprim17ROCPRIM_304000_NS6detail16transform_kernelINS1_24wrapped_transform_configINS0_14default_configEiEEiPiS6_NS0_8identityIiEEEEvT1_mT2_T3_,@function
_ZN7rocprim17ROCPRIM_304000_NS6detail16transform_kernelINS1_24wrapped_transform_configINS0_14default_configEiEEiPiS6_NS0_8identityIiEEEEvT1_mT2_T3_: ; @_ZN7rocprim17ROCPRIM_304000_NS6detail16transform_kernelINS1_24wrapped_transform_configINS0_14default_configEiEEiPiS6_NS0_8identityIiEEEEvT1_mT2_T3_
; %bb.0:
	s_clause 0x2
	s_load_b32 s2, s[0:1], 0x20
	s_load_b128 s[4:7], s[0:1], 0x0
	s_load_b64 s[16:17], s[0:1], 0x10
	s_mov_b32 s21, 0
	s_lshl_b32 s20, s15, 12
	v_lshlrev_b32_e32 v3, 2, v0
	s_lshl_b64 s[18:19], s[20:21], 2
	s_waitcnt lgkmcnt(0)
	s_add_i32 s2, s2, -1
	s_add_u32 s0, s4, s18
	s_addc_u32 s1, s5, s19
	v_add_co_u32 v1, s0, s0, v3
	s_delay_alu instid0(VALU_DEP_1)
	v_add_co_ci_u32_e64 v2, null, s1, 0, s0
	s_cmp_lg_u32 s15, s2
	s_mov_b32 s0, -1
	s_cbranch_scc0 .LBB28_2
; %bb.1:
	v_add_co_u32 v4, vcc_lo, 0x1000, v1
	v_add_co_ci_u32_e32 v5, vcc_lo, 0, v2, vcc_lo
	v_add_co_u32 v6, vcc_lo, v1, 0x2000
	v_add_co_ci_u32_e32 v7, vcc_lo, 0, v2, vcc_lo
	;; [unrolled: 2-line block ×3, first 2 shown]
	v_add_co_u32 v10, vcc_lo, 0x3000, v1
	global_load_b32 v13, v[6:7], off
	v_add_co_ci_u32_e32 v11, vcc_lo, 0, v2, vcc_lo
	s_clause 0xe
	global_load_b32 v14, v[1:2], off
	global_load_b32 v15, v[1:2], off offset:1024
	global_load_b32 v16, v[1:2], off offset:2048
	;; [unrolled: 1-line block ×9, first 2 shown]
	global_load_b32 v24, v[10:11], off
	global_load_b32 v25, v[10:11], off offset:1024
	global_load_b32 v26, v[6:7], off offset:-4096
	global_load_b32 v27, v[10:11], off offset:2048
	global_load_b32 v4, v[10:11], off offset:3072
	s_add_u32 s2, s16, s18
	s_addc_u32 s3, s17, s19
	v_add_co_u32 v11, s1, s2, v3
	s_delay_alu instid0(VALU_DEP_1) | instskip(NEXT) | instid1(VALU_DEP_2)
	v_add_co_ci_u32_e64 v12, null, s3, 0, s1
	v_add_co_u32 v5, vcc_lo, 0x1000, v11
	s_delay_alu instid0(VALU_DEP_2)
	v_add_co_ci_u32_e32 v6, vcc_lo, 0, v12, vcc_lo
	v_add_co_u32 v7, vcc_lo, v11, 0x2000
	v_add_co_ci_u32_e32 v8, vcc_lo, 0, v12, vcc_lo
	v_add_co_u32 v9, vcc_lo, 0x2000, v11
	;; [unrolled: 2-line block ×3, first 2 shown]
	s_mov_b32 s21, -1
	v_add_co_ci_u32_e32 v12, vcc_lo, 0, v12, vcc_lo
	s_waitcnt vmcnt(15)
	global_store_b32 v[7:8], v13, off
	s_waitcnt vmcnt(14)
	global_store_b32 v3, v14, s[2:3]
	s_waitcnt vmcnt(13)
	global_store_b32 v3, v15, s[2:3] offset:1024
	s_waitcnt vmcnt(12)
	global_store_b32 v3, v16, s[2:3] offset:2048
	;; [unrolled: 2-line block ×3, first 2 shown]
	s_waitcnt vmcnt(10)
	global_store_b32 v[5:6], v18, off offset:1024
	s_waitcnt vmcnt(9)
	global_store_b32 v[5:6], v19, off offset:2048
	;; [unrolled: 2-line block ×6, first 2 shown]
	s_waitcnt vmcnt(4)
	global_store_b32 v[11:12], v24, off
	s_waitcnt vmcnt(3)
	global_store_b32 v[11:12], v25, off offset:1024
	s_waitcnt vmcnt(2)
	global_store_b32 v[7:8], v26, off offset:-4096
	s_waitcnt vmcnt(1)
	global_store_b32 v[11:12], v27, off offset:2048
	s_cbranch_execz .LBB28_3
	s_branch .LBB28_52
.LBB28_2:
                                        ; implicit-def: $vgpr4
	s_and_not1_b32 vcc_lo, exec_lo, s0
	s_cbranch_vccnz .LBB28_52
.LBB28_3:
	s_sub_i32 s15, s6, s20
                                        ; implicit-def: $vgpr5
	s_delay_alu instid0(SALU_CYCLE_1)
	v_cmp_gt_u32_e32 vcc_lo, s15, v0
	s_and_saveexec_b32 s0, vcc_lo
	s_cbranch_execz .LBB28_5
; %bb.4:
	global_load_b32 v5, v[1:2], off
.LBB28_5:
	s_or_b32 exec_lo, exec_lo, s0
	s_waitcnt vmcnt(0)
	v_or_b32_e32 v4, 0x100, v0
                                        ; implicit-def: $vgpr6
	s_delay_alu instid0(VALU_DEP_1) | instskip(NEXT) | instid1(VALU_DEP_1)
	v_cmp_gt_u32_e64 s0, s15, v4
	s_and_saveexec_b32 s1, s0
	s_cbranch_execz .LBB28_7
; %bb.6:
	global_load_b32 v6, v[1:2], off offset:1024
.LBB28_7:
	s_or_b32 exec_lo, exec_lo, s1
	v_or_b32_e32 v4, 0x200, v0
                                        ; implicit-def: $vgpr7
	s_delay_alu instid0(VALU_DEP_1) | instskip(NEXT) | instid1(VALU_DEP_1)
	v_cmp_gt_u32_e64 s1, s15, v4
	s_and_saveexec_b32 s2, s1
	s_cbranch_execz .LBB28_9
; %bb.8:
	global_load_b32 v7, v[1:2], off offset:2048
.LBB28_9:
	s_or_b32 exec_lo, exec_lo, s2
	v_or_b32_e32 v4, 0x300, v0
                                        ; implicit-def: $vgpr8
	s_delay_alu instid0(VALU_DEP_1) | instskip(NEXT) | instid1(VALU_DEP_1)
	v_cmp_gt_u32_e64 s2, s15, v4
	s_and_saveexec_b32 s3, s2
	s_cbranch_execz .LBB28_11
; %bb.10:
	global_load_b32 v8, v[1:2], off offset:3072
.LBB28_11:
	s_or_b32 exec_lo, exec_lo, s3
	v_or_b32_e32 v4, 0x400, v0
                                        ; implicit-def: $vgpr9
	s_delay_alu instid0(VALU_DEP_1) | instskip(NEXT) | instid1(VALU_DEP_1)
	v_cmp_gt_u32_e64 s3, s15, v4
	s_and_saveexec_b32 s5, s3
	s_cbranch_execz .LBB28_13
; %bb.12:
	v_add_co_u32 v9, s4, 0x1000, v1
	s_delay_alu instid0(VALU_DEP_1)
	v_add_co_ci_u32_e64 v10, s4, 0, v2, s4
	global_load_b32 v9, v[9:10], off
.LBB28_13:
	s_or_b32 exec_lo, exec_lo, s5
	v_or_b32_e32 v4, 0x500, v0
                                        ; implicit-def: $vgpr10
	s_delay_alu instid0(VALU_DEP_1) | instskip(NEXT) | instid1(VALU_DEP_1)
	v_cmp_gt_u32_e64 s4, s15, v4
	s_and_saveexec_b32 s6, s4
	s_cbranch_execz .LBB28_15
; %bb.14:
	v_add_co_u32 v10, s5, 0x1000, v1
	s_delay_alu instid0(VALU_DEP_1)
	v_add_co_ci_u32_e64 v11, s5, 0, v2, s5
	global_load_b32 v10, v[10:11], off offset:1024
.LBB28_15:
	s_or_b32 exec_lo, exec_lo, s6
	v_or_b32_e32 v4, 0x600, v0
                                        ; implicit-def: $vgpr11
	s_delay_alu instid0(VALU_DEP_1) | instskip(NEXT) | instid1(VALU_DEP_1)
	v_cmp_gt_u32_e64 s5, s15, v4
	s_and_saveexec_b32 s7, s5
	s_cbranch_execz .LBB28_17
; %bb.16:
	v_add_co_u32 v11, s6, 0x1000, v1
	s_delay_alu instid0(VALU_DEP_1)
	v_add_co_ci_u32_e64 v12, s6, 0, v2, s6
	global_load_b32 v11, v[11:12], off offset:2048
.LBB28_17:
	s_or_b32 exec_lo, exec_lo, s7
	v_or_b32_e32 v4, 0x700, v0
                                        ; implicit-def: $vgpr12
	s_delay_alu instid0(VALU_DEP_1) | instskip(NEXT) | instid1(VALU_DEP_1)
	v_cmp_gt_u32_e64 s6, s15, v4
	s_and_saveexec_b32 s8, s6
	s_cbranch_execz .LBB28_19
; %bb.18:
	v_add_co_u32 v12, s7, 0x1000, v1
	s_delay_alu instid0(VALU_DEP_1)
	v_add_co_ci_u32_e64 v13, s7, 0, v2, s7
	global_load_b32 v12, v[12:13], off offset:3072
.LBB28_19:
	s_or_b32 exec_lo, exec_lo, s8
	v_or_b32_e32 v4, 0x800, v0
                                        ; implicit-def: $vgpr13
	s_delay_alu instid0(VALU_DEP_1) | instskip(NEXT) | instid1(VALU_DEP_1)
	v_cmp_gt_u32_e64 s7, s15, v4
	s_and_saveexec_b32 s9, s7
	s_cbranch_execz .LBB28_21
; %bb.20:
	v_add_co_u32 v13, s8, 0x2000, v1
	s_delay_alu instid0(VALU_DEP_1)
	v_add_co_ci_u32_e64 v14, s8, 0, v2, s8
	global_load_b32 v13, v[13:14], off
.LBB28_21:
	s_or_b32 exec_lo, exec_lo, s9
	v_or_b32_e32 v4, 0x900, v0
                                        ; implicit-def: $vgpr14
	s_delay_alu instid0(VALU_DEP_1) | instskip(NEXT) | instid1(VALU_DEP_1)
	v_cmp_gt_u32_e64 s8, s15, v4
	s_and_saveexec_b32 s10, s8
	s_cbranch_execz .LBB28_23
; %bb.22:
	v_add_co_u32 v14, s9, 0x2000, v1
	s_delay_alu instid0(VALU_DEP_1)
	v_add_co_ci_u32_e64 v15, s9, 0, v2, s9
	global_load_b32 v14, v[14:15], off offset:1024
.LBB28_23:
	s_or_b32 exec_lo, exec_lo, s10
	v_or_b32_e32 v4, 0xa00, v0
                                        ; implicit-def: $vgpr15
	s_delay_alu instid0(VALU_DEP_1) | instskip(NEXT) | instid1(VALU_DEP_1)
	v_cmp_gt_u32_e64 s9, s15, v4
	s_and_saveexec_b32 s11, s9
	s_cbranch_execz .LBB28_25
; %bb.24:
	v_add_co_u32 v15, s10, 0x2000, v1
	s_delay_alu instid0(VALU_DEP_1)
	v_add_co_ci_u32_e64 v16, s10, 0, v2, s10
	global_load_b32 v15, v[15:16], off offset:2048
.LBB28_25:
	s_or_b32 exec_lo, exec_lo, s11
	v_or_b32_e32 v4, 0xb00, v0
                                        ; implicit-def: $vgpr16
	s_delay_alu instid0(VALU_DEP_1) | instskip(NEXT) | instid1(VALU_DEP_1)
	v_cmp_gt_u32_e64 s10, s15, v4
	s_and_saveexec_b32 s12, s10
	s_cbranch_execz .LBB28_27
; %bb.26:
	v_add_co_u32 v16, s11, 0x2000, v1
	s_delay_alu instid0(VALU_DEP_1)
	v_add_co_ci_u32_e64 v17, s11, 0, v2, s11
	global_load_b32 v16, v[16:17], off offset:3072
.LBB28_27:
	s_or_b32 exec_lo, exec_lo, s12
	v_or_b32_e32 v4, 0xc00, v0
                                        ; implicit-def: $vgpr17
	s_delay_alu instid0(VALU_DEP_1) | instskip(NEXT) | instid1(VALU_DEP_1)
	v_cmp_gt_u32_e64 s11, s15, v4
	s_and_saveexec_b32 s13, s11
	s_cbranch_execz .LBB28_29
; %bb.28:
	v_add_co_u32 v17, s12, 0x3000, v1
	s_delay_alu instid0(VALU_DEP_1)
	v_add_co_ci_u32_e64 v18, s12, 0, v2, s12
	global_load_b32 v17, v[17:18], off
.LBB28_29:
	s_or_b32 exec_lo, exec_lo, s13
	v_or_b32_e32 v4, 0xd00, v0
                                        ; implicit-def: $vgpr18
	s_delay_alu instid0(VALU_DEP_1) | instskip(NEXT) | instid1(VALU_DEP_1)
	v_cmp_gt_u32_e64 s12, s15, v4
	s_and_saveexec_b32 s14, s12
	s_cbranch_execz .LBB28_31
; %bb.30:
	v_add_co_u32 v18, s13, 0x3000, v1
	s_delay_alu instid0(VALU_DEP_1)
	v_add_co_ci_u32_e64 v19, s13, 0, v2, s13
	global_load_b32 v18, v[18:19], off offset:1024
.LBB28_31:
	s_or_b32 exec_lo, exec_lo, s14
	v_or_b32_e32 v4, 0xe00, v0
                                        ; implicit-def: $vgpr19
	s_delay_alu instid0(VALU_DEP_1) | instskip(NEXT) | instid1(VALU_DEP_1)
	v_cmp_gt_u32_e64 s13, s15, v4
	s_and_saveexec_b32 s20, s13
	s_cbranch_execz .LBB28_33
; %bb.32:
	v_add_co_u32 v19, s14, 0x3000, v1
	s_delay_alu instid0(VALU_DEP_1)
	v_add_co_ci_u32_e64 v20, s14, 0, v2, s14
	global_load_b32 v19, v[19:20], off offset:2048
.LBB28_33:
	s_or_b32 exec_lo, exec_lo, s20
	v_or_b32_e32 v0, 0xf00, v0
                                        ; implicit-def: $vgpr4
	s_delay_alu instid0(VALU_DEP_1) | instskip(NEXT) | instid1(VALU_DEP_1)
	v_cmp_gt_u32_e64 s21, s15, v0
	s_and_saveexec_b32 s15, s21
	s_cbranch_execz .LBB28_35
; %bb.34:
	v_add_co_u32 v0, s14, 0x3000, v1
	s_delay_alu instid0(VALU_DEP_1)
	v_add_co_ci_u32_e64 v1, s14, 0, v2, s14
	global_load_b32 v4, v[0:1], off offset:3072
.LBB28_35:
	s_or_b32 exec_lo, exec_lo, s15
	s_add_u32 s14, s16, s18
	s_addc_u32 s15, s17, s19
	v_add_co_u32 v0, s14, s14, v3
	s_delay_alu instid0(VALU_DEP_1) | instskip(SKIP_1) | instid1(SALU_CYCLE_1)
	v_add_co_ci_u32_e64 v1, null, s15, 0, s14
	s_and_saveexec_b32 s14, vcc_lo
	s_xor_b32 s14, exec_lo, s14
	s_cbranch_execnz .LBB28_55
; %bb.36:
	s_or_b32 exec_lo, exec_lo, s14
	s_and_saveexec_b32 s14, s0
	s_cbranch_execnz .LBB28_56
.LBB28_37:
	s_or_b32 exec_lo, exec_lo, s14
	s_and_saveexec_b32 s0, s1
	s_cbranch_execnz .LBB28_57
.LBB28_38:
	s_or_b32 exec_lo, exec_lo, s0
	s_and_saveexec_b32 s0, s2
	s_cbranch_execnz .LBB28_58
.LBB28_39:
	s_or_b32 exec_lo, exec_lo, s0
	s_and_saveexec_b32 s0, s3
	s_cbranch_execnz .LBB28_59
.LBB28_40:
	s_or_b32 exec_lo, exec_lo, s0
	s_and_saveexec_b32 s0, s4
	s_cbranch_execnz .LBB28_60
.LBB28_41:
	s_or_b32 exec_lo, exec_lo, s0
	s_and_saveexec_b32 s0, s5
	s_cbranch_execnz .LBB28_61
.LBB28_42:
	s_or_b32 exec_lo, exec_lo, s0
	s_and_saveexec_b32 s0, s6
	s_cbranch_execnz .LBB28_62
.LBB28_43:
	s_or_b32 exec_lo, exec_lo, s0
	s_and_saveexec_b32 s0, s7
	s_cbranch_execnz .LBB28_63
.LBB28_44:
	s_or_b32 exec_lo, exec_lo, s0
	s_and_saveexec_b32 s0, s8
	s_cbranch_execnz .LBB28_64
.LBB28_45:
	s_or_b32 exec_lo, exec_lo, s0
	s_and_saveexec_b32 s0, s9
	s_cbranch_execnz .LBB28_65
.LBB28_46:
	s_or_b32 exec_lo, exec_lo, s0
	s_and_saveexec_b32 s0, s10
	s_cbranch_execnz .LBB28_66
.LBB28_47:
	s_or_b32 exec_lo, exec_lo, s0
	s_and_saveexec_b32 s0, s11
	s_cbranch_execnz .LBB28_67
.LBB28_48:
	s_or_b32 exec_lo, exec_lo, s0
	s_and_saveexec_b32 s0, s12
	s_cbranch_execnz .LBB28_68
.LBB28_49:
	s_or_b32 exec_lo, exec_lo, s0
	s_and_saveexec_b32 s0, s13
	s_cbranch_execz .LBB28_51
.LBB28_50:
	v_add_co_u32 v0, vcc_lo, 0x3000, v0
	v_add_co_ci_u32_e32 v1, vcc_lo, 0, v1, vcc_lo
	s_waitcnt vmcnt(0)
	global_store_b32 v[0:1], v19, off offset:2048
.LBB28_51:
	s_or_b32 exec_lo, exec_lo, s0
.LBB28_52:
	s_and_saveexec_b32 s0, s21
	s_cbranch_execnz .LBB28_54
; %bb.53:
	s_nop 0
	s_sendmsg sendmsg(MSG_DEALLOC_VGPRS)
	s_endpgm
.LBB28_54:
	s_add_u32 s0, s16, s18
	s_addc_u32 s1, s17, s19
	v_add_co_u32 v0, s0, s0, v3
	s_delay_alu instid0(VALU_DEP_1) | instskip(NEXT) | instid1(VALU_DEP_2)
	v_add_co_ci_u32_e64 v1, null, s1, 0, s0
	v_add_co_u32 v0, vcc_lo, 0x3000, v0
	s_delay_alu instid0(VALU_DEP_2)
	v_add_co_ci_u32_e32 v1, vcc_lo, 0, v1, vcc_lo
	s_waitcnt vmcnt(0)
	global_store_b32 v[0:1], v4, off offset:3072
	s_nop 0
	s_sendmsg sendmsg(MSG_DEALLOC_VGPRS)
	s_endpgm
.LBB28_55:
	global_store_b32 v[0:1], v5, off
	s_or_b32 exec_lo, exec_lo, s14
	s_and_saveexec_b32 s14, s0
	s_cbranch_execz .LBB28_37
.LBB28_56:
	s_waitcnt vmcnt(0)
	global_store_b32 v[0:1], v6, off offset:1024
	s_or_b32 exec_lo, exec_lo, s14
	s_and_saveexec_b32 s0, s1
	s_cbranch_execz .LBB28_38
.LBB28_57:
	s_waitcnt vmcnt(0)
	global_store_b32 v[0:1], v7, off offset:2048
	s_or_b32 exec_lo, exec_lo, s0
	s_and_saveexec_b32 s0, s2
	s_cbranch_execz .LBB28_39
.LBB28_58:
	s_waitcnt vmcnt(0)
	global_store_b32 v[0:1], v8, off offset:3072
	s_or_b32 exec_lo, exec_lo, s0
	s_and_saveexec_b32 s0, s3
	s_cbranch_execz .LBB28_40
.LBB28_59:
	v_add_co_u32 v5, vcc_lo, 0x1000, v0
	s_waitcnt vmcnt(0)
	v_add_co_ci_u32_e32 v6, vcc_lo, 0, v1, vcc_lo
	global_store_b32 v[5:6], v9, off
	s_or_b32 exec_lo, exec_lo, s0
	s_and_saveexec_b32 s0, s4
	s_cbranch_execz .LBB28_41
.LBB28_60:
	v_add_co_u32 v5, vcc_lo, 0x1000, v0
	s_waitcnt vmcnt(0)
	v_add_co_ci_u32_e32 v6, vcc_lo, 0, v1, vcc_lo
	global_store_b32 v[5:6], v10, off offset:1024
	s_or_b32 exec_lo, exec_lo, s0
	s_and_saveexec_b32 s0, s5
	s_cbranch_execz .LBB28_42
.LBB28_61:
	v_add_co_u32 v5, vcc_lo, 0x1000, v0
	s_waitcnt vmcnt(0)
	v_add_co_ci_u32_e32 v6, vcc_lo, 0, v1, vcc_lo
	global_store_b32 v[5:6], v11, off offset:2048
	s_or_b32 exec_lo, exec_lo, s0
	s_and_saveexec_b32 s0, s6
	s_cbranch_execz .LBB28_43
.LBB28_62:
	v_add_co_u32 v5, vcc_lo, 0x1000, v0
	s_waitcnt vmcnt(0)
	v_add_co_ci_u32_e32 v6, vcc_lo, 0, v1, vcc_lo
	global_store_b32 v[5:6], v12, off offset:3072
	s_or_b32 exec_lo, exec_lo, s0
	s_and_saveexec_b32 s0, s7
	s_cbranch_execz .LBB28_44
.LBB28_63:
	v_add_co_u32 v5, vcc_lo, 0x2000, v0
	s_waitcnt vmcnt(0)
	v_add_co_ci_u32_e32 v6, vcc_lo, 0, v1, vcc_lo
	global_store_b32 v[5:6], v13, off
	s_or_b32 exec_lo, exec_lo, s0
	s_and_saveexec_b32 s0, s8
	s_cbranch_execz .LBB28_45
.LBB28_64:
	v_add_co_u32 v5, vcc_lo, 0x2000, v0
	s_waitcnt vmcnt(0)
	v_add_co_ci_u32_e32 v6, vcc_lo, 0, v1, vcc_lo
	global_store_b32 v[5:6], v14, off offset:1024
	s_or_b32 exec_lo, exec_lo, s0
	s_and_saveexec_b32 s0, s9
	s_cbranch_execz .LBB28_46
.LBB28_65:
	v_add_co_u32 v5, vcc_lo, 0x2000, v0
	s_waitcnt vmcnt(0)
	v_add_co_ci_u32_e32 v6, vcc_lo, 0, v1, vcc_lo
	global_store_b32 v[5:6], v15, off offset:2048
	s_or_b32 exec_lo, exec_lo, s0
	s_and_saveexec_b32 s0, s10
	s_cbranch_execz .LBB28_47
.LBB28_66:
	v_add_co_u32 v5, vcc_lo, 0x2000, v0
	s_waitcnt vmcnt(0)
	v_add_co_ci_u32_e32 v6, vcc_lo, 0, v1, vcc_lo
	global_store_b32 v[5:6], v16, off offset:3072
	s_or_b32 exec_lo, exec_lo, s0
	s_and_saveexec_b32 s0, s11
	s_cbranch_execz .LBB28_48
.LBB28_67:
	v_add_co_u32 v5, vcc_lo, 0x3000, v0
	s_waitcnt vmcnt(0)
	v_add_co_ci_u32_e32 v6, vcc_lo, 0, v1, vcc_lo
	global_store_b32 v[5:6], v17, off
	s_or_b32 exec_lo, exec_lo, s0
	s_and_saveexec_b32 s0, s12
	s_cbranch_execz .LBB28_49
.LBB28_68:
	v_add_co_u32 v5, vcc_lo, 0x3000, v0
	s_waitcnt vmcnt(0)
	v_add_co_ci_u32_e32 v6, vcc_lo, 0, v1, vcc_lo
	global_store_b32 v[5:6], v18, off offset:1024
	s_or_b32 exec_lo, exec_lo, s0
	s_and_saveexec_b32 s0, s13
	s_cbranch_execnz .LBB28_50
	s_branch .LBB28_51
	.section	.rodata,"a",@progbits
	.p2align	6, 0x0
	.amdhsa_kernel _ZN7rocprim17ROCPRIM_304000_NS6detail16transform_kernelINS1_24wrapped_transform_configINS0_14default_configEiEEiPiS6_NS0_8identityIiEEEEvT1_mT2_T3_
		.amdhsa_group_segment_fixed_size 0
		.amdhsa_private_segment_fixed_size 0
		.amdhsa_kernarg_size 288
		.amdhsa_user_sgpr_count 15
		.amdhsa_user_sgpr_dispatch_ptr 0
		.amdhsa_user_sgpr_queue_ptr 0
		.amdhsa_user_sgpr_kernarg_segment_ptr 1
		.amdhsa_user_sgpr_dispatch_id 0
		.amdhsa_user_sgpr_private_segment_size 0
		.amdhsa_wavefront_size32 1
		.amdhsa_uses_dynamic_stack 0
		.amdhsa_enable_private_segment 0
		.amdhsa_system_sgpr_workgroup_id_x 1
		.amdhsa_system_sgpr_workgroup_id_y 0
		.amdhsa_system_sgpr_workgroup_id_z 0
		.amdhsa_system_sgpr_workgroup_info 0
		.amdhsa_system_vgpr_workitem_id 0
		.amdhsa_next_free_vgpr 28
		.amdhsa_next_free_sgpr 22
		.amdhsa_reserve_vcc 1
		.amdhsa_float_round_mode_32 0
		.amdhsa_float_round_mode_16_64 0
		.amdhsa_float_denorm_mode_32 3
		.amdhsa_float_denorm_mode_16_64 3
		.amdhsa_dx10_clamp 1
		.amdhsa_ieee_mode 1
		.amdhsa_fp16_overflow 0
		.amdhsa_workgroup_processor_mode 1
		.amdhsa_memory_ordered 1
		.amdhsa_forward_progress 0
		.amdhsa_shared_vgpr_count 0
		.amdhsa_exception_fp_ieee_invalid_op 0
		.amdhsa_exception_fp_denorm_src 0
		.amdhsa_exception_fp_ieee_div_zero 0
		.amdhsa_exception_fp_ieee_overflow 0
		.amdhsa_exception_fp_ieee_underflow 0
		.amdhsa_exception_fp_ieee_inexact 0
		.amdhsa_exception_int_div_zero 0
	.end_amdhsa_kernel
	.section	.text._ZN7rocprim17ROCPRIM_304000_NS6detail16transform_kernelINS1_24wrapped_transform_configINS0_14default_configEiEEiPiS6_NS0_8identityIiEEEEvT1_mT2_T3_,"axG",@progbits,_ZN7rocprim17ROCPRIM_304000_NS6detail16transform_kernelINS1_24wrapped_transform_configINS0_14default_configEiEEiPiS6_NS0_8identityIiEEEEvT1_mT2_T3_,comdat
.Lfunc_end28:
	.size	_ZN7rocprim17ROCPRIM_304000_NS6detail16transform_kernelINS1_24wrapped_transform_configINS0_14default_configEiEEiPiS6_NS0_8identityIiEEEEvT1_mT2_T3_, .Lfunc_end28-_ZN7rocprim17ROCPRIM_304000_NS6detail16transform_kernelINS1_24wrapped_transform_configINS0_14default_configEiEEiPiS6_NS0_8identityIiEEEEvT1_mT2_T3_
                                        ; -- End function
	.section	.AMDGPU.csdata,"",@progbits
; Kernel info:
; codeLenInByte = 2336
; NumSgprs: 24
; NumVgprs: 28
; ScratchSize: 0
; MemoryBound: 0
; FloatMode: 240
; IeeeMode: 1
; LDSByteSize: 0 bytes/workgroup (compile time only)
; SGPRBlocks: 2
; VGPRBlocks: 3
; NumSGPRsForWavesPerEU: 24
; NumVGPRsForWavesPerEU: 28
; Occupancy: 16
; WaveLimiterHint : 1
; COMPUTE_PGM_RSRC2:SCRATCH_EN: 0
; COMPUTE_PGM_RSRC2:USER_SGPR: 15
; COMPUTE_PGM_RSRC2:TRAP_HANDLER: 0
; COMPUTE_PGM_RSRC2:TGID_X_EN: 1
; COMPUTE_PGM_RSRC2:TGID_Y_EN: 0
; COMPUTE_PGM_RSRC2:TGID_Z_EN: 0
; COMPUTE_PGM_RSRC2:TIDIG_COMP_CNT: 0
	.section	.text._ZN7rocprim17ROCPRIM_304000_NS6detail18single_scan_kernelILb0ENS1_19wrapped_scan_configINS0_14default_configEiEEPKiPiSt4plusIiEiiEEvT1_mT4_T2_T3_,"axG",@progbits,_ZN7rocprim17ROCPRIM_304000_NS6detail18single_scan_kernelILb0ENS1_19wrapped_scan_configINS0_14default_configEiEEPKiPiSt4plusIiEiiEEvT1_mT4_T2_T3_,comdat
	.protected	_ZN7rocprim17ROCPRIM_304000_NS6detail18single_scan_kernelILb0ENS1_19wrapped_scan_configINS0_14default_configEiEEPKiPiSt4plusIiEiiEEvT1_mT4_T2_T3_ ; -- Begin function _ZN7rocprim17ROCPRIM_304000_NS6detail18single_scan_kernelILb0ENS1_19wrapped_scan_configINS0_14default_configEiEEPKiPiSt4plusIiEiiEEvT1_mT4_T2_T3_
	.globl	_ZN7rocprim17ROCPRIM_304000_NS6detail18single_scan_kernelILb0ENS1_19wrapped_scan_configINS0_14default_configEiEEPKiPiSt4plusIiEiiEEvT1_mT4_T2_T3_
	.p2align	8
	.type	_ZN7rocprim17ROCPRIM_304000_NS6detail18single_scan_kernelILb0ENS1_19wrapped_scan_configINS0_14default_configEiEEPKiPiSt4plusIiEiiEEvT1_mT4_T2_T3_,@function
_ZN7rocprim17ROCPRIM_304000_NS6detail18single_scan_kernelILb0ENS1_19wrapped_scan_configINS0_14default_configEiEEPKiPiSt4plusIiEiiEEvT1_mT4_T2_T3_: ; @_ZN7rocprim17ROCPRIM_304000_NS6detail18single_scan_kernelILb0ENS1_19wrapped_scan_configINS0_14default_configEiEEPKiPiSt4plusIiEiiEEvT1_mT4_T2_T3_
; %bb.0:
	s_load_b128 s[20:23], s[0:1], 0x0
	s_waitcnt lgkmcnt(0)
	s_load_b32 s4, s[20:21], 0x0
	v_cmp_gt_u32_e32 vcc_lo, s22, v0
	s_waitcnt lgkmcnt(0)
	s_mov_b32 s5, s4
	s_mov_b32 s6, s4
	;; [unrolled: 1-line block ×15, first 2 shown]
	v_lshlrev_b32_e32 v19, 2, v0
	v_dual_mov_b32 v1, s4 :: v_dual_mov_b32 v4, s7
	v_dual_mov_b32 v2, s5 :: v_dual_mov_b32 v3, s6
	v_mov_b32_e32 v6, s9
	s_delay_alu instid0(VALU_DEP_4) | instskip(NEXT) | instid1(VALU_DEP_1)
	v_add_co_u32 v17, s2, s20, v19
	v_add_co_ci_u32_e64 v18, null, s21, 0, s2
	v_dual_mov_b32 v5, s8 :: v_dual_mov_b32 v8, s11
	v_dual_mov_b32 v7, s10 :: v_dual_mov_b32 v10, s13
	;; [unrolled: 1-line block ×6, first 2 shown]
	s_and_saveexec_b32 s2, vcc_lo
	s_cbranch_execz .LBB29_2
; %bb.1:
	global_load_b32 v20, v[17:18], off
	v_dual_mov_b32 v1, s4 :: v_dual_mov_b32 v2, s5
	v_dual_mov_b32 v3, s6 :: v_dual_mov_b32 v4, s7
	;; [unrolled: 1-line block ×8, first 2 shown]
                                        ; kill: def $vgpr1 killed $vgpr20 killed $exec
.LBB29_2:
	s_or_b32 exec_lo, exec_lo, s2
	v_or_b32_e32 v1, 64, v0
	s_delay_alu instid0(VALU_DEP_1) | instskip(NEXT) | instid1(VALU_DEP_1)
	v_cmp_gt_u32_e64 s2, s22, v1
	s_and_saveexec_b32 s3, s2
	s_cbranch_execz .LBB29_4
; %bb.3:
	global_load_b32 v2, v[17:18], off offset:256
.LBB29_4:
	s_or_b32 exec_lo, exec_lo, s3
	v_or_b32_e32 v21, 0x80, v0
	s_delay_alu instid0(VALU_DEP_1) | instskip(NEXT) | instid1(VALU_DEP_1)
	v_cmp_gt_u32_e64 s3, s22, v21
	s_and_saveexec_b32 s4, s3
	s_cbranch_execz .LBB29_6
; %bb.5:
	global_load_b32 v3, v[17:18], off offset:512
.LBB29_6:
	;; [unrolled: 9-line block ×15, first 2 shown]
	s_or_b32 exec_lo, exec_lo, s17
	v_lshrrev_b32_e32 v17, 3, v0
	v_lshrrev_b32_e32 v1, 3, v1
	;; [unrolled: 1-line block ×5, first 2 shown]
	v_and_b32_e32 v17, 4, v17
	v_and_b32_e32 v1, 12, v1
	v_lshrrev_b32_e32 v23, 3, v24
	v_and_b32_e32 v24, 28, v18
	v_and_b32_e32 v22, 60, v22
	v_add_nc_u32_e32 v17, v17, v19
	v_add_nc_u32_e32 v18, v1, v19
	v_and_b32_e32 v1, 28, v21
	v_add_nc_u32_e32 v21, v24, v19
	v_add_nc_u32_e32 v22, v22, v19
	s_waitcnt vmcnt(0)
	ds_store_b32 v17, v20
	ds_store_b32 v18, v2 offset:256
	v_and_b32_e32 v2, 60, v23
	v_add_nc_u32_e32 v20, v1, v19
	v_lshrrev_b32_e32 v1, 3, v25
	ds_store_b32 v21, v3 offset:512
	v_lshrrev_b32_e32 v3, 3, v27
	v_add_nc_u32_e32 v23, v2, v19
	v_lshrrev_b32_e32 v2, 3, v26
	v_and_b32_e32 v1, 60, v1
	ds_store_b32 v20, v4 offset:768
	ds_store_b32 v22, v5 offset:1024
	v_and_b32_e32 v3, 0x7c, v3
	v_lshrrev_b32_e32 v4, 3, v28
	ds_store_b32 v23, v6 offset:1280
	v_add_nc_u32_e32 v24, v1, v19
	v_and_b32_e32 v1, 60, v2
	v_lshrrev_b32_e32 v2, 3, v29
	v_add_nc_u32_e32 v26, v3, v19
	v_lshrrev_b32_e32 v3, 3, v32
	v_and_b32_e32 v4, 0x7c, v4
	v_add_nc_u32_e32 v25, v1, v19
	v_and_b32_e32 v1, 0x7c, v2
	v_lshrrev_b32_e32 v2, 3, v30
	v_and_b32_e32 v3, 0x7c, v3
	v_add_nc_u32_e32 v27, v4, v19
	v_lshrrev_b32_e32 v4, 3, v33
	v_add_nc_u32_e32 v28, v1, v19
	v_and_b32_e32 v1, 0x7c, v2
	v_lshrrev_b32_e32 v2, 3, v31
	v_add_nc_u32_e32 v31, v3, v19
	v_lshrrev_b32_e32 v3, 1, v0
	v_and_b32_e32 v4, 0x7c, v4
	v_add_nc_u32_e32 v29, v1, v19
	v_and_b32_e32 v1, 0x7c, v2
	v_lshrrev_b32_e32 v2, 3, v34
	ds_store_b32 v24, v7 offset:1536
	v_add_nc_u32_e32 v32, v4, v19
	ds_store_b32 v25, v8 offset:1792
	v_add_nc_u32_e32 v30, v1, v19
	v_and_b32_e32 v1, 0x7c, v2
	v_lshlrev_b32_e32 v2, 4, v0
	ds_store_b32 v26, v9 offset:2048
	ds_store_b32 v27, v10 offset:2304
	;; [unrolled: 1-line block ×4, first 2 shown]
	v_add_nc_u32_e32 v33, v1, v19
	v_add_lshl_u32 v34, v3, v2, 2
	ds_store_b32 v30, v13 offset:3072
	ds_store_b32 v31, v14 offset:3328
	;; [unrolled: 1-line block ×3, first 2 shown]
	s_mov_b32 s18, exec_lo
	ds_store_b32 v33, v16 offset:3840
	s_waitcnt lgkmcnt(0)
	s_barrier
	buffer_gl0_inv
	ds_load_2addr_b32 v[9:10], v34 offset1:1
	ds_load_2addr_b32 v[7:8], v34 offset0:2 offset1:3
	ds_load_2addr_b32 v[3:4], v34 offset0:4 offset1:5
	;; [unrolled: 1-line block ×5, first 2 shown]
	s_waitcnt lgkmcnt(5)
	v_add_nc_u32_e32 v5, v10, v9
	s_waitcnt lgkmcnt(4)
	s_delay_alu instid0(VALU_DEP_1) | instskip(SKIP_1) | instid1(VALU_DEP_1)
	v_add3_u32 v5, v5, v7, v8
	s_waitcnt lgkmcnt(3)
	v_add3_u32 v35, v5, v3, v4
	ds_load_2addr_b32 v[15:16], v34 offset0:12 offset1:13
	ds_load_2addr_b32 v[5:6], v34 offset0:14 offset1:15
	s_waitcnt lgkmcnt(0)
	s_barrier
	buffer_gl0_inv
	v_add3_u32 v35, v35, v1, v2
	s_delay_alu instid0(VALU_DEP_1) | instskip(NEXT) | instid1(VALU_DEP_1)
	v_add3_u32 v35, v35, v11, v12
	v_add3_u32 v35, v35, v13, v14
	s_delay_alu instid0(VALU_DEP_1) | instskip(NEXT) | instid1(VALU_DEP_1)
	v_add3_u32 v35, v35, v15, v16
	v_add3_u32 v35, v35, v5, v6
	ds_store_b32 v17, v35
	s_waitcnt lgkmcnt(0)
	s_barrier
	buffer_gl0_inv
	v_cmpx_gt_u32_e32 32, v0
	s_cbranch_execz .LBB29_34
; %bb.33:
	v_lshrrev_b32_e32 v36, 2, v0
	v_mbcnt_lo_u32_b32 v39, -1, 0
	s_delay_alu instid0(VALU_DEP_2) | instskip(NEXT) | instid1(VALU_DEP_2)
	v_and_b32_e32 v36, 12, v36
	v_and_b32_e32 v41, 15, v39
	v_add_nc_u32_e32 v43, -1, v39
	s_delay_alu instid0(VALU_DEP_3) | instskip(NEXT) | instid1(VALU_DEP_3)
	v_lshl_or_b32 v38, v0, 3, v36
	v_cmp_ne_u32_e64 s17, 0, v41
	ds_load_2addr_b32 v[36:37], v38 offset1:1
	s_waitcnt lgkmcnt(0)
	v_add_nc_u32_e32 v40, v37, v36
	s_delay_alu instid0(VALU_DEP_1) | instskip(NEXT) | instid1(VALU_DEP_1)
	v_mov_b32_dpp v42, v40 row_shr:1 row_mask:0xf bank_mask:0xf
	v_cndmask_b32_e64 v42, 0, v42, s17
	v_cmp_lt_u32_e64 s17, 1, v41
	s_delay_alu instid0(VALU_DEP_2) | instskip(NEXT) | instid1(VALU_DEP_1)
	v_add_nc_u32_e32 v40, v42, v40
	v_mov_b32_dpp v42, v40 row_shr:2 row_mask:0xf bank_mask:0xf
	s_delay_alu instid0(VALU_DEP_1) | instskip(SKIP_1) | instid1(VALU_DEP_2)
	v_cndmask_b32_e64 v42, 0, v42, s17
	v_cmp_lt_u32_e64 s17, 3, v41
	v_add_nc_u32_e32 v40, v40, v42
	s_delay_alu instid0(VALU_DEP_1) | instskip(NEXT) | instid1(VALU_DEP_1)
	v_mov_b32_dpp v42, v40 row_shr:4 row_mask:0xf bank_mask:0xf
	v_cndmask_b32_e64 v42, 0, v42, s17
	v_cmp_lt_u32_e64 s17, 7, v41
	s_delay_alu instid0(VALU_DEP_2) | instskip(NEXT) | instid1(VALU_DEP_1)
	v_add_nc_u32_e32 v40, v40, v42
	v_mov_b32_dpp v42, v40 row_shr:8 row_mask:0xf bank_mask:0xf
	s_delay_alu instid0(VALU_DEP_1) | instskip(SKIP_2) | instid1(VALU_DEP_3)
	v_cndmask_b32_e64 v41, 0, v42, s17
	v_bfe_i32 v42, v39, 4, 1
	v_cmp_gt_i32_e64 s17, 0, v43
	v_add_nc_u32_e32 v40, v40, v41
	s_delay_alu instid0(VALU_DEP_2)
	v_cndmask_b32_e64 v39, v43, v39, s17
	v_cmp_eq_u32_e64 s17, 0, v0
	ds_swizzle_b32 v41, v40 offset:swizzle(BROADCAST,32,15)
	v_lshlrev_b32_e32 v39, 2, v39
	s_waitcnt lgkmcnt(0)
	v_and_b32_e32 v41, v42, v41
	s_delay_alu instid0(VALU_DEP_1) | instskip(SKIP_3) | instid1(VALU_DEP_1)
	v_add_nc_u32_e32 v40, v40, v41
	ds_bpermute_b32 v39, v39, v40
	s_waitcnt lgkmcnt(0)
	v_add_nc_u32_e32 v36, v39, v36
	v_cndmask_b32_e64 v35, v36, v35, s17
	s_delay_alu instid0(VALU_DEP_1)
	v_add_nc_u32_e32 v36, v35, v37
	ds_store_2addr_b32 v38, v35, v36 offset1:1
.LBB29_34:
	s_or_b32 exec_lo, exec_lo, s18
	v_mov_b32_e32 v35, 0
	s_mov_b32 s18, exec_lo
	s_waitcnt lgkmcnt(0)
	s_barrier
	buffer_gl0_inv
	v_cmpx_ne_u32_e32 0, v0
	s_cbranch_execz .LBB29_36
; %bb.35:
	v_add_nc_u32_e32 v0, -1, v0
	s_delay_alu instid0(VALU_DEP_1) | instskip(NEXT) | instid1(VALU_DEP_1)
	v_lshrrev_b32_e32 v35, 5, v0
	v_add_lshl_u32 v0, v35, v0, 2
	ds_load_b32 v35, v0
.LBB29_36:
	s_or_b32 exec_lo, exec_lo, s18
	s_waitcnt lgkmcnt(0)
	v_add_nc_u32_e32 v0, v35, v9
	s_barrier
	buffer_gl0_inv
	s_load_b64 s[0:1], s[0:1], 0x18
	v_add_nc_u32_e32 v9, v0, v10
	s_delay_alu instid0(VALU_DEP_1) | instskip(NEXT) | instid1(VALU_DEP_1)
	v_add_nc_u32_e32 v7, v9, v7
	v_add_nc_u32_e32 v8, v7, v8
	s_delay_alu instid0(VALU_DEP_1) | instskip(NEXT) | instid1(VALU_DEP_1)
	v_add_nc_u32_e32 v3, v8, v3
	;; [unrolled: 3-line block ×7, first 2 shown]
	v_add_nc_u32_e32 v6, v5, v6
	ds_store_2addr_b32 v34, v0, v9 offset1:1
	ds_store_2addr_b32 v34, v7, v8 offset0:2 offset1:3
	ds_store_2addr_b32 v34, v3, v4 offset0:4 offset1:5
	;; [unrolled: 1-line block ×7, first 2 shown]
	s_waitcnt lgkmcnt(0)
	s_barrier
	buffer_gl0_inv
	ds_load_b32 v16, v18 offset:256
	ds_load_b32 v15, v21 offset:512
	;; [unrolled: 1-line block ×15, first 2 shown]
	v_add_co_u32 v0, s0, s0, v19
	s_delay_alu instid0(VALU_DEP_1)
	v_add_co_ci_u32_e64 v1, null, s1, 0, s0
	s_and_saveexec_b32 s0, vcc_lo
	s_cbranch_execnz .LBB29_53
; %bb.37:
	s_or_b32 exec_lo, exec_lo, s0
	s_and_saveexec_b32 s0, s2
	s_cbranch_execnz .LBB29_54
.LBB29_38:
	s_or_b32 exec_lo, exec_lo, s0
	s_and_saveexec_b32 s0, s3
	s_cbranch_execnz .LBB29_55
.LBB29_39:
	s_or_b32 exec_lo, exec_lo, s0
	s_and_saveexec_b32 s0, s4
	s_cbranch_execnz .LBB29_56
.LBB29_40:
	s_or_b32 exec_lo, exec_lo, s0
	s_and_saveexec_b32 s0, s5
	s_cbranch_execnz .LBB29_57
.LBB29_41:
	s_or_b32 exec_lo, exec_lo, s0
	s_and_saveexec_b32 s0, s6
	s_cbranch_execnz .LBB29_58
.LBB29_42:
	s_or_b32 exec_lo, exec_lo, s0
	s_and_saveexec_b32 s0, s7
	s_cbranch_execnz .LBB29_59
.LBB29_43:
	s_or_b32 exec_lo, exec_lo, s0
	s_and_saveexec_b32 s0, s8
	s_cbranch_execnz .LBB29_60
.LBB29_44:
	s_or_b32 exec_lo, exec_lo, s0
	s_and_saveexec_b32 s0, s9
	s_cbranch_execnz .LBB29_61
.LBB29_45:
	s_or_b32 exec_lo, exec_lo, s0
	s_and_saveexec_b32 s0, s10
	s_cbranch_execnz .LBB29_62
.LBB29_46:
	s_or_b32 exec_lo, exec_lo, s0
	s_and_saveexec_b32 s0, s11
	s_cbranch_execnz .LBB29_63
.LBB29_47:
	s_or_b32 exec_lo, exec_lo, s0
	s_and_saveexec_b32 s0, s12
	s_cbranch_execnz .LBB29_64
.LBB29_48:
	s_or_b32 exec_lo, exec_lo, s0
	s_and_saveexec_b32 s0, s13
	s_cbranch_execnz .LBB29_65
.LBB29_49:
	s_or_b32 exec_lo, exec_lo, s0
	s_and_saveexec_b32 s0, s14
	s_cbranch_execnz .LBB29_66
.LBB29_50:
	s_or_b32 exec_lo, exec_lo, s0
	s_and_saveexec_b32 s0, s15
	s_cbranch_execnz .LBB29_67
.LBB29_51:
	s_or_b32 exec_lo, exec_lo, s0
	s_and_saveexec_b32 s0, s16
	s_cbranch_execnz .LBB29_68
.LBB29_52:
	s_nop 0
	s_sendmsg sendmsg(MSG_DEALLOC_VGPRS)
	s_endpgm
.LBB29_53:
	ds_load_b32 v17, v17
	s_waitcnt lgkmcnt(0)
	global_store_b32 v[0:1], v17, off
	s_or_b32 exec_lo, exec_lo, s0
	s_and_saveexec_b32 s0, s2
	s_cbranch_execz .LBB29_38
.LBB29_54:
	s_waitcnt lgkmcnt(14)
	global_store_b32 v[0:1], v16, off offset:256
	s_or_b32 exec_lo, exec_lo, s0
	s_and_saveexec_b32 s0, s3
	s_cbranch_execz .LBB29_39
.LBB29_55:
	s_waitcnt lgkmcnt(13)
	global_store_b32 v[0:1], v15, off offset:512
	s_or_b32 exec_lo, exec_lo, s0
	s_and_saveexec_b32 s0, s4
	s_cbranch_execz .LBB29_40
.LBB29_56:
	s_waitcnt lgkmcnt(12)
	global_store_b32 v[0:1], v14, off offset:768
	s_or_b32 exec_lo, exec_lo, s0
	s_and_saveexec_b32 s0, s5
	s_cbranch_execz .LBB29_41
.LBB29_57:
	s_waitcnt lgkmcnt(11)
	global_store_b32 v[0:1], v13, off offset:1024
	s_or_b32 exec_lo, exec_lo, s0
	s_and_saveexec_b32 s0, s6
	s_cbranch_execz .LBB29_42
.LBB29_58:
	s_waitcnt lgkmcnt(10)
	global_store_b32 v[0:1], v12, off offset:1280
	s_or_b32 exec_lo, exec_lo, s0
	s_and_saveexec_b32 s0, s7
	s_cbranch_execz .LBB29_43
.LBB29_59:
	s_waitcnt lgkmcnt(9)
	global_store_b32 v[0:1], v11, off offset:1536
	s_or_b32 exec_lo, exec_lo, s0
	s_and_saveexec_b32 s0, s8
	s_cbranch_execz .LBB29_44
.LBB29_60:
	s_waitcnt lgkmcnt(8)
	global_store_b32 v[0:1], v10, off offset:1792
	s_or_b32 exec_lo, exec_lo, s0
	s_and_saveexec_b32 s0, s9
	s_cbranch_execz .LBB29_45
.LBB29_61:
	s_waitcnt lgkmcnt(7)
	global_store_b32 v[0:1], v9, off offset:2048
	s_or_b32 exec_lo, exec_lo, s0
	s_and_saveexec_b32 s0, s10
	s_cbranch_execz .LBB29_46
.LBB29_62:
	s_waitcnt lgkmcnt(6)
	global_store_b32 v[0:1], v8, off offset:2304
	s_or_b32 exec_lo, exec_lo, s0
	s_and_saveexec_b32 s0, s11
	s_cbranch_execz .LBB29_47
.LBB29_63:
	s_waitcnt lgkmcnt(5)
	global_store_b32 v[0:1], v7, off offset:2560
	s_or_b32 exec_lo, exec_lo, s0
	s_and_saveexec_b32 s0, s12
	s_cbranch_execz .LBB29_48
.LBB29_64:
	s_waitcnt lgkmcnt(4)
	global_store_b32 v[0:1], v6, off offset:2816
	s_or_b32 exec_lo, exec_lo, s0
	s_and_saveexec_b32 s0, s13
	s_cbranch_execz .LBB29_49
.LBB29_65:
	s_waitcnt lgkmcnt(3)
	global_store_b32 v[0:1], v5, off offset:3072
	s_or_b32 exec_lo, exec_lo, s0
	s_and_saveexec_b32 s0, s14
	s_cbranch_execz .LBB29_50
.LBB29_66:
	s_waitcnt lgkmcnt(2)
	global_store_b32 v[0:1], v4, off offset:3328
	s_or_b32 exec_lo, exec_lo, s0
	s_and_saveexec_b32 s0, s15
	s_cbranch_execz .LBB29_51
.LBB29_67:
	s_waitcnt lgkmcnt(1)
	global_store_b32 v[0:1], v3, off offset:3584
	s_or_b32 exec_lo, exec_lo, s0
	s_and_saveexec_b32 s0, s16
	s_cbranch_execz .LBB29_52
.LBB29_68:
	s_waitcnt lgkmcnt(0)
	global_store_b32 v[0:1], v2, off offset:3840
	s_nop 0
	s_sendmsg sendmsg(MSG_DEALLOC_VGPRS)
	s_endpgm
	.section	.rodata,"a",@progbits
	.p2align	6, 0x0
	.amdhsa_kernel _ZN7rocprim17ROCPRIM_304000_NS6detail18single_scan_kernelILb0ENS1_19wrapped_scan_configINS0_14default_configEiEEPKiPiSt4plusIiEiiEEvT1_mT4_T2_T3_
		.amdhsa_group_segment_fixed_size 4224
		.amdhsa_private_segment_fixed_size 0
		.amdhsa_kernarg_size 36
		.amdhsa_user_sgpr_count 15
		.amdhsa_user_sgpr_dispatch_ptr 0
		.amdhsa_user_sgpr_queue_ptr 0
		.amdhsa_user_sgpr_kernarg_segment_ptr 1
		.amdhsa_user_sgpr_dispatch_id 0
		.amdhsa_user_sgpr_private_segment_size 0
		.amdhsa_wavefront_size32 1
		.amdhsa_uses_dynamic_stack 0
		.amdhsa_enable_private_segment 0
		.amdhsa_system_sgpr_workgroup_id_x 1
		.amdhsa_system_sgpr_workgroup_id_y 0
		.amdhsa_system_sgpr_workgroup_id_z 0
		.amdhsa_system_sgpr_workgroup_info 0
		.amdhsa_system_vgpr_workitem_id 0
		.amdhsa_next_free_vgpr 44
		.amdhsa_next_free_sgpr 24
		.amdhsa_reserve_vcc 1
		.amdhsa_float_round_mode_32 0
		.amdhsa_float_round_mode_16_64 0
		.amdhsa_float_denorm_mode_32 3
		.amdhsa_float_denorm_mode_16_64 3
		.amdhsa_dx10_clamp 1
		.amdhsa_ieee_mode 1
		.amdhsa_fp16_overflow 0
		.amdhsa_workgroup_processor_mode 1
		.amdhsa_memory_ordered 1
		.amdhsa_forward_progress 0
		.amdhsa_shared_vgpr_count 0
		.amdhsa_exception_fp_ieee_invalid_op 0
		.amdhsa_exception_fp_denorm_src 0
		.amdhsa_exception_fp_ieee_div_zero 0
		.amdhsa_exception_fp_ieee_overflow 0
		.amdhsa_exception_fp_ieee_underflow 0
		.amdhsa_exception_fp_ieee_inexact 0
		.amdhsa_exception_int_div_zero 0
	.end_amdhsa_kernel
	.section	.text._ZN7rocprim17ROCPRIM_304000_NS6detail18single_scan_kernelILb0ENS1_19wrapped_scan_configINS0_14default_configEiEEPKiPiSt4plusIiEiiEEvT1_mT4_T2_T3_,"axG",@progbits,_ZN7rocprim17ROCPRIM_304000_NS6detail18single_scan_kernelILb0ENS1_19wrapped_scan_configINS0_14default_configEiEEPKiPiSt4plusIiEiiEEvT1_mT4_T2_T3_,comdat
.Lfunc_end29:
	.size	_ZN7rocprim17ROCPRIM_304000_NS6detail18single_scan_kernelILb0ENS1_19wrapped_scan_configINS0_14default_configEiEEPKiPiSt4plusIiEiiEEvT1_mT4_T2_T3_, .Lfunc_end29-_ZN7rocprim17ROCPRIM_304000_NS6detail18single_scan_kernelILb0ENS1_19wrapped_scan_configINS0_14default_configEiEEPKiPiSt4plusIiEiiEEvT1_mT4_T2_T3_
                                        ; -- End function
	.section	.AMDGPU.csdata,"",@progbits
; Kernel info:
; codeLenInByte = 2740
; NumSgprs: 26
; NumVgprs: 44
; ScratchSize: 0
; MemoryBound: 0
; FloatMode: 240
; IeeeMode: 1
; LDSByteSize: 4224 bytes/workgroup (compile time only)
; SGPRBlocks: 3
; VGPRBlocks: 5
; NumSGPRsForWavesPerEU: 26
; NumVGPRsForWavesPerEU: 44
; Occupancy: 16
; WaveLimiterHint : 0
; COMPUTE_PGM_RSRC2:SCRATCH_EN: 0
; COMPUTE_PGM_RSRC2:USER_SGPR: 15
; COMPUTE_PGM_RSRC2:TRAP_HANDLER: 0
; COMPUTE_PGM_RSRC2:TGID_X_EN: 1
; COMPUTE_PGM_RSRC2:TGID_Y_EN: 0
; COMPUTE_PGM_RSRC2:TGID_Z_EN: 0
; COMPUTE_PGM_RSRC2:TIDIG_COMP_CNT: 0
	.section	.text._ZN2at6native32tensor_kernel_scan_innermost_dimIiSt4plusIiEEEvPT_PKS4_jjjS4_T0_,"axG",@progbits,_ZN2at6native32tensor_kernel_scan_innermost_dimIiSt4plusIiEEEvPT_PKS4_jjjS4_T0_,comdat
	.protected	_ZN2at6native32tensor_kernel_scan_innermost_dimIiSt4plusIiEEEvPT_PKS4_jjjS4_T0_ ; -- Begin function _ZN2at6native32tensor_kernel_scan_innermost_dimIiSt4plusIiEEEvPT_PKS4_jjjS4_T0_
	.globl	_ZN2at6native32tensor_kernel_scan_innermost_dimIiSt4plusIiEEEvPT_PKS4_jjjS4_T0_
	.p2align	8
	.type	_ZN2at6native32tensor_kernel_scan_innermost_dimIiSt4plusIiEEEvPT_PKS4_jjjS4_T0_,@function
_ZN2at6native32tensor_kernel_scan_innermost_dimIiSt4plusIiEEEvPT_PKS4_jjjS4_T0_: ; @_ZN2at6native32tensor_kernel_scan_innermost_dimIiSt4plusIiEEEvPT_PKS4_jjjS4_T0_
; %bb.0:
	s_load_b256 s[16:23], s[0:1], 0x0
	v_bfe_u32 v9, v0, 10, 10
	s_waitcnt lgkmcnt(0)
	s_lshl_b32 s5, 2, s22
	s_mul_hi_u32 s2, s20, s21
	s_delay_alu instid0(VALU_DEP_1) | instskip(SKIP_3) | instid1(VALU_DEP_1)
	v_mul_lo_u32 v1, s5, v9
	s_mov_b32 s6, s20
	s_cmp_lg_u32 s2, 0
	s_mov_b32 s2, -1
	v_lshl_add_u32 v10, v1, 2, 0
	s_cbranch_scc1 .LBB30_26
; %bb.1:
	s_load_b32 s4, s[0:1], 0x34
	s_add_u32 s2, s0, 40
	s_addc_u32 s3, s1, 0
	s_waitcnt lgkmcnt(0)
	s_lshr_b32 s4, s4, 16
	s_delay_alu instid0(SALU_CYCLE_1) | instskip(NEXT) | instid1(SALU_CYCLE_1)
	s_mul_i32 s7, s15, s4
	s_cmp_ge_u32 s7, s20
	s_cbranch_scc1 .LBB30_25
; %bb.2:
	s_load_b32 s10, s[2:3], 0x0
	v_dual_mov_b32 v2, 0 :: v_dual_and_b32 v5, 0x3ff, v0
	v_add_nc_u32_e32 v6, -4, v10
	s_lshl_b32 s8, 1, s22
	s_cmp_lg_u32 s21, 0
	s_delay_alu instid0(VALU_DEP_2)
	v_lshl_add_u32 v7, v5, 2, v10
	v_cmp_eq_u32_e64 s2, 0, v5
	v_lshl_add_u32 v8, s5, 2, v6
	s_cselect_b32 s9, -1, 0
	s_add_i32 s11, s22, 1
	v_lshl_add_u32 v11, s8, 2, v7
	s_waitcnt lgkmcnt(0)
	s_mul_i32 s10, s10, s4
	s_branch .LBB30_4
.LBB30_3:                               ;   in Loop: Header=BB30_4 Depth=1
	s_add_i32 s7, s7, s10
	s_delay_alu instid0(SALU_CYCLE_1)
	s_cmp_ge_u32 s7, s20
	s_cbranch_scc1 .LBB30_25
.LBB30_4:                               ; =>This Loop Header: Depth=1
                                        ;     Child Loop BB30_7 Depth 2
                                        ;       Child Loop BB30_16 Depth 3
	s_and_not1_b32 vcc_lo, exec_lo, s9
	s_cbranch_vccnz .LBB30_3
; %bb.5:                                ;   in Loop: Header=BB30_4 Depth=1
	v_add_nc_u32_e32 v12, s7, v9
	v_mov_b32_e32 v16, s23
	s_mov_b32 s12, 0
	s_delay_alu instid0(VALU_DEP_2) | instskip(SKIP_2) | instid1(VALU_DEP_3)
	v_mul_lo_u32 v1, v12, s21
	v_cmp_gt_u32_e32 vcc_lo, s20, v12
	v_cmp_le_u32_e64 s3, s20, v12
	v_lshlrev_b64 v[3:4], 2, v[1:2]
	s_delay_alu instid0(VALU_DEP_1) | instskip(NEXT) | instid1(VALU_DEP_1)
	v_add_co_u32 v12, s4, s18, v3
	v_add_co_ci_u32_e64 v13, s4, s19, v4, s4
	v_add_co_u32 v14, s4, s16, v3
	s_delay_alu instid0(VALU_DEP_1)
	v_add_co_ci_u32_e64 v15, s4, s17, v4, s4
	s_branch .LBB30_7
.LBB30_6:                               ;   in Loop: Header=BB30_7 Depth=2
	s_or_b32 exec_lo, exec_lo, s13
	ds_load_b32 v16, v8
	s_add_i32 s12, s12, s5
	s_waitcnt lgkmcnt(0)
	s_waitcnt_vscnt null, 0x0
	s_cmp_ge_u32 s12, s21
	s_barrier
	buffer_gl0_inv
	s_cbranch_scc1 .LBB30_3
.LBB30_7:                               ;   Parent Loop BB30_4 Depth=1
                                        ; =>  This Loop Header: Depth=2
                                        ;       Child Loop BB30_16 Depth 3
	v_add_nc_u32_e32 v1, s12, v5
	s_delay_alu instid0(VALU_DEP_1)
	v_add_nc_u32_e32 v3, s8, v1
	s_and_saveexec_b32 s13, vcc_lo
	s_cbranch_execz .LBB30_14
; %bb.8:                                ;   in Loop: Header=BB30_7 Depth=2
	v_mov_b32_e32 v4, s23
	s_mov_b32 s14, exec_lo
	v_cmpx_gt_u32_e64 s21, v1
	s_cbranch_execz .LBB30_10
; %bb.9:                                ;   in Loop: Header=BB30_7 Depth=2
	v_lshlrev_b64 v[17:18], 2, v[1:2]
	s_delay_alu instid0(VALU_DEP_1) | instskip(NEXT) | instid1(VALU_DEP_1)
	v_add_co_u32 v17, s4, v12, v17
	v_add_co_ci_u32_e64 v18, s4, v13, v18, s4
	global_load_b32 v4, v[17:18], off
.LBB30_10:                              ;   in Loop: Header=BB30_7 Depth=2
	s_or_b32 exec_lo, exec_lo, s14
	v_mov_b32_e32 v17, s23
	s_mov_b32 s14, exec_lo
	s_waitcnt vmcnt(0)
	ds_store_b32 v7, v4
	v_cmpx_gt_u32_e64 s21, v3
	s_cbranch_execz .LBB30_12
; %bb.11:                               ;   in Loop: Header=BB30_7 Depth=2
	v_mov_b32_e32 v4, v2
	s_delay_alu instid0(VALU_DEP_1) | instskip(NEXT) | instid1(VALU_DEP_1)
	v_lshlrev_b64 v[17:18], 2, v[3:4]
	v_add_co_u32 v17, s4, v12, v17
	s_delay_alu instid0(VALU_DEP_1)
	v_add_co_ci_u32_e64 v18, s4, v13, v18, s4
	global_load_b32 v17, v[17:18], off
.LBB30_12:                              ;   in Loop: Header=BB30_7 Depth=2
	s_or_b32 exec_lo, exec_lo, s14
	s_waitcnt vmcnt(0)
	ds_store_b32 v11, v17
	s_and_b32 exec_lo, exec_lo, s2
	s_cbranch_execz .LBB30_14
; %bb.13:                               ;   in Loop: Header=BB30_7 Depth=2
	ds_load_b32 v4, v10
	s_waitcnt lgkmcnt(0)
	v_add_nc_u32_e32 v4, v4, v16
	ds_store_b32 v10, v4
.LBB30_14:                              ;   in Loop: Header=BB30_7 Depth=2
	s_or_b32 exec_lo, exec_lo, s13
	v_mov_b32_e32 v4, 0
	s_mov_b32 s13, 0
	s_waitcnt lgkmcnt(0)
	s_barrier
	buffer_gl0_inv
	s_set_inst_prefetch_distance 0x1
	s_branch .LBB30_16
	.p2align	6
.LBB30_15:                              ;   in Loop: Header=BB30_16 Depth=3
	s_or_b32 exec_lo, exec_lo, s4
	s_delay_alu instid0(VALU_DEP_1) | instskip(SKIP_4) | instid1(SALU_CYCLE_1)
	v_cmp_eq_u32_e64 s4, s11, v4
	s_waitcnt lgkmcnt(0)
	s_barrier
	buffer_gl0_inv
	s_or_b32 s13, s4, s13
	s_and_not1_b32 exec_lo, exec_lo, s13
	s_cbranch_execz .LBB30_20
.LBB30_16:                              ;   Parent Loop BB30_4 Depth=1
                                        ;     Parent Loop BB30_7 Depth=2
                                        ; =>    This Inner Loop Header: Depth=3
	v_add_nc_u32_e32 v16, 1, v4
	s_and_saveexec_b32 s4, s3
	s_delay_alu instid0(SALU_CYCLE_1)
	s_xor_b32 s4, exec_lo, s4
; %bb.17:                               ;   in Loop: Header=BB30_16 Depth=3
	v_add_nc_u32_e32 v4, 1, v4
                                        ; implicit-def: $vgpr16
; %bb.18:                               ;   in Loop: Header=BB30_16 Depth=3
	s_and_not1_saveexec_b32 s4, s4
	s_cbranch_execz .LBB30_15
; %bb.19:                               ;   in Loop: Header=BB30_16 Depth=3
	s_delay_alu instid0(VALU_DEP_1) | instskip(SKIP_2) | instid1(VALU_DEP_2)
	v_lshlrev_b32_e64 v17, v4, 1
	v_lshrrev_b32_e32 v18, v4, v5
	v_bfm_b32 v4, v4, 0
	v_lshl_or_b32 v17, v18, v16, v17
	s_delay_alu instid0(VALU_DEP_2) | instskip(NEXT) | instid1(VALU_DEP_2)
	v_and_b32_e32 v4, v4, v5
	v_lshlrev_b32_e32 v17, 2, v17
	s_delay_alu instid0(VALU_DEP_2) | instskip(NEXT) | instid1(VALU_DEP_1)
	v_lshlrev_b32_e32 v4, 2, v4
	v_add3_u32 v18, v10, v17, v4
	v_add_nc_u32_e32 v4, v6, v17
	ds_load_b32 v17, v18
	ds_load_b32 v4, v4
	s_waitcnt lgkmcnt(0)
	v_add_nc_u32_e32 v17, v4, v17
	v_mov_b32_e32 v4, v16
	ds_store_b32 v18, v17
	s_branch .LBB30_15
.LBB30_20:                              ;   in Loop: Header=BB30_7 Depth=2
	s_set_inst_prefetch_distance 0x2
	s_or_b32 exec_lo, exec_lo, s13
	s_and_saveexec_b32 s13, vcc_lo
	s_cbranch_execz .LBB30_6
; %bb.21:                               ;   in Loop: Header=BB30_7 Depth=2
	s_mov_b32 s14, exec_lo
	v_cmpx_gt_u32_e64 s21, v1
	s_cbranch_execz .LBB30_23
; %bb.22:                               ;   in Loop: Header=BB30_7 Depth=2
	ds_load_b32 v4, v7
	v_lshlrev_b64 v[16:17], 2, v[1:2]
	s_delay_alu instid0(VALU_DEP_1) | instskip(NEXT) | instid1(VALU_DEP_1)
	v_add_co_u32 v16, s4, v14, v16
	v_add_co_ci_u32_e64 v17, s4, v15, v17, s4
	s_waitcnt lgkmcnt(0)
	global_store_b32 v[16:17], v4, off
.LBB30_23:                              ;   in Loop: Header=BB30_7 Depth=2
	s_or_b32 exec_lo, exec_lo, s14
	v_cmp_gt_u32_e64 s4, s21, v3
	s_delay_alu instid0(VALU_DEP_1)
	s_and_b32 exec_lo, exec_lo, s4
	s_cbranch_execz .LBB30_6
; %bb.24:                               ;   in Loop: Header=BB30_7 Depth=2
	ds_load_b32 v1, v11
	v_mov_b32_e32 v4, v2
	s_delay_alu instid0(VALU_DEP_1) | instskip(NEXT) | instid1(VALU_DEP_1)
	v_lshlrev_b64 v[3:4], 2, v[3:4]
	v_add_co_u32 v3, s4, v14, v3
	s_delay_alu instid0(VALU_DEP_1)
	v_add_co_ci_u32_e64 v4, s4, v15, v4, s4
	s_waitcnt lgkmcnt(0)
	global_store_b32 v[3:4], v1, off
	s_branch .LBB30_6
.LBB30_25:
	s_mov_b32 s2, 0
.LBB30_26:
	s_delay_alu instid0(SALU_CYCLE_1)
	s_and_not1_b32 vcc_lo, exec_lo, s2
	s_cbranch_vccnz .LBB30_53
; %bb.27:
	s_load_b32 s2, s[0:1], 0x34
	s_add_u32 s0, s0, 40
	s_addc_u32 s1, s1, 0
	s_mov_b32 s7, 0
	s_waitcnt lgkmcnt(0)
	s_lshr_b32 s2, s2, 16
	s_delay_alu instid0(SALU_CYCLE_1) | instskip(SKIP_1) | instid1(SALU_CYCLE_1)
	s_mul_hi_u32 s5, s2, s15
	s_mul_i32 s4, s2, s15
	v_cmp_ge_u64_e64 s3, s[4:5], s[6:7]
	s_delay_alu instid0(VALU_DEP_1)
	s_and_b32 vcc_lo, exec_lo, s3
	s_cbranch_vccnz .LBB30_53
; %bb.28:
	s_load_b32 s1, s[0:1], 0x0
	v_dual_mov_b32 v1, 0 :: v_dual_and_b32 v0, 0x3ff, v0
	s_lshl_b32 s8, 1, s22
	s_and_b32 s2, 0xffff, s2
	s_ashr_i32 s9, s8, 31
	s_cmp_lg_u32 s21, 0
	v_lshl_add_u32 v11, v0, 2, v10
	s_cselect_b32 s3, -1, 0
	s_lshl_b64 s[12:13], s[8:9], 1
	v_cmp_eq_u32_e64 s0, 0, v0
	s_lshl_b32 s11, s12, 2
	v_lshl_add_u32 v13, s8, 2, v11
	v_add3_u32 v12, v10, s11, -4
	s_mov_b32 s10, s21
	s_mov_b32 s11, s7
	s_add_i32 s21, s22, 1
	s_waitcnt lgkmcnt(0)
	s_mul_i32 s20, s1, s2
	s_branch .LBB30_30
.LBB30_29:                              ;   in Loop: Header=BB30_30 Depth=1
	s_add_u32 s4, s4, s20
	s_addc_u32 s5, s5, 0
	s_delay_alu instid0(SALU_CYCLE_1) | instskip(NEXT) | instid1(VALU_DEP_1)
	v_cmp_ge_u64_e64 s1, s[4:5], s[6:7]
	s_and_b32 vcc_lo, exec_lo, s1
	s_cbranch_vccnz .LBB30_53
.LBB30_30:                              ; =>This Loop Header: Depth=1
                                        ;     Child Loop BB30_33 Depth 2
                                        ;       Child Loop BB30_43 Depth 3
	s_and_not1_b32 vcc_lo, exec_lo, s3
	s_cbranch_vccnz .LBB30_29
; %bb.31:                               ;   in Loop: Header=BB30_30 Depth=1
	v_add_co_u32 v2, s1, s4, v9
	s_delay_alu instid0(VALU_DEP_1) | instskip(SKIP_1) | instid1(VALU_DEP_2)
	v_add_co_ci_u32_e64 v3, null, s5, 0, s1
	s_mov_b64 s[14:15], 0
	v_mad_u64_u32 v[4:5], null, v2, s10, 0
	s_delay_alu instid0(VALU_DEP_2) | instskip(SKIP_1) | instid1(VALU_DEP_3)
	v_cmp_gt_u64_e64 s1, s[6:7], v[2:3]
	v_cmp_le_u64_e64 s2, s[6:7], v[2:3]
	v_mad_u64_u32 v[6:7], null, v3, s10, v[5:6]
	s_delay_alu instid0(VALU_DEP_1) | instskip(NEXT) | instid1(VALU_DEP_1)
	v_dual_mov_b32 v5, v6 :: v_dual_mov_b32 v6, s23
	v_lshlrev_b64 v[4:5], 2, v[4:5]
	s_delay_alu instid0(VALU_DEP_1) | instskip(NEXT) | instid1(VALU_DEP_2)
	v_add_co_u32 v14, vcc_lo, s18, v4
	v_add_co_ci_u32_e32 v15, vcc_lo, s19, v5, vcc_lo
	v_add_co_u32 v16, vcc_lo, s16, v4
	v_add_co_ci_u32_e32 v17, vcc_lo, s17, v5, vcc_lo
	s_branch .LBB30_33
.LBB30_32:                              ;   in Loop: Header=BB30_33 Depth=2
	s_or_b32 exec_lo, exec_lo, s22
	ds_load_b32 v6, v12
	s_add_u32 s14, s14, s12
	s_addc_u32 s15, s15, s13
	s_waitcnt lgkmcnt(0)
	s_waitcnt_vscnt null, 0x0
	v_cmp_ge_u64_e64 s22, s[14:15], s[10:11]
	s_barrier
	buffer_gl0_inv
	s_and_b32 vcc_lo, exec_lo, s22
	s_cbranch_vccnz .LBB30_29
.LBB30_33:                              ;   Parent Loop BB30_30 Depth=1
                                        ; =>  This Loop Header: Depth=2
                                        ;       Child Loop BB30_43 Depth 3
	v_add_co_u32 v4, s22, s14, v0
	s_delay_alu instid0(VALU_DEP_1) | instskip(NEXT) | instid1(VALU_DEP_2)
	v_add_co_ci_u32_e64 v5, null, s15, 0, s22
	v_add_co_u32 v2, vcc_lo, v4, s8
	s_delay_alu instid0(VALU_DEP_2)
	v_add_co_ci_u32_e32 v3, vcc_lo, s9, v5, vcc_lo
	s_and_saveexec_b32 s22, s1
	s_cbranch_execz .LBB30_40
; %bb.34:                               ;   in Loop: Header=BB30_33 Depth=2
	v_mov_b32_e32 v7, s23
	s_mov_b32 s24, exec_lo
	v_cmpx_gt_u64_e64 s[10:11], v[4:5]
	s_cbranch_execz .LBB30_36
; %bb.35:                               ;   in Loop: Header=BB30_33 Depth=2
	v_lshlrev_b64 v[7:8], 2, v[4:5]
	s_delay_alu instid0(VALU_DEP_1) | instskip(NEXT) | instid1(VALU_DEP_2)
	v_add_co_u32 v7, vcc_lo, v14, v7
	v_add_co_ci_u32_e32 v8, vcc_lo, v15, v8, vcc_lo
	global_load_b32 v7, v[7:8], off
.LBB30_36:                              ;   in Loop: Header=BB30_33 Depth=2
	s_or_b32 exec_lo, exec_lo, s24
	v_mov_b32_e32 v8, s23
	s_mov_b32 s24, exec_lo
	s_waitcnt vmcnt(0)
	ds_store_b32 v11, v7
	v_cmpx_gt_u64_e64 s[10:11], v[2:3]
	s_cbranch_execz .LBB30_38
; %bb.37:                               ;   in Loop: Header=BB30_33 Depth=2
	v_lshlrev_b64 v[7:8], 2, v[2:3]
	s_delay_alu instid0(VALU_DEP_1) | instskip(NEXT) | instid1(VALU_DEP_2)
	v_add_co_u32 v7, vcc_lo, v14, v7
	v_add_co_ci_u32_e32 v8, vcc_lo, v15, v8, vcc_lo
	global_load_b32 v8, v[7:8], off
.LBB30_38:                              ;   in Loop: Header=BB30_33 Depth=2
	s_or_b32 exec_lo, exec_lo, s24
	s_waitcnt vmcnt(0)
	ds_store_b32 v13, v8
	s_and_b32 exec_lo, exec_lo, s0
	s_cbranch_execz .LBB30_40
; %bb.39:                               ;   in Loop: Header=BB30_33 Depth=2
	ds_load_b32 v7, v10
	s_waitcnt lgkmcnt(0)
	v_add_nc_u32_e32 v6, v7, v6
	ds_store_b32 v10, v6
.LBB30_40:                              ;   in Loop: Header=BB30_33 Depth=2
	s_or_b32 exec_lo, exec_lo, s22
	v_mov_b32_e32 v19, 0
	s_mov_b32 s22, 0
	s_waitcnt lgkmcnt(0)
	s_barrier
	buffer_gl0_inv
	s_branch .LBB30_43
.LBB30_41:                              ;   in Loop: Header=BB30_43 Depth=3
	s_or_b32 exec_lo, exec_lo, s25
	v_lshrrev_b32_e32 v8, v19, v0
	s_delay_alu instid0(VALU_DEP_1) | instskip(NEXT) | instid1(VALU_DEP_1)
	v_lshl_or_b32 v6, v8, v18, v6
	v_lshl_add_u32 v6, v6, 2, v10
	s_delay_alu instid0(VALU_DEP_1)
	v_lshl_add_u32 v7, v7, 2, v6
	v_add_nc_u32_e32 v6, -4, v6
	ds_load_b32 v8, v7
	ds_load_b32 v6, v6
	s_waitcnt lgkmcnt(0)
	v_add_nc_u32_e32 v6, v6, v8
	ds_store_b32 v7, v6
.LBB30_42:                              ;   in Loop: Header=BB30_43 Depth=3
	s_or_b32 exec_lo, exec_lo, s24
	s_delay_alu instid0(VALU_DEP_1)
	v_cmp_eq_u32_e32 vcc_lo, s21, v18
	v_mov_b32_e32 v19, v18
	s_waitcnt lgkmcnt(0)
	s_barrier
	buffer_gl0_inv
	s_or_b32 s22, vcc_lo, s22
	s_delay_alu instid0(SALU_CYCLE_1)
	s_and_not1_b32 exec_lo, exec_lo, s22
	s_cbranch_execz .LBB30_48
.LBB30_43:                              ;   Parent Loop BB30_30 Depth=1
                                        ;     Parent Loop BB30_33 Depth=2
                                        ; =>    This Inner Loop Header: Depth=3
	v_add_nc_u32_e32 v18, 1, v19
	s_and_saveexec_b32 s24, s2
	s_delay_alu instid0(SALU_CYCLE_1)
	s_xor_b32 s24, exec_lo, s24
; %bb.44:                               ;   in Loop: Header=BB30_43 Depth=3
	v_add_nc_u32_e32 v18, 1, v19
                                        ; implicit-def: $vgpr19
; %bb.45:                               ;   in Loop: Header=BB30_43 Depth=3
	s_and_not1_saveexec_b32 s24, s24
	s_cbranch_execz .LBB30_42
; %bb.46:                               ;   in Loop: Header=BB30_43 Depth=3
	v_lshlrev_b32_e64 v6, v19, 1
	s_delay_alu instid0(VALU_DEP_1) | instskip(NEXT) | instid1(VALU_DEP_1)
	v_ashrrev_i32_e32 v7, 31, v6
	v_cmp_ge_u64_e32 vcc_lo, v[0:1], v[6:7]
	v_dual_mov_b32 v8, v1 :: v_dual_mov_b32 v7, v0
	s_and_saveexec_b32 s25, vcc_lo
	s_cbranch_execz .LBB30_41
; %bb.47:                               ;   in Loop: Header=BB30_43 Depth=3
	v_cvt_f32_u32_e32 v7, v6
	v_sub_nc_u32_e32 v8, 0, v6
	s_delay_alu instid0(VALU_DEP_2) | instskip(SKIP_2) | instid1(VALU_DEP_1)
	v_rcp_iflag_f32_e32 v7, v7
	s_waitcnt_depctr 0xfff
	v_mul_f32_e32 v7, 0x4f7ffffe, v7
	v_cvt_u32_f32_e32 v7, v7
	s_delay_alu instid0(VALU_DEP_1) | instskip(NEXT) | instid1(VALU_DEP_1)
	v_mul_lo_u32 v8, v8, v7
	v_mul_hi_u32 v8, v7, v8
	s_delay_alu instid0(VALU_DEP_1) | instskip(NEXT) | instid1(VALU_DEP_1)
	v_add_nc_u32_e32 v7, v7, v8
	v_mul_hi_u32 v7, v0, v7
	s_delay_alu instid0(VALU_DEP_1) | instskip(NEXT) | instid1(VALU_DEP_1)
	v_mul_lo_u32 v7, v7, v6
	v_sub_nc_u32_e32 v7, v0, v7
	s_delay_alu instid0(VALU_DEP_1) | instskip(SKIP_1) | instid1(VALU_DEP_2)
	v_sub_nc_u32_e32 v8, v7, v6
	v_cmp_ge_u32_e32 vcc_lo, v7, v6
	v_cndmask_b32_e32 v7, v7, v8, vcc_lo
	s_delay_alu instid0(VALU_DEP_1) | instskip(SKIP_1) | instid1(VALU_DEP_2)
	v_sub_nc_u32_e32 v8, v7, v6
	v_cmp_ge_u32_e32 vcc_lo, v7, v6
	v_cndmask_b32_e32 v7, v7, v8, vcc_lo
	s_branch .LBB30_41
.LBB30_48:                              ;   in Loop: Header=BB30_33 Depth=2
	s_or_b32 exec_lo, exec_lo, s22
	s_and_saveexec_b32 s22, s1
	s_cbranch_execz .LBB30_32
; %bb.49:                               ;   in Loop: Header=BB30_33 Depth=2
	s_mov_b32 s24, exec_lo
	v_cmpx_gt_u64_e64 s[10:11], v[4:5]
	s_cbranch_execz .LBB30_51
; %bb.50:                               ;   in Loop: Header=BB30_33 Depth=2
	ds_load_b32 v6, v11
	v_lshlrev_b64 v[4:5], 2, v[4:5]
	s_delay_alu instid0(VALU_DEP_1) | instskip(NEXT) | instid1(VALU_DEP_2)
	v_add_co_u32 v4, vcc_lo, v16, v4
	v_add_co_ci_u32_e32 v5, vcc_lo, v17, v5, vcc_lo
	s_waitcnt lgkmcnt(0)
	global_store_b32 v[4:5], v6, off
.LBB30_51:                              ;   in Loop: Header=BB30_33 Depth=2
	s_or_b32 exec_lo, exec_lo, s24
	v_cmp_gt_u64_e32 vcc_lo, s[10:11], v[2:3]
	s_and_b32 exec_lo, exec_lo, vcc_lo
	s_cbranch_execz .LBB30_32
; %bb.52:                               ;   in Loop: Header=BB30_33 Depth=2
	ds_load_b32 v4, v13
	v_lshlrev_b64 v[2:3], 2, v[2:3]
	s_delay_alu instid0(VALU_DEP_1) | instskip(NEXT) | instid1(VALU_DEP_2)
	v_add_co_u32 v2, vcc_lo, v16, v2
	v_add_co_ci_u32_e32 v3, vcc_lo, v17, v3, vcc_lo
	s_waitcnt lgkmcnt(0)
	global_store_b32 v[2:3], v4, off
	s_branch .LBB30_32
.LBB30_53:
	s_endpgm
	.section	.rodata,"a",@progbits
	.p2align	6, 0x0
	.amdhsa_kernel _ZN2at6native32tensor_kernel_scan_innermost_dimIiSt4plusIiEEEvPT_PKS4_jjjS4_T0_
		.amdhsa_group_segment_fixed_size 0
		.amdhsa_private_segment_fixed_size 0
		.amdhsa_kernarg_size 296
		.amdhsa_user_sgpr_count 15
		.amdhsa_user_sgpr_dispatch_ptr 0
		.amdhsa_user_sgpr_queue_ptr 0
		.amdhsa_user_sgpr_kernarg_segment_ptr 1
		.amdhsa_user_sgpr_dispatch_id 0
		.amdhsa_user_sgpr_private_segment_size 0
		.amdhsa_wavefront_size32 1
		.amdhsa_uses_dynamic_stack 0
		.amdhsa_enable_private_segment 0
		.amdhsa_system_sgpr_workgroup_id_x 1
		.amdhsa_system_sgpr_workgroup_id_y 0
		.amdhsa_system_sgpr_workgroup_id_z 0
		.amdhsa_system_sgpr_workgroup_info 0
		.amdhsa_system_vgpr_workitem_id 1
		.amdhsa_next_free_vgpr 20
		.amdhsa_next_free_sgpr 26
		.amdhsa_reserve_vcc 1
		.amdhsa_float_round_mode_32 0
		.amdhsa_float_round_mode_16_64 0
		.amdhsa_float_denorm_mode_32 3
		.amdhsa_float_denorm_mode_16_64 3
		.amdhsa_dx10_clamp 1
		.amdhsa_ieee_mode 1
		.amdhsa_fp16_overflow 0
		.amdhsa_workgroup_processor_mode 1
		.amdhsa_memory_ordered 1
		.amdhsa_forward_progress 0
		.amdhsa_shared_vgpr_count 0
		.amdhsa_exception_fp_ieee_invalid_op 0
		.amdhsa_exception_fp_denorm_src 0
		.amdhsa_exception_fp_ieee_div_zero 0
		.amdhsa_exception_fp_ieee_overflow 0
		.amdhsa_exception_fp_ieee_underflow 0
		.amdhsa_exception_fp_ieee_inexact 0
		.amdhsa_exception_int_div_zero 0
	.end_amdhsa_kernel
	.section	.text._ZN2at6native32tensor_kernel_scan_innermost_dimIiSt4plusIiEEEvPT_PKS4_jjjS4_T0_,"axG",@progbits,_ZN2at6native32tensor_kernel_scan_innermost_dimIiSt4plusIiEEEvPT_PKS4_jjjS4_T0_,comdat
.Lfunc_end30:
	.size	_ZN2at6native32tensor_kernel_scan_innermost_dimIiSt4plusIiEEEvPT_PKS4_jjjS4_T0_, .Lfunc_end30-_ZN2at6native32tensor_kernel_scan_innermost_dimIiSt4plusIiEEEvPT_PKS4_jjjS4_T0_
                                        ; -- End function
	.section	.AMDGPU.csdata,"",@progbits
; Kernel info:
; codeLenInByte = 2008
; NumSgprs: 28
; NumVgprs: 20
; ScratchSize: 0
; MemoryBound: 0
; FloatMode: 240
; IeeeMode: 1
; LDSByteSize: 0 bytes/workgroup (compile time only)
; SGPRBlocks: 3
; VGPRBlocks: 2
; NumSGPRsForWavesPerEU: 28
; NumVGPRsForWavesPerEU: 20
; Occupancy: 16
; WaveLimiterHint : 0
; COMPUTE_PGM_RSRC2:SCRATCH_EN: 0
; COMPUTE_PGM_RSRC2:USER_SGPR: 15
; COMPUTE_PGM_RSRC2:TRAP_HANDLER: 0
; COMPUTE_PGM_RSRC2:TGID_X_EN: 1
; COMPUTE_PGM_RSRC2:TGID_Y_EN: 0
; COMPUTE_PGM_RSRC2:TGID_Z_EN: 0
; COMPUTE_PGM_RSRC2:TIDIG_COMP_CNT: 1
	.section	.text._ZN2at6native28tensor_kernel_scan_outer_dimIijSt4plusIiEEEvPT_PKS4_jjjS4_T1_,"axG",@progbits,_ZN2at6native28tensor_kernel_scan_outer_dimIijSt4plusIiEEEvPT_PKS4_jjjS4_T1_,comdat
	.protected	_ZN2at6native28tensor_kernel_scan_outer_dimIijSt4plusIiEEEvPT_PKS4_jjjS4_T1_ ; -- Begin function _ZN2at6native28tensor_kernel_scan_outer_dimIijSt4plusIiEEEvPT_PKS4_jjjS4_T1_
	.globl	_ZN2at6native28tensor_kernel_scan_outer_dimIijSt4plusIiEEEvPT_PKS4_jjjS4_T1_
	.p2align	8
	.type	_ZN2at6native28tensor_kernel_scan_outer_dimIijSt4plusIiEEEvPT_PKS4_jjjS4_T1_,@function
_ZN2at6native28tensor_kernel_scan_outer_dimIijSt4plusIiEEEvPT_PKS4_jjjS4_T1_: ; @_ZN2at6native28tensor_kernel_scan_outer_dimIijSt4plusIiEEEvPT_PKS4_jjjS4_T1_
; %bb.0:
	s_load_b128 s[4:7], s[0:1], 0x10
	s_waitcnt lgkmcnt(0)
	s_cmp_ge_u32 s14, s4
	s_cbranch_scc1 .LBB31_9
; %bb.1:
	s_clause 0x2
	s_load_b32 s12, s[0:1], 0x34
	s_load_b32 s20, s[0:1], 0x28
	s_load_b128 s[8:11], s[0:1], 0x0
	s_add_u32 s2, s0, 40
	s_addc_u32 s3, s1, 0
	s_mul_i32 s0, s14, s6
	v_mov_b32_e32 v3, 0
	s_mul_i32 s18, s0, s5
	s_mov_b32 s13, 0
	s_waitcnt lgkmcnt(0)
	s_and_b32 s1, s12, 0xffff
	s_mov_b32 s12, s5
	v_mad_u64_u32 v[1:2], null, s15, s1, v[0:1]
	s_cmp_lg_u32 s6, 0
	s_mul_i32 s21, s20, s6
	s_cselect_b32 s15, -1, 0
	s_mul_i32 s21, s21, s5
	s_lshl_b64 s[16:17], s[12:13], 2
	s_mov_b32 s12, s18
	s_delay_alu instid0(VALU_DEP_1)
	v_cmp_gt_u32_e64 s0, s5, v1
	s_set_inst_prefetch_distance 0x1
	s_branch .LBB31_3
	.p2align	6
.LBB31_2:                               ;   in Loop: Header=BB31_3 Depth=1
	s_or_b32 exec_lo, exec_lo, s22
	s_add_i32 s14, s20, s14
	s_add_i32 s12, s12, s21
	s_cmp_ge_u32 s14, s4
	s_cbranch_scc1 .LBB31_9
.LBB31_3:                               ; =>This Loop Header: Depth=1
                                        ;     Child Loop BB31_6 Depth 2
                                        ;       Child Loop BB31_8 Depth 3
	s_delay_alu instid0(VALU_DEP_1)
	s_and_saveexec_b32 s22, s0
	s_cbranch_execz .LBB31_2
; %bb.4:                                ;   in Loop: Header=BB31_3 Depth=1
	s_load_b32 s23, s[2:3], 0x4
	v_mov_b32_e32 v2, v1
	s_lshl_b64 s[18:19], s[12:13], 2
	s_mov_b32 s24, 0
	s_waitcnt lgkmcnt(0)
	s_mul_i32 s23, s23, s1
	s_branch .LBB31_6
	.p2align	6
.LBB31_5:                               ;   in Loop: Header=BB31_6 Depth=2
	v_add_nc_u32_e32 v2, s23, v2
	s_delay_alu instid0(VALU_DEP_1) | instskip(SKIP_1) | instid1(SALU_CYCLE_1)
	v_cmp_le_u32_e32 vcc_lo, s5, v2
	s_or_b32 s24, vcc_lo, s24
	s_and_not1_b32 exec_lo, exec_lo, s24
	s_cbranch_execz .LBB31_2
.LBB31_6:                               ;   Parent Loop BB31_3 Depth=1
                                        ; =>  This Loop Header: Depth=2
                                        ;       Child Loop BB31_8 Depth 3
	s_and_not1_b32 vcc_lo, exec_lo, s15
	s_cbranch_vccnz .LBB31_5
; %bb.7:                                ;   in Loop: Header=BB31_6 Depth=2
	v_lshlrev_b64 v[4:5], 2, v[2:3]
	s_mov_b32 s25, s6
	s_delay_alu instid0(VALU_DEP_1) | instskip(NEXT) | instid1(VALU_DEP_2)
	v_add_co_u32 v0, vcc_lo, s18, v4
	v_add_co_ci_u32_e32 v4, vcc_lo, s19, v5, vcc_lo
	v_mov_b32_e32 v5, s7
	.p2align	6
.LBB31_8:                               ;   Parent Loop BB31_3 Depth=1
                                        ;     Parent Loop BB31_6 Depth=2
                                        ; =>    This Inner Loop Header: Depth=3
	s_delay_alu instid0(VALU_DEP_3) | instskip(NEXT) | instid1(VALU_DEP_3)
	v_add_co_u32 v6, vcc_lo, s10, v0
	v_add_co_ci_u32_e32 v7, vcc_lo, s11, v4, vcc_lo
	s_add_i32 s25, s25, -1
	s_delay_alu instid0(SALU_CYCLE_1)
	s_cmp_eq_u32 s25, 0
	global_load_b32 v8, v[6:7], off
	v_add_co_u32 v6, vcc_lo, s8, v0
	v_add_co_ci_u32_e32 v7, vcc_lo, s9, v4, vcc_lo
	v_add_co_u32 v0, vcc_lo, v0, s16
	v_add_co_ci_u32_e32 v4, vcc_lo, s17, v4, vcc_lo
	s_waitcnt vmcnt(0)
	v_add_nc_u32_e32 v5, v8, v5
	global_store_b32 v[6:7], v5, off
	s_cbranch_scc0 .LBB31_8
	s_branch .LBB31_5
.LBB31_9:
	s_set_inst_prefetch_distance 0x2
	s_nop 0
	s_sendmsg sendmsg(MSG_DEALLOC_VGPRS)
	s_endpgm
	.section	.rodata,"a",@progbits
	.p2align	6, 0x0
	.amdhsa_kernel _ZN2at6native28tensor_kernel_scan_outer_dimIijSt4plusIiEEEvPT_PKS4_jjjS4_T1_
		.amdhsa_group_segment_fixed_size 0
		.amdhsa_private_segment_fixed_size 0
		.amdhsa_kernarg_size 296
		.amdhsa_user_sgpr_count 14
		.amdhsa_user_sgpr_dispatch_ptr 0
		.amdhsa_user_sgpr_queue_ptr 0
		.amdhsa_user_sgpr_kernarg_segment_ptr 1
		.amdhsa_user_sgpr_dispatch_id 0
		.amdhsa_user_sgpr_private_segment_size 0
		.amdhsa_wavefront_size32 1
		.amdhsa_uses_dynamic_stack 0
		.amdhsa_enable_private_segment 0
		.amdhsa_system_sgpr_workgroup_id_x 1
		.amdhsa_system_sgpr_workgroup_id_y 1
		.amdhsa_system_sgpr_workgroup_id_z 0
		.amdhsa_system_sgpr_workgroup_info 0
		.amdhsa_system_vgpr_workitem_id 0
		.amdhsa_next_free_vgpr 9
		.amdhsa_next_free_sgpr 26
		.amdhsa_reserve_vcc 1
		.amdhsa_float_round_mode_32 0
		.amdhsa_float_round_mode_16_64 0
		.amdhsa_float_denorm_mode_32 3
		.amdhsa_float_denorm_mode_16_64 3
		.amdhsa_dx10_clamp 1
		.amdhsa_ieee_mode 1
		.amdhsa_fp16_overflow 0
		.amdhsa_workgroup_processor_mode 1
		.amdhsa_memory_ordered 1
		.amdhsa_forward_progress 0
		.amdhsa_shared_vgpr_count 0
		.amdhsa_exception_fp_ieee_invalid_op 0
		.amdhsa_exception_fp_denorm_src 0
		.amdhsa_exception_fp_ieee_div_zero 0
		.amdhsa_exception_fp_ieee_overflow 0
		.amdhsa_exception_fp_ieee_underflow 0
		.amdhsa_exception_fp_ieee_inexact 0
		.amdhsa_exception_int_div_zero 0
	.end_amdhsa_kernel
	.section	.text._ZN2at6native28tensor_kernel_scan_outer_dimIijSt4plusIiEEEvPT_PKS4_jjjS4_T1_,"axG",@progbits,_ZN2at6native28tensor_kernel_scan_outer_dimIijSt4plusIiEEEvPT_PKS4_jjjS4_T1_,comdat
.Lfunc_end31:
	.size	_ZN2at6native28tensor_kernel_scan_outer_dimIijSt4plusIiEEEvPT_PKS4_jjjS4_T1_, .Lfunc_end31-_ZN2at6native28tensor_kernel_scan_outer_dimIijSt4plusIiEEEvPT_PKS4_jjjS4_T1_
                                        ; -- End function
	.section	.AMDGPU.csdata,"",@progbits
; Kernel info:
; codeLenInByte = 368
; NumSgprs: 28
; NumVgprs: 9
; ScratchSize: 0
; MemoryBound: 0
; FloatMode: 240
; IeeeMode: 1
; LDSByteSize: 0 bytes/workgroup (compile time only)
; SGPRBlocks: 3
; VGPRBlocks: 1
; NumSGPRsForWavesPerEU: 28
; NumVGPRsForWavesPerEU: 9
; Occupancy: 16
; WaveLimiterHint : 0
; COMPUTE_PGM_RSRC2:SCRATCH_EN: 0
; COMPUTE_PGM_RSRC2:USER_SGPR: 14
; COMPUTE_PGM_RSRC2:TRAP_HANDLER: 0
; COMPUTE_PGM_RSRC2:TGID_X_EN: 1
; COMPUTE_PGM_RSRC2:TGID_Y_EN: 1
; COMPUTE_PGM_RSRC2:TGID_Z_EN: 0
; COMPUTE_PGM_RSRC2:TIDIG_COMP_CNT: 0
	.section	.text._ZN2at6native28tensor_kernel_scan_outer_dimIimSt4plusIiEEEvPT_PKS4_jjjS4_T1_,"axG",@progbits,_ZN2at6native28tensor_kernel_scan_outer_dimIimSt4plusIiEEEvPT_PKS4_jjjS4_T1_,comdat
	.protected	_ZN2at6native28tensor_kernel_scan_outer_dimIimSt4plusIiEEEvPT_PKS4_jjjS4_T1_ ; -- Begin function _ZN2at6native28tensor_kernel_scan_outer_dimIimSt4plusIiEEEvPT_PKS4_jjjS4_T1_
	.globl	_ZN2at6native28tensor_kernel_scan_outer_dimIimSt4plusIiEEEvPT_PKS4_jjjS4_T1_
	.p2align	8
	.type	_ZN2at6native28tensor_kernel_scan_outer_dimIimSt4plusIiEEEvPT_PKS4_jjjS4_T1_,@function
_ZN2at6native28tensor_kernel_scan_outer_dimIimSt4plusIiEEEvPT_PKS4_jjjS4_T1_: ; @_ZN2at6native28tensor_kernel_scan_outer_dimIimSt4plusIiEEEvPT_PKS4_jjjS4_T1_
; %bb.0:
	s_load_b128 s[4:7], s[0:1], 0x10
	s_waitcnt lgkmcnt(0)
	s_cmp_ge_u32 s14, s4
	s_cbranch_scc1 .LBB32_9
; %bb.1:
	s_clause 0x2
	s_load_b32 s12, s[0:1], 0x34
	s_load_b128 s[8:11], s[0:1], 0x0
	s_load_b32 s18, s[0:1], 0x28
	s_add_u32 s2, s0, 40
	s_addc_u32 s3, s1, 0
	v_mov_b32_e32 v3, 0
	s_mov_b32 s17, 0
	s_mul_hi_u32 s13, s6, s5
	s_mov_b32 s16, s5
	s_waitcnt lgkmcnt(0)
	s_and_b32 s1, s12, 0xffff
	s_cmp_lg_u32 s6, 0
	v_mad_u64_u32 v[1:2], null, s15, s1, v[0:1]
	s_mul_i32 s12, s6, s5
	s_cselect_b32 s15, -1, 0
	s_lshl_b64 s[12:13], s[12:13], 2
	s_lshl_b64 s[16:17], s[16:17], 2
	s_delay_alu instid0(VALU_DEP_1)
	v_cmp_gt_u32_e64 s0, s5, v1
	s_set_inst_prefetch_distance 0x1
	s_branch .LBB32_3
	.p2align	6
.LBB32_2:                               ;   in Loop: Header=BB32_3 Depth=1
	s_or_b32 exec_lo, exec_lo, s19
	s_add_i32 s14, s14, s18
	s_delay_alu instid0(SALU_CYCLE_1)
	s_cmp_ge_u32 s14, s4
	s_cbranch_scc1 .LBB32_9
.LBB32_3:                               ; =>This Loop Header: Depth=1
                                        ;     Child Loop BB32_6 Depth 2
                                        ;       Child Loop BB32_8 Depth 3
	s_delay_alu instid0(VALU_DEP_1)
	s_and_saveexec_b32 s19, s0
	s_cbranch_execz .LBB32_2
; %bb.4:                                ;   in Loop: Header=BB32_3 Depth=1
	s_load_b32 s22, s[2:3], 0x4
	v_mov_b32_e32 v2, v1
	s_mul_i32 s21, s13, s14
	s_mul_hi_u32 s23, s12, s14
	s_mul_i32 s20, s12, s14
	s_add_i32 s21, s23, s21
	s_mov_b32 s23, 0
	s_waitcnt lgkmcnt(0)
	s_mul_i32 s22, s22, s1
	s_branch .LBB32_6
	.p2align	6
.LBB32_5:                               ;   in Loop: Header=BB32_6 Depth=2
	v_add_nc_u32_e32 v2, s22, v2
	s_delay_alu instid0(VALU_DEP_1) | instskip(SKIP_1) | instid1(SALU_CYCLE_1)
	v_cmp_le_u32_e32 vcc_lo, s5, v2
	s_or_b32 s23, vcc_lo, s23
	s_and_not1_b32 exec_lo, exec_lo, s23
	s_cbranch_execz .LBB32_2
.LBB32_6:                               ;   Parent Loop BB32_3 Depth=1
                                        ; =>  This Loop Header: Depth=2
                                        ;       Child Loop BB32_8 Depth 3
	s_and_not1_b32 vcc_lo, exec_lo, s15
	s_cbranch_vccnz .LBB32_5
; %bb.7:                                ;   in Loop: Header=BB32_6 Depth=2
	v_lshlrev_b64 v[4:5], 2, v[2:3]
	s_mov_b32 s24, s6
	s_delay_alu instid0(VALU_DEP_1) | instskip(NEXT) | instid1(VALU_DEP_2)
	v_add_co_u32 v0, vcc_lo, s20, v4
	v_add_co_ci_u32_e32 v4, vcc_lo, s21, v5, vcc_lo
	v_mov_b32_e32 v5, s7
	.p2align	6
.LBB32_8:                               ;   Parent Loop BB32_3 Depth=1
                                        ;     Parent Loop BB32_6 Depth=2
                                        ; =>    This Inner Loop Header: Depth=3
	s_delay_alu instid0(VALU_DEP_3) | instskip(NEXT) | instid1(VALU_DEP_3)
	v_add_co_u32 v6, vcc_lo, s10, v0
	v_add_co_ci_u32_e32 v7, vcc_lo, s11, v4, vcc_lo
	s_add_i32 s24, s24, -1
	s_delay_alu instid0(SALU_CYCLE_1)
	s_cmp_eq_u32 s24, 0
	global_load_b32 v8, v[6:7], off
	v_add_co_u32 v6, vcc_lo, s8, v0
	v_add_co_ci_u32_e32 v7, vcc_lo, s9, v4, vcc_lo
	v_add_co_u32 v0, vcc_lo, v0, s16
	v_add_co_ci_u32_e32 v4, vcc_lo, s17, v4, vcc_lo
	s_waitcnt vmcnt(0)
	v_add_nc_u32_e32 v5, v8, v5
	global_store_b32 v[6:7], v5, off
	s_cbranch_scc0 .LBB32_8
	s_branch .LBB32_5
.LBB32_9:
	s_set_inst_prefetch_distance 0x2
	s_nop 0
	s_sendmsg sendmsg(MSG_DEALLOC_VGPRS)
	s_endpgm
	.section	.rodata,"a",@progbits
	.p2align	6, 0x0
	.amdhsa_kernel _ZN2at6native28tensor_kernel_scan_outer_dimIimSt4plusIiEEEvPT_PKS4_jjjS4_T1_
		.amdhsa_group_segment_fixed_size 0
		.amdhsa_private_segment_fixed_size 0
		.amdhsa_kernarg_size 296
		.amdhsa_user_sgpr_count 14
		.amdhsa_user_sgpr_dispatch_ptr 0
		.amdhsa_user_sgpr_queue_ptr 0
		.amdhsa_user_sgpr_kernarg_segment_ptr 1
		.amdhsa_user_sgpr_dispatch_id 0
		.amdhsa_user_sgpr_private_segment_size 0
		.amdhsa_wavefront_size32 1
		.amdhsa_uses_dynamic_stack 0
		.amdhsa_enable_private_segment 0
		.amdhsa_system_sgpr_workgroup_id_x 1
		.amdhsa_system_sgpr_workgroup_id_y 1
		.amdhsa_system_sgpr_workgroup_id_z 0
		.amdhsa_system_sgpr_workgroup_info 0
		.amdhsa_system_vgpr_workitem_id 0
		.amdhsa_next_free_vgpr 9
		.amdhsa_next_free_sgpr 25
		.amdhsa_reserve_vcc 1
		.amdhsa_float_round_mode_32 0
		.amdhsa_float_round_mode_16_64 0
		.amdhsa_float_denorm_mode_32 3
		.amdhsa_float_denorm_mode_16_64 3
		.amdhsa_dx10_clamp 1
		.amdhsa_ieee_mode 1
		.amdhsa_fp16_overflow 0
		.amdhsa_workgroup_processor_mode 1
		.amdhsa_memory_ordered 1
		.amdhsa_forward_progress 0
		.amdhsa_shared_vgpr_count 0
		.amdhsa_exception_fp_ieee_invalid_op 0
		.amdhsa_exception_fp_denorm_src 0
		.amdhsa_exception_fp_ieee_div_zero 0
		.amdhsa_exception_fp_ieee_overflow 0
		.amdhsa_exception_fp_ieee_underflow 0
		.amdhsa_exception_fp_ieee_inexact 0
		.amdhsa_exception_int_div_zero 0
	.end_amdhsa_kernel
	.section	.text._ZN2at6native28tensor_kernel_scan_outer_dimIimSt4plusIiEEEvPT_PKS4_jjjS4_T1_,"axG",@progbits,_ZN2at6native28tensor_kernel_scan_outer_dimIimSt4plusIiEEEvPT_PKS4_jjjS4_T1_,comdat
.Lfunc_end32:
	.size	_ZN2at6native28tensor_kernel_scan_outer_dimIimSt4plusIiEEEvPT_PKS4_jjjS4_T1_, .Lfunc_end32-_ZN2at6native28tensor_kernel_scan_outer_dimIimSt4plusIiEEEvPT_PKS4_jjjS4_T1_
                                        ; -- End function
	.section	.AMDGPU.csdata,"",@progbits
; Kernel info:
; codeLenInByte = 372
; NumSgprs: 27
; NumVgprs: 9
; ScratchSize: 0
; MemoryBound: 0
; FloatMode: 240
; IeeeMode: 1
; LDSByteSize: 0 bytes/workgroup (compile time only)
; SGPRBlocks: 3
; VGPRBlocks: 1
; NumSGPRsForWavesPerEU: 27
; NumVGPRsForWavesPerEU: 9
; Occupancy: 16
; WaveLimiterHint : 0
; COMPUTE_PGM_RSRC2:SCRATCH_EN: 0
; COMPUTE_PGM_RSRC2:USER_SGPR: 14
; COMPUTE_PGM_RSRC2:TRAP_HANDLER: 0
; COMPUTE_PGM_RSRC2:TGID_X_EN: 1
; COMPUTE_PGM_RSRC2:TGID_Y_EN: 1
; COMPUTE_PGM_RSRC2:TGID_Z_EN: 0
; COMPUTE_PGM_RSRC2:TIDIG_COMP_CNT: 0
	.section	.text._ZN2at4cuda3cub15calc_block_sumsILi256ELi16ELb0EllEEvPKT2_PT3_li,"axG",@progbits,_ZN2at4cuda3cub15calc_block_sumsILi256ELi16ELb0EllEEvPKT2_PT3_li,comdat
	.protected	_ZN2at4cuda3cub15calc_block_sumsILi256ELi16ELb0EllEEvPKT2_PT3_li ; -- Begin function _ZN2at4cuda3cub15calc_block_sumsILi256ELi16ELb0EllEEvPKT2_PT3_li
	.globl	_ZN2at4cuda3cub15calc_block_sumsILi256ELi16ELb0EllEEvPKT2_PT3_li
	.p2align	8
	.type	_ZN2at4cuda3cub15calc_block_sumsILi256ELi16ELb0EllEEvPKT2_PT3_li,@function
_ZN2at4cuda3cub15calc_block_sumsILi256ELi16ELb0EllEEvPKT2_PT3_li: ; @_ZN2at4cuda3cub15calc_block_sumsILi256ELi16ELb0EllEEvPKT2_PT3_li
; %bb.0:
	s_clause 0x1
	s_load_b32 s14, s[0:1], 0x18
	s_load_b64 s[10:11], s[0:1], 0x10
	s_waitcnt lgkmcnt(0)
	s_lshl_b32 s3, s14, 12
	s_delay_alu instid0(SALU_CYCLE_1)
	s_ashr_i32 s4, s3, 31
	s_mul_hi_u32 s5, s3, s15
	s_mul_i32 s4, s4, s15
	s_mul_i32 s12, s3, s15
	s_add_i32 s13, s5, s4
	s_sub_u32 s8, s10, s12
	s_subb_u32 s9, s11, s13
	s_delay_alu instid0(SALU_CYCLE_1) | instskip(NEXT) | instid1(VALU_DEP_1)
	v_cmp_lt_i64_e64 s3, s[8:9], 1
	s_and_b32 vcc_lo, exec_lo, s3
	s_cbranch_vccnz .LBB33_55
; %bb.1:
	s_load_b128 s[4:7], s[0:1], 0x0
	s_mov_b32 s2, s15
	s_cmp_gt_i32 s14, 0
	s_mov_b32 s3, 0
	s_cbranch_scc1 .LBB33_3
; %bb.2:
	s_mov_b64 s[0:1], 0
	s_mov_b32 s11, s3
	s_branch .LBB33_4
.LBB33_3:
	s_mov_b32 s11, -1
                                        ; implicit-def: $sgpr0_sgpr1
.LBB33_4:
	v_dual_mov_b32 v37, s1 :: v_dual_mov_b32 v36, s0
	s_and_not1_b32 vcc_lo, exec_lo, s11
	s_mov_b32 s11, s3
	s_cbranch_vccnz .LBB33_53
; %bb.5:
	v_lshrrev_b32_e32 v1, 2, v0
	s_mul_i32 s0, s2, s14
	v_dual_mov_b32 v36, 0 :: v_dual_add_nc_u32 v41, 0x200, v0
	s_lshl_b32 s1, s0, 12
	s_delay_alu instid0(VALU_DEP_2)
	v_and_b32_e32 v55, 0xf8, v1
	v_lshlrev_b32_e32 v1, 3, v0
	s_sub_i32 s1, s10, s1
	s_lshl_b64 s[10:11], s[12:13], 3
	v_dual_mov_b32 v3, 0 :: v_dual_add_nc_u32 v40, 0x100, v0
	s_waitcnt lgkmcnt(0)
	s_add_u32 s4, s4, s10
	s_addc_u32 s5, s5, s11
	v_add_co_u32 v38, s4, s4, v1
	v_dual_mov_b32 v37, 0 :: v_dual_add_nc_u32 v42, 0x300, v0
	v_or_b32_e32 v43, 0x400, v0
	v_add_nc_u32_e32 v44, 0x500, v0
	v_add_nc_u32_e32 v45, 0x600, v0
	v_add_nc_u32_e32 v46, 0x700, v0
	v_or_b32_e32 v47, 0x800, v0
	v_add_nc_u32_e32 v48, 0x900, v0
	v_add_nc_u32_e32 v49, 0xa00, v0
	v_add_nc_u32_e32 v50, 0xb00, v0
	;; [unrolled: 4-line block ×3, first 2 shown]
	v_cmp_gt_u32_e64 s0, 32, v0
	v_add_co_ci_u32_e64 v39, null, s5, 0, s4
	v_mbcnt_lo_u32_b32 v56, -1, 0
	s_mov_b32 s36, 0
	s_mov_b32 s11, -1
	s_mov_b32 s4, 0
	s_branch .LBB33_7
.LBB33_6:                               ;   in Loop: Header=BB33_7 Depth=1
	s_add_u32 s8, s8, 0xfffff000
	s_addc_u32 s9, s9, -1
	s_add_i32 s4, s4, 1
	v_add_co_u32 v38, vcc_lo, 0x8000, v38
	s_cmp_lt_i32 s4, s14
	v_add_co_ci_u32_e32 v39, vcc_lo, 0, v39, vcc_lo
	s_cselect_b32 s11, -1, 0
	s_addk_i32 s1, 0xf000
	s_cmp_eq_u32 s14, s4
	s_cselect_b32 s5, -1, 0
	s_barrier
	buffer_gl0_inv
	s_and_not1_b32 vcc_lo, exec_lo, s5
	s_cbranch_vccz .LBB33_53
.LBB33_7:                               ; =>This Inner Loop Header: Depth=1
	v_cmp_gt_i64_e64 s5, 0x1000, s[8:9]
                                        ; implicit-def: $vgpr1_vgpr2
	s_delay_alu instid0(VALU_DEP_1)
	s_and_b32 vcc_lo, exec_lo, s5
	s_mov_b32 s5, -1
	s_cbranch_vccz .LBB33_30
; %bb.8:                                ;   in Loop: Header=BB33_7 Depth=1
	s_mov_b32 s37, s36
	s_mov_b32 s38, s36
	;; [unrolled: 1-line block ×31, first 2 shown]
	v_dual_mov_b32 v4, s36 :: v_dual_mov_b32 v5, s37
	v_dual_mov_b32 v6, s38 :: v_dual_mov_b32 v7, s39
	v_dual_mov_b32 v8, s40 :: v_dual_mov_b32 v9, s41
	v_dual_mov_b32 v10, s42 :: v_dual_mov_b32 v11, s43
	v_dual_mov_b32 v12, s44 :: v_dual_mov_b32 v13, s45
	v_dual_mov_b32 v14, s46 :: v_dual_mov_b32 v15, s47
	v_dual_mov_b32 v16, s48 :: v_dual_mov_b32 v17, s49
	v_dual_mov_b32 v18, s50 :: v_dual_mov_b32 v19, s51
	v_dual_mov_b32 v20, s52 :: v_dual_mov_b32 v21, s53
	v_dual_mov_b32 v22, s54 :: v_dual_mov_b32 v23, s55
	v_dual_mov_b32 v24, s56 :: v_dual_mov_b32 v25, s57
	v_dual_mov_b32 v26, s58 :: v_dual_mov_b32 v27, s59
	v_dual_mov_b32 v28, s60 :: v_dual_mov_b32 v29, s61
	v_dual_mov_b32 v30, s62 :: v_dual_mov_b32 v31, s63
	v_dual_mov_b32 v32, s64 :: v_dual_mov_b32 v33, s65
	v_dual_mov_b32 v34, s66 :: v_dual_mov_b32 v35, s67
	s_mov_b32 s5, exec_lo
	v_cmpx_gt_u32_e64 s1, v0
	s_cbranch_execnz .LBB33_38
; %bb.9:                                ;   in Loop: Header=BB33_7 Depth=1
	s_or_b32 exec_lo, exec_lo, s5
	s_delay_alu instid0(SALU_CYCLE_1)
	s_mov_b32 s5, exec_lo
	v_cmpx_gt_u32_e64 s1, v40
	s_cbranch_execnz .LBB33_39
.LBB33_10:                              ;   in Loop: Header=BB33_7 Depth=1
	s_or_b32 exec_lo, exec_lo, s5
	s_delay_alu instid0(SALU_CYCLE_1)
	s_mov_b32 s5, exec_lo
	v_cmpx_gt_u32_e64 s1, v41
	s_cbranch_execnz .LBB33_40
.LBB33_11:                              ;   in Loop: Header=BB33_7 Depth=1
	s_or_b32 exec_lo, exec_lo, s5
	s_delay_alu instid0(SALU_CYCLE_1)
	s_mov_b32 s5, exec_lo
	v_cmpx_gt_u32_e64 s1, v42
	s_cbranch_execnz .LBB33_41
.LBB33_12:                              ;   in Loop: Header=BB33_7 Depth=1
	s_or_b32 exec_lo, exec_lo, s5
	s_delay_alu instid0(SALU_CYCLE_1)
	s_mov_b32 s5, exec_lo
	v_cmpx_gt_u32_e64 s1, v43
	s_cbranch_execnz .LBB33_42
.LBB33_13:                              ;   in Loop: Header=BB33_7 Depth=1
	s_or_b32 exec_lo, exec_lo, s5
	s_delay_alu instid0(SALU_CYCLE_1)
	s_mov_b32 s5, exec_lo
	v_cmpx_gt_u32_e64 s1, v44
	s_cbranch_execnz .LBB33_43
.LBB33_14:                              ;   in Loop: Header=BB33_7 Depth=1
	s_or_b32 exec_lo, exec_lo, s5
	s_delay_alu instid0(SALU_CYCLE_1)
	s_mov_b32 s5, exec_lo
	v_cmpx_gt_u32_e64 s1, v45
	s_cbranch_execnz .LBB33_44
.LBB33_15:                              ;   in Loop: Header=BB33_7 Depth=1
	s_or_b32 exec_lo, exec_lo, s5
	s_delay_alu instid0(SALU_CYCLE_1)
	s_mov_b32 s5, exec_lo
	v_cmpx_gt_u32_e64 s1, v46
	s_cbranch_execnz .LBB33_45
.LBB33_16:                              ;   in Loop: Header=BB33_7 Depth=1
	s_or_b32 exec_lo, exec_lo, s5
	s_delay_alu instid0(SALU_CYCLE_1)
	s_mov_b32 s5, exec_lo
	v_cmpx_gt_u32_e64 s1, v47
	s_cbranch_execnz .LBB33_46
.LBB33_17:                              ;   in Loop: Header=BB33_7 Depth=1
	s_or_b32 exec_lo, exec_lo, s5
	s_delay_alu instid0(SALU_CYCLE_1)
	s_mov_b32 s5, exec_lo
	v_cmpx_gt_u32_e64 s1, v48
	s_cbranch_execnz .LBB33_47
.LBB33_18:                              ;   in Loop: Header=BB33_7 Depth=1
	s_or_b32 exec_lo, exec_lo, s5
	s_delay_alu instid0(SALU_CYCLE_1)
	s_mov_b32 s5, exec_lo
	v_cmpx_gt_u32_e64 s1, v49
	s_cbranch_execnz .LBB33_48
.LBB33_19:                              ;   in Loop: Header=BB33_7 Depth=1
	s_or_b32 exec_lo, exec_lo, s5
	s_delay_alu instid0(SALU_CYCLE_1)
	s_mov_b32 s5, exec_lo
	v_cmpx_gt_u32_e64 s1, v50
	s_cbranch_execnz .LBB33_49
.LBB33_20:                              ;   in Loop: Header=BB33_7 Depth=1
	s_or_b32 exec_lo, exec_lo, s5
	s_delay_alu instid0(SALU_CYCLE_1)
	s_mov_b32 s5, exec_lo
	v_cmpx_gt_u32_e64 s1, v51
	s_cbranch_execnz .LBB33_50
.LBB33_21:                              ;   in Loop: Header=BB33_7 Depth=1
	s_or_b32 exec_lo, exec_lo, s5
	s_delay_alu instid0(SALU_CYCLE_1)
	s_mov_b32 s5, exec_lo
	v_cmpx_gt_u32_e64 s1, v52
	s_cbranch_execnz .LBB33_51
.LBB33_22:                              ;   in Loop: Header=BB33_7 Depth=1
	s_or_b32 exec_lo, exec_lo, s5
	s_delay_alu instid0(SALU_CYCLE_1)
	s_mov_b32 s5, exec_lo
	v_cmpx_gt_u32_e64 s1, v53
	s_cbranch_execnz .LBB33_52
.LBB33_23:                              ;   in Loop: Header=BB33_7 Depth=1
	s_or_b32 exec_lo, exec_lo, s5
	s_delay_alu instid0(SALU_CYCLE_1)
	s_mov_b32 s5, exec_lo
	v_cmpx_gt_u32_e64 s1, v54
	s_cbranch_execz .LBB33_25
.LBB33_24:                              ;   in Loop: Header=BB33_7 Depth=1
	v_add_co_u32 v1, vcc_lo, 0x7000, v38
	v_add_co_ci_u32_e32 v2, vcc_lo, 0, v39, vcc_lo
	global_load_b64 v[34:35], v[1:2], off offset:2048
.LBB33_25:                              ;   in Loop: Header=BB33_7 Depth=1
	s_or_b32 exec_lo, exec_lo, s5
	s_waitcnt vmcnt(0)
	v_add_co_u32 v1, vcc_lo, v6, v4
	v_add_co_ci_u32_e32 v2, vcc_lo, v7, v5, vcc_lo
	s_mov_b32 s5, exec_lo
	s_delay_alu instid0(VALU_DEP_2) | instskip(NEXT) | instid1(VALU_DEP_2)
	v_add_co_u32 v1, vcc_lo, v1, v8
	v_add_co_ci_u32_e32 v2, vcc_lo, v2, v9, vcc_lo
	s_delay_alu instid0(VALU_DEP_2) | instskip(NEXT) | instid1(VALU_DEP_2)
	v_add_co_u32 v1, vcc_lo, v1, v10
	v_add_co_ci_u32_e32 v2, vcc_lo, v2, v11, vcc_lo
	s_barrier
	s_delay_alu instid0(VALU_DEP_2) | instskip(NEXT) | instid1(VALU_DEP_2)
	v_add_co_u32 v1, vcc_lo, v1, v12
	v_add_co_ci_u32_e32 v2, vcc_lo, v2, v13, vcc_lo
	buffer_gl0_inv
	v_add_co_u32 v1, vcc_lo, v1, v14
	v_add_co_ci_u32_e32 v2, vcc_lo, v2, v15, vcc_lo
	s_delay_alu instid0(VALU_DEP_2) | instskip(NEXT) | instid1(VALU_DEP_2)
	v_add_co_u32 v1, vcc_lo, v1, v16
	v_add_co_ci_u32_e32 v2, vcc_lo, v2, v17, vcc_lo
	s_delay_alu instid0(VALU_DEP_2) | instskip(NEXT) | instid1(VALU_DEP_2)
	;; [unrolled: 3-line block ×10, first 2 shown]
	v_add_co_u32 v1, vcc_lo, v1, v34
	v_add_co_ci_u32_e32 v2, vcc_lo, v2, v35, vcc_lo
	s_delay_alu instid0(VALU_DEP_2) | instskip(NEXT) | instid1(VALU_DEP_1)
	v_mov_b32_dpp v4, v1 quad_perm:[1,0,3,2] row_mask:0xf bank_mask:0xf
	v_add_co_u32 v1, vcc_lo, v1, v4
	s_delay_alu instid0(VALU_DEP_3) | instskip(SKIP_1) | instid1(VALU_DEP_3)
	v_mov_b32_dpp v4, v2 quad_perm:[1,0,3,2] row_mask:0xf bank_mask:0xf
	v_add_co_ci_u32_e32 v2, vcc_lo, 0, v2, vcc_lo
	v_mov_b32_dpp v5, v1 quad_perm:[2,3,0,1] row_mask:0xf bank_mask:0xf
	v_add_co_u32 v1, vcc_lo, v1, 0
	s_delay_alu instid0(VALU_DEP_3) | instskip(NEXT) | instid1(VALU_DEP_2)
	v_add_co_ci_u32_e32 v2, vcc_lo, v2, v4, vcc_lo
	v_add_co_u32 v1, vcc_lo, v1, v5
	s_delay_alu instid0(VALU_DEP_2) | instskip(SKIP_1) | instid1(VALU_DEP_3)
	v_mov_b32_dpp v4, v2 quad_perm:[2,3,0,1] row_mask:0xf bank_mask:0xf
	v_add_co_ci_u32_e32 v2, vcc_lo, 0, v2, vcc_lo
	v_mov_b32_dpp v5, v1 row_ror:4 row_mask:0xf bank_mask:0xf
	v_add_co_u32 v1, vcc_lo, v1, 0
	s_delay_alu instid0(VALU_DEP_3) | instskip(NEXT) | instid1(VALU_DEP_2)
	v_add_co_ci_u32_e32 v2, vcc_lo, v2, v4, vcc_lo
	v_add_co_u32 v1, vcc_lo, v1, v5
	s_delay_alu instid0(VALU_DEP_2) | instskip(SKIP_1) | instid1(VALU_DEP_3)
	v_mov_b32_dpp v4, v2 row_ror:4 row_mask:0xf bank_mask:0xf
	v_add_co_ci_u32_e32 v2, vcc_lo, 0, v2, vcc_lo
	v_mov_b32_dpp v5, v1 row_ror:8 row_mask:0xf bank_mask:0xf
	v_add_co_u32 v1, vcc_lo, v1, 0
	s_delay_alu instid0(VALU_DEP_3) | instskip(NEXT) | instid1(VALU_DEP_2)
	v_add_co_ci_u32_e32 v2, vcc_lo, v2, v4, vcc_lo
	v_add_co_u32 v1, vcc_lo, v1, v5
	s_delay_alu instid0(VALU_DEP_2)
	v_mov_b32_dpp v4, v2 row_ror:8 row_mask:0xf bank_mask:0xf
	v_add_co_ci_u32_e32 v2, vcc_lo, 0, v2, vcc_lo
	ds_swizzle_b32 v5, v1 offset:swizzle(BROADCAST,32,15)
	v_add_co_u32 v1, vcc_lo, v1, 0
	v_add_co_ci_u32_e32 v2, vcc_lo, v2, v4, vcc_lo
	ds_swizzle_b32 v4, v2 offset:swizzle(BROADCAST,32,15)
	s_waitcnt lgkmcnt(1)
	v_add_co_u32 v1, vcc_lo, v1, v5
	v_add_co_ci_u32_e32 v2, vcc_lo, 0, v2, vcc_lo
	ds_bpermute_b32 v1, v3, v1 offset:124
	s_waitcnt lgkmcnt(1)
	v_add_nc_u32_e32 v2, v4, v2
	ds_bpermute_b32 v2, v3, v2 offset:124
	v_cmpx_eq_u32_e32 0, v56
	s_cbranch_execz .LBB33_27
; %bb.26:                               ;   in Loop: Header=BB33_7 Depth=1
	s_waitcnt lgkmcnt(0)
	ds_store_b64 v55, v[1:2]
.LBB33_27:                              ;   in Loop: Header=BB33_7 Depth=1
	s_or_b32 exec_lo, exec_lo, s5
	s_waitcnt lgkmcnt(0)
	s_barrier
	buffer_gl0_inv
	s_and_saveexec_b32 s5, s0
	s_cbranch_execz .LBB33_29
; %bb.28:                               ;   in Loop: Header=BB33_7 Depth=1
	v_and_b32_e32 v4, 7, v56
	s_delay_alu instid0(VALU_DEP_1) | instskip(SKIP_4) | instid1(VALU_DEP_2)
	v_lshlrev_b32_e32 v1, 3, v4
	v_cmp_ne_u32_e32 vcc_lo, 7, v4
	ds_load_b64 v[1:2], v1
	v_add_co_ci_u32_e32 v5, vcc_lo, 0, v56, vcc_lo
	v_cmp_gt_u32_e32 vcc_lo, 6, v4
	v_lshlrev_b32_e32 v5, 2, v5
	v_cndmask_b32_e64 v7, 0, 1, vcc_lo
	s_delay_alu instid0(VALU_DEP_1) | instskip(NEXT) | instid1(VALU_DEP_1)
	v_lshlrev_b32_e32 v7, 1, v7
	v_add_lshl_u32 v7, v7, v56, 2
	s_waitcnt lgkmcnt(0)
	ds_bpermute_b32 v6, v5, v1
	ds_bpermute_b32 v5, v5, v2
	s_waitcnt lgkmcnt(1)
	v_add_co_u32 v1, vcc_lo, v1, v6
	v_add_co_ci_u32_e32 v2, vcc_lo, 0, v2, vcc_lo
	ds_bpermute_b32 v6, v7, v1
	v_add_co_u32 v1, vcc_lo, 0, v1
	s_waitcnt lgkmcnt(1)
	v_add_co_ci_u32_e32 v2, vcc_lo, v5, v2, vcc_lo
	v_cmp_gt_u32_e32 vcc_lo, 4, v4
	ds_bpermute_b32 v5, v7, v2
	v_cndmask_b32_e64 v4, 0, 1, vcc_lo
	s_delay_alu instid0(VALU_DEP_1) | instskip(NEXT) | instid1(VALU_DEP_1)
	v_lshlrev_b32_e32 v4, 2, v4
	v_add_lshl_u32 v4, v4, v56, 2
	s_waitcnt lgkmcnt(1)
	v_add_co_u32 v1, vcc_lo, v1, v6
	v_add_co_ci_u32_e32 v2, vcc_lo, 0, v2, vcc_lo
	ds_bpermute_b32 v6, v4, v1
	v_add_co_u32 v1, vcc_lo, v1, 0
	s_waitcnt lgkmcnt(1)
	v_add_co_ci_u32_e32 v2, vcc_lo, v2, v5, vcc_lo
	ds_bpermute_b32 v4, v4, v2
	s_waitcnt lgkmcnt(1)
	v_add_co_u32 v1, vcc_lo, v1, v6
	v_add_co_ci_u32_e32 v2, vcc_lo, 0, v2, vcc_lo
	s_delay_alu instid0(VALU_DEP_2) | instskip(SKIP_1) | instid1(VALU_DEP_2)
	v_add_co_u32 v1, vcc_lo, v1, 0
	s_waitcnt lgkmcnt(0)
	v_add_co_ci_u32_e32 v2, vcc_lo, v2, v4, vcc_lo
.LBB33_29:                              ;   in Loop: Header=BB33_7 Depth=1
	s_or_b32 exec_lo, exec_lo, s5
	s_mov_b32 s5, 0
.LBB33_30:                              ;   in Loop: Header=BB33_7 Depth=1
	s_delay_alu instid0(SALU_CYCLE_1)
	s_and_b32 vcc_lo, exec_lo, s5
	s_cbranch_vccz .LBB33_36
; %bb.31:                               ;   in Loop: Header=BB33_7 Depth=1
	v_add_co_u32 v6, vcc_lo, v38, 0x2000
	v_add_co_ci_u32_e32 v7, vcc_lo, 0, v39, vcc_lo
	s_clause 0x1
	global_load_b64 v[1:2], v[38:39], off
	global_load_b64 v[4:5], v[38:39], off offset:2048
	v_add_co_u32 v8, vcc_lo, 0x1000, v38
	v_add_co_ci_u32_e32 v9, vcc_lo, 0, v39, vcc_lo
	s_clause 0x1
	global_load_b64 v[10:11], v[6:7], off offset:-4096
	global_load_b64 v[8:9], v[8:9], off offset:2048
	v_add_co_u32 v12, vcc_lo, 0x2000, v38
	v_add_co_ci_u32_e32 v13, vcc_lo, 0, v39, vcc_lo
	s_clause 0x1
	global_load_b64 v[6:7], v[6:7], off
	global_load_b64 v[12:13], v[12:13], off offset:2048
	v_add_co_u32 v14, vcc_lo, v38, 0x4000
	v_add_co_ci_u32_e32 v15, vcc_lo, 0, v39, vcc_lo
	v_add_co_u32 v16, vcc_lo, 0x3000, v38
	v_add_co_ci_u32_e32 v17, vcc_lo, 0, v39, vcc_lo
	s_clause 0x1
	global_load_b64 v[18:19], v[14:15], off offset:-4096
	global_load_b64 v[16:17], v[16:17], off offset:2048
	v_add_co_u32 v20, vcc_lo, 0x4000, v38
	v_add_co_ci_u32_e32 v21, vcc_lo, 0, v39, vcc_lo
	global_load_b64 v[14:15], v[14:15], off
	v_add_co_u32 v22, vcc_lo, v38, 0x6000
	global_load_b64 v[20:21], v[20:21], off offset:2048
	v_add_co_ci_u32_e32 v23, vcc_lo, 0, v39, vcc_lo
	v_add_co_u32 v24, vcc_lo, 0x5000, v38
	v_add_co_ci_u32_e32 v25, vcc_lo, 0, v39, vcc_lo
	s_clause 0x1
	global_load_b64 v[26:27], v[22:23], off offset:-4096
	global_load_b64 v[24:25], v[24:25], off offset:2048
	v_add_co_u32 v28, vcc_lo, 0x6000, v38
	v_add_co_ci_u32_e32 v29, vcc_lo, 0, v39, vcc_lo
	global_load_b64 v[22:23], v[22:23], off
	v_add_co_u32 v30, vcc_lo, 0x7000, v38
	v_add_co_ci_u32_e32 v31, vcc_lo, 0, v39, vcc_lo
	s_clause 0x2
	global_load_b64 v[28:29], v[28:29], off offset:2048
	global_load_b64 v[32:33], v[30:31], off
	global_load_b64 v[30:31], v[30:31], off offset:2048
	s_mov_b32 s5, exec_lo
	s_waitcnt vmcnt(0)
	s_barrier
	buffer_gl0_inv
	v_add_co_u32 v1, vcc_lo, v4, v1
	v_add_co_ci_u32_e32 v2, vcc_lo, v5, v2, vcc_lo
	s_delay_alu instid0(VALU_DEP_2) | instskip(NEXT) | instid1(VALU_DEP_2)
	v_add_co_u32 v1, vcc_lo, v1, v10
	v_add_co_ci_u32_e32 v2, vcc_lo, v2, v11, vcc_lo
	s_delay_alu instid0(VALU_DEP_2) | instskip(NEXT) | instid1(VALU_DEP_2)
	;; [unrolled: 3-line block ×14, first 2 shown]
	v_add_co_u32 v1, vcc_lo, v1, v30
	v_add_co_ci_u32_e32 v2, vcc_lo, v2, v31, vcc_lo
	s_delay_alu instid0(VALU_DEP_2) | instskip(NEXT) | instid1(VALU_DEP_1)
	v_mov_b32_dpp v4, v1 quad_perm:[1,0,3,2] row_mask:0xf bank_mask:0xf
	v_add_co_u32 v1, vcc_lo, v1, v4
	s_delay_alu instid0(VALU_DEP_3) | instskip(SKIP_1) | instid1(VALU_DEP_3)
	v_mov_b32_dpp v4, v2 quad_perm:[1,0,3,2] row_mask:0xf bank_mask:0xf
	v_add_co_ci_u32_e32 v2, vcc_lo, 0, v2, vcc_lo
	v_mov_b32_dpp v5, v1 quad_perm:[2,3,0,1] row_mask:0xf bank_mask:0xf
	v_add_co_u32 v1, vcc_lo, 0, v1
	s_delay_alu instid0(VALU_DEP_3) | instskip(NEXT) | instid1(VALU_DEP_2)
	v_add_co_ci_u32_e32 v2, vcc_lo, v4, v2, vcc_lo
	v_add_co_u32 v1, vcc_lo, v1, v5
	s_delay_alu instid0(VALU_DEP_2) | instskip(SKIP_1) | instid1(VALU_DEP_3)
	v_mov_b32_dpp v4, v2 quad_perm:[2,3,0,1] row_mask:0xf bank_mask:0xf
	v_add_co_ci_u32_e32 v2, vcc_lo, 0, v2, vcc_lo
	v_mov_b32_dpp v5, v1 row_ror:4 row_mask:0xf bank_mask:0xf
	v_add_co_u32 v1, vcc_lo, v1, 0
	s_delay_alu instid0(VALU_DEP_3) | instskip(NEXT) | instid1(VALU_DEP_2)
	v_add_co_ci_u32_e32 v2, vcc_lo, v2, v4, vcc_lo
	v_add_co_u32 v1, vcc_lo, v1, v5
	s_delay_alu instid0(VALU_DEP_2) | instskip(SKIP_1) | instid1(VALU_DEP_3)
	v_mov_b32_dpp v4, v2 row_ror:4 row_mask:0xf bank_mask:0xf
	v_add_co_ci_u32_e32 v2, vcc_lo, 0, v2, vcc_lo
	v_mov_b32_dpp v5, v1 row_ror:8 row_mask:0xf bank_mask:0xf
	v_add_co_u32 v1, vcc_lo, v1, 0
	s_delay_alu instid0(VALU_DEP_3) | instskip(NEXT) | instid1(VALU_DEP_2)
	v_add_co_ci_u32_e32 v2, vcc_lo, v2, v4, vcc_lo
	v_add_co_u32 v1, vcc_lo, v1, v5
	s_delay_alu instid0(VALU_DEP_2)
	v_mov_b32_dpp v4, v2 row_ror:8 row_mask:0xf bank_mask:0xf
	v_add_co_ci_u32_e32 v2, vcc_lo, 0, v2, vcc_lo
	ds_swizzle_b32 v5, v1 offset:swizzle(BROADCAST,32,15)
	v_add_co_u32 v1, vcc_lo, v1, 0
	v_add_co_ci_u32_e32 v2, vcc_lo, v2, v4, vcc_lo
	ds_swizzle_b32 v4, v2 offset:swizzle(BROADCAST,32,15)
	s_waitcnt lgkmcnt(1)
	v_add_co_u32 v1, vcc_lo, v1, v5
	v_add_co_ci_u32_e32 v2, vcc_lo, 0, v2, vcc_lo
	ds_bpermute_b32 v1, v3, v1 offset:124
	s_waitcnt lgkmcnt(1)
	v_add_nc_u32_e32 v2, v4, v2
	ds_bpermute_b32 v2, v3, v2 offset:124
	v_cmpx_eq_u32_e32 0, v56
	s_cbranch_execz .LBB33_33
; %bb.32:                               ;   in Loop: Header=BB33_7 Depth=1
	s_waitcnt lgkmcnt(0)
	ds_store_b64 v55, v[1:2]
.LBB33_33:                              ;   in Loop: Header=BB33_7 Depth=1
	s_or_b32 exec_lo, exec_lo, s5
	s_waitcnt lgkmcnt(0)
	s_barrier
	buffer_gl0_inv
	s_and_saveexec_b32 s5, s0
	s_cbranch_execz .LBB33_35
; %bb.34:                               ;   in Loop: Header=BB33_7 Depth=1
	v_and_b32_e32 v4, 7, v56
	s_delay_alu instid0(VALU_DEP_1) | instskip(SKIP_4) | instid1(VALU_DEP_2)
	v_lshlrev_b32_e32 v1, 3, v4
	v_cmp_ne_u32_e32 vcc_lo, 7, v4
	ds_load_b64 v[1:2], v1
	v_add_co_ci_u32_e32 v5, vcc_lo, 0, v56, vcc_lo
	v_cmp_gt_u32_e32 vcc_lo, 6, v4
	v_lshlrev_b32_e32 v5, 2, v5
	v_cndmask_b32_e64 v7, 0, 1, vcc_lo
	s_delay_alu instid0(VALU_DEP_1) | instskip(NEXT) | instid1(VALU_DEP_1)
	v_lshlrev_b32_e32 v7, 1, v7
	v_add_lshl_u32 v7, v7, v56, 2
	s_waitcnt lgkmcnt(0)
	ds_bpermute_b32 v6, v5, v1
	ds_bpermute_b32 v5, v5, v2
	s_waitcnt lgkmcnt(1)
	v_add_co_u32 v1, vcc_lo, v1, v6
	v_add_co_ci_u32_e32 v2, vcc_lo, 0, v2, vcc_lo
	ds_bpermute_b32 v6, v7, v1
	v_add_co_u32 v1, vcc_lo, 0, v1
	s_waitcnt lgkmcnt(1)
	v_add_co_ci_u32_e32 v2, vcc_lo, v5, v2, vcc_lo
	v_cmp_gt_u32_e32 vcc_lo, 4, v4
	ds_bpermute_b32 v5, v7, v2
	v_cndmask_b32_e64 v4, 0, 1, vcc_lo
	s_delay_alu instid0(VALU_DEP_1) | instskip(NEXT) | instid1(VALU_DEP_1)
	v_lshlrev_b32_e32 v4, 2, v4
	v_add_lshl_u32 v4, v4, v56, 2
	s_waitcnt lgkmcnt(1)
	v_add_co_u32 v1, vcc_lo, v1, v6
	v_add_co_ci_u32_e32 v2, vcc_lo, 0, v2, vcc_lo
	ds_bpermute_b32 v6, v4, v1
	v_add_co_u32 v1, vcc_lo, v1, 0
	s_waitcnt lgkmcnt(1)
	v_add_co_ci_u32_e32 v2, vcc_lo, v2, v5, vcc_lo
	ds_bpermute_b32 v4, v4, v2
	s_waitcnt lgkmcnt(1)
	v_add_co_u32 v1, vcc_lo, v1, v6
	v_add_co_ci_u32_e32 v2, vcc_lo, 0, v2, vcc_lo
	s_delay_alu instid0(VALU_DEP_2) | instskip(SKIP_1) | instid1(VALU_DEP_2)
	v_add_co_u32 v1, vcc_lo, v1, 0
	s_waitcnt lgkmcnt(0)
	v_add_co_ci_u32_e32 v2, vcc_lo, v2, v4, vcc_lo
.LBB33_35:                              ;   in Loop: Header=BB33_7 Depth=1
	s_or_b32 exec_lo, exec_lo, s5
.LBB33_36:                              ;   in Loop: Header=BB33_7 Depth=1
	v_cmp_gt_i64_e64 s5, 0x1001, s[8:9]
	v_add_co_u32 v36, vcc_lo, v1, v36
	s_delay_alu instid0(VALU_DEP_3) | instskip(NEXT) | instid1(VALU_DEP_3)
	v_add_co_ci_u32_e32 v37, vcc_lo, v2, v37, vcc_lo
	s_and_b32 vcc_lo, exec_lo, s5
	s_cbranch_vccz .LBB33_6
; %bb.37:
                                        ; implicit-def: $sgpr4
                                        ; implicit-def: $sgpr8_sgpr9
                                        ; implicit-def: $sgpr1
                                        ; implicit-def: $vgpr38_vgpr39
	s_branch .LBB33_53
.LBB33_38:                              ;   in Loop: Header=BB33_7 Depth=1
	global_load_b64 v[1:2], v[38:39], off
	v_mov_b32_e32 v32, v3
	v_mov_b32_e32 v4, v3
	;; [unrolled: 1-line block ×29, first 2 shown]
	s_waitcnt vmcnt(0)
	v_mov_b32_e32 v35, v32
	s_delay_alu instid0(VALU_DEP_2)
	v_dual_mov_b32 v34, v31 :: v_dual_mov_b32 v33, v30
	v_mov_b32_e32 v32, v29
	v_mov_b32_e32 v31, v28
	;; [unrolled: 1-line block ×29, first 2 shown]
	s_or_b32 exec_lo, exec_lo, s5
	s_delay_alu instid0(SALU_CYCLE_1)
	s_mov_b32 s5, exec_lo
	v_cmpx_gt_u32_e64 s1, v40
	s_cbranch_execz .LBB33_10
.LBB33_39:                              ;   in Loop: Header=BB33_7 Depth=1
	global_load_b64 v[6:7], v[38:39], off offset:2048
	s_or_b32 exec_lo, exec_lo, s5
	s_delay_alu instid0(SALU_CYCLE_1)
	s_mov_b32 s5, exec_lo
	v_cmpx_gt_u32_e64 s1, v41
	s_cbranch_execz .LBB33_11
.LBB33_40:                              ;   in Loop: Header=BB33_7 Depth=1
	v_add_co_u32 v1, vcc_lo, 0x1000, v38
	v_add_co_ci_u32_e32 v2, vcc_lo, 0, v39, vcc_lo
	global_load_b64 v[8:9], v[1:2], off
	s_or_b32 exec_lo, exec_lo, s5
	s_delay_alu instid0(SALU_CYCLE_1)
	s_mov_b32 s5, exec_lo
	v_cmpx_gt_u32_e64 s1, v42
	s_cbranch_execz .LBB33_12
.LBB33_41:                              ;   in Loop: Header=BB33_7 Depth=1
	v_add_co_u32 v1, vcc_lo, 0x1000, v38
	v_add_co_ci_u32_e32 v2, vcc_lo, 0, v39, vcc_lo
	global_load_b64 v[10:11], v[1:2], off offset:2048
	s_or_b32 exec_lo, exec_lo, s5
	s_delay_alu instid0(SALU_CYCLE_1)
	s_mov_b32 s5, exec_lo
	v_cmpx_gt_u32_e64 s1, v43
	s_cbranch_execz .LBB33_13
.LBB33_42:                              ;   in Loop: Header=BB33_7 Depth=1
	v_add_co_u32 v1, vcc_lo, 0x2000, v38
	v_add_co_ci_u32_e32 v2, vcc_lo, 0, v39, vcc_lo
	global_load_b64 v[12:13], v[1:2], off
	s_or_b32 exec_lo, exec_lo, s5
	s_delay_alu instid0(SALU_CYCLE_1)
	s_mov_b32 s5, exec_lo
	v_cmpx_gt_u32_e64 s1, v44
	s_cbranch_execz .LBB33_14
.LBB33_43:                              ;   in Loop: Header=BB33_7 Depth=1
	v_add_co_u32 v1, vcc_lo, 0x2000, v38
	v_add_co_ci_u32_e32 v2, vcc_lo, 0, v39, vcc_lo
	global_load_b64 v[14:15], v[1:2], off offset:2048
	s_or_b32 exec_lo, exec_lo, s5
	s_delay_alu instid0(SALU_CYCLE_1)
	s_mov_b32 s5, exec_lo
	v_cmpx_gt_u32_e64 s1, v45
	s_cbranch_execz .LBB33_15
.LBB33_44:                              ;   in Loop: Header=BB33_7 Depth=1
	v_add_co_u32 v1, vcc_lo, 0x3000, v38
	v_add_co_ci_u32_e32 v2, vcc_lo, 0, v39, vcc_lo
	global_load_b64 v[16:17], v[1:2], off
	s_or_b32 exec_lo, exec_lo, s5
	s_delay_alu instid0(SALU_CYCLE_1)
	s_mov_b32 s5, exec_lo
	v_cmpx_gt_u32_e64 s1, v46
	s_cbranch_execz .LBB33_16
.LBB33_45:                              ;   in Loop: Header=BB33_7 Depth=1
	v_add_co_u32 v1, vcc_lo, 0x3000, v38
	v_add_co_ci_u32_e32 v2, vcc_lo, 0, v39, vcc_lo
	global_load_b64 v[18:19], v[1:2], off offset:2048
	s_or_b32 exec_lo, exec_lo, s5
	s_delay_alu instid0(SALU_CYCLE_1)
	s_mov_b32 s5, exec_lo
	v_cmpx_gt_u32_e64 s1, v47
	s_cbranch_execz .LBB33_17
.LBB33_46:                              ;   in Loop: Header=BB33_7 Depth=1
	v_add_co_u32 v1, vcc_lo, 0x4000, v38
	v_add_co_ci_u32_e32 v2, vcc_lo, 0, v39, vcc_lo
	global_load_b64 v[20:21], v[1:2], off
	s_or_b32 exec_lo, exec_lo, s5
	s_delay_alu instid0(SALU_CYCLE_1)
	s_mov_b32 s5, exec_lo
	v_cmpx_gt_u32_e64 s1, v48
	s_cbranch_execz .LBB33_18
.LBB33_47:                              ;   in Loop: Header=BB33_7 Depth=1
	v_add_co_u32 v1, vcc_lo, 0x4000, v38
	v_add_co_ci_u32_e32 v2, vcc_lo, 0, v39, vcc_lo
	global_load_b64 v[22:23], v[1:2], off offset:2048
	s_or_b32 exec_lo, exec_lo, s5
	s_delay_alu instid0(SALU_CYCLE_1)
	s_mov_b32 s5, exec_lo
	v_cmpx_gt_u32_e64 s1, v49
	s_cbranch_execz .LBB33_19
.LBB33_48:                              ;   in Loop: Header=BB33_7 Depth=1
	v_add_co_u32 v1, vcc_lo, 0x5000, v38
	v_add_co_ci_u32_e32 v2, vcc_lo, 0, v39, vcc_lo
	global_load_b64 v[24:25], v[1:2], off
	s_or_b32 exec_lo, exec_lo, s5
	s_delay_alu instid0(SALU_CYCLE_1)
	s_mov_b32 s5, exec_lo
	v_cmpx_gt_u32_e64 s1, v50
	s_cbranch_execz .LBB33_20
.LBB33_49:                              ;   in Loop: Header=BB33_7 Depth=1
	v_add_co_u32 v1, vcc_lo, 0x5000, v38
	v_add_co_ci_u32_e32 v2, vcc_lo, 0, v39, vcc_lo
	global_load_b64 v[26:27], v[1:2], off offset:2048
	s_or_b32 exec_lo, exec_lo, s5
	s_delay_alu instid0(SALU_CYCLE_1)
	s_mov_b32 s5, exec_lo
	v_cmpx_gt_u32_e64 s1, v51
	s_cbranch_execz .LBB33_21
.LBB33_50:                              ;   in Loop: Header=BB33_7 Depth=1
	v_add_co_u32 v1, vcc_lo, 0x6000, v38
	v_add_co_ci_u32_e32 v2, vcc_lo, 0, v39, vcc_lo
	global_load_b64 v[28:29], v[1:2], off
	s_or_b32 exec_lo, exec_lo, s5
	s_delay_alu instid0(SALU_CYCLE_1)
	s_mov_b32 s5, exec_lo
	v_cmpx_gt_u32_e64 s1, v52
	s_cbranch_execz .LBB33_22
.LBB33_51:                              ;   in Loop: Header=BB33_7 Depth=1
	v_add_co_u32 v1, vcc_lo, 0x6000, v38
	v_add_co_ci_u32_e32 v2, vcc_lo, 0, v39, vcc_lo
	global_load_b64 v[30:31], v[1:2], off offset:2048
	s_or_b32 exec_lo, exec_lo, s5
	s_delay_alu instid0(SALU_CYCLE_1)
	s_mov_b32 s5, exec_lo
	v_cmpx_gt_u32_e64 s1, v53
	s_cbranch_execz .LBB33_23
.LBB33_52:                              ;   in Loop: Header=BB33_7 Depth=1
	v_add_co_u32 v1, vcc_lo, 0x7000, v38
	v_add_co_ci_u32_e32 v2, vcc_lo, 0, v39, vcc_lo
	global_load_b64 v[32:33], v[1:2], off
	s_or_b32 exec_lo, exec_lo, s5
	s_delay_alu instid0(SALU_CYCLE_1)
	s_mov_b32 s5, exec_lo
	v_cmpx_gt_u32_e64 s1, v54
	s_cbranch_execnz .LBB33_24
	s_branch .LBB33_25
.LBB33_53:
	v_cmp_eq_u32_e32 vcc_lo, 0, v0
	s_xor_b32 s0, s11, -1
	s_delay_alu instid0(SALU_CYCLE_1) | instskip(NEXT) | instid1(SALU_CYCLE_1)
	s_and_b32 s0, vcc_lo, s0
	s_and_saveexec_b32 s1, s0
	s_cbranch_execz .LBB33_55
; %bb.54:
	s_lshl_b64 s[0:1], s[2:3], 3
	v_mov_b32_e32 v0, 0
	s_waitcnt lgkmcnt(0)
	s_add_u32 s0, s6, s0
	s_addc_u32 s1, s7, s1
	global_store_b64 v0, v[36:37], s[0:1]
.LBB33_55:
	s_nop 0
	s_sendmsg sendmsg(MSG_DEALLOC_VGPRS)
	s_endpgm
	.section	.rodata,"a",@progbits
	.p2align	6, 0x0
	.amdhsa_kernel _ZN2at4cuda3cub15calc_block_sumsILi256ELi16ELb0EllEEvPKT2_PT3_li
		.amdhsa_group_segment_fixed_size 64
		.amdhsa_private_segment_fixed_size 0
		.amdhsa_kernarg_size 28
		.amdhsa_user_sgpr_count 15
		.amdhsa_user_sgpr_dispatch_ptr 0
		.amdhsa_user_sgpr_queue_ptr 0
		.amdhsa_user_sgpr_kernarg_segment_ptr 1
		.amdhsa_user_sgpr_dispatch_id 0
		.amdhsa_user_sgpr_private_segment_size 0
		.amdhsa_wavefront_size32 1
		.amdhsa_uses_dynamic_stack 0
		.amdhsa_enable_private_segment 0
		.amdhsa_system_sgpr_workgroup_id_x 1
		.amdhsa_system_sgpr_workgroup_id_y 0
		.amdhsa_system_sgpr_workgroup_id_z 0
		.amdhsa_system_sgpr_workgroup_info 0
		.amdhsa_system_vgpr_workitem_id 0
		.amdhsa_next_free_vgpr 57
		.amdhsa_next_free_sgpr 68
		.amdhsa_reserve_vcc 1
		.amdhsa_float_round_mode_32 0
		.amdhsa_float_round_mode_16_64 0
		.amdhsa_float_denorm_mode_32 3
		.amdhsa_float_denorm_mode_16_64 3
		.amdhsa_dx10_clamp 1
		.amdhsa_ieee_mode 1
		.amdhsa_fp16_overflow 0
		.amdhsa_workgroup_processor_mode 1
		.amdhsa_memory_ordered 1
		.amdhsa_forward_progress 0
		.amdhsa_shared_vgpr_count 0
		.amdhsa_exception_fp_ieee_invalid_op 0
		.amdhsa_exception_fp_denorm_src 0
		.amdhsa_exception_fp_ieee_div_zero 0
		.amdhsa_exception_fp_ieee_overflow 0
		.amdhsa_exception_fp_ieee_underflow 0
		.amdhsa_exception_fp_ieee_inexact 0
		.amdhsa_exception_int_div_zero 0
	.end_amdhsa_kernel
	.section	.text._ZN2at4cuda3cub15calc_block_sumsILi256ELi16ELb0EllEEvPKT2_PT3_li,"axG",@progbits,_ZN2at4cuda3cub15calc_block_sumsILi256ELi16ELb0EllEEvPKT2_PT3_li,comdat
.Lfunc_end33:
	.size	_ZN2at4cuda3cub15calc_block_sumsILi256ELi16ELb0EllEEvPKT2_PT3_li, .Lfunc_end33-_ZN2at4cuda3cub15calc_block_sumsILi256ELi16ELb0EllEEvPKT2_PT3_li
                                        ; -- End function
	.section	.AMDGPU.csdata,"",@progbits
; Kernel info:
; codeLenInByte = 4088
; NumSgprs: 70
; NumVgprs: 57
; ScratchSize: 0
; MemoryBound: 1
; FloatMode: 240
; IeeeMode: 1
; LDSByteSize: 64 bytes/workgroup (compile time only)
; SGPRBlocks: 8
; VGPRBlocks: 7
; NumSGPRsForWavesPerEU: 70
; NumVGPRsForWavesPerEU: 57
; Occupancy: 16
; WaveLimiterHint : 1
; COMPUTE_PGM_RSRC2:SCRATCH_EN: 0
; COMPUTE_PGM_RSRC2:USER_SGPR: 15
; COMPUTE_PGM_RSRC2:TRAP_HANDLER: 0
; COMPUTE_PGM_RSRC2:TGID_X_EN: 1
; COMPUTE_PGM_RSRC2:TGID_Y_EN: 0
; COMPUTE_PGM_RSRC2:TGID_Z_EN: 0
; COMPUTE_PGM_RSRC2:TIDIG_COMP_CNT: 0
	.section	.text._ZN2at4cuda3cub17final_scan_kernelILi256ELi16ElEEvPKT1_PS3_S6_li,"axG",@progbits,_ZN2at4cuda3cub17final_scan_kernelILi256ELi16ElEEvPKT1_PS3_S6_li,comdat
	.protected	_ZN2at4cuda3cub17final_scan_kernelILi256ELi16ElEEvPKT1_PS3_S6_li ; -- Begin function _ZN2at4cuda3cub17final_scan_kernelILi256ELi16ElEEvPKT1_PS3_S6_li
	.globl	_ZN2at4cuda3cub17final_scan_kernelILi256ELi16ElEEvPKT1_PS3_S6_li
	.p2align	8
	.type	_ZN2at4cuda3cub17final_scan_kernelILi256ELi16ElEEvPKT1_PS3_S6_li,@function
_ZN2at4cuda3cub17final_scan_kernelILi256ELi16ElEEvPKT1_PS3_S6_li: ; @_ZN2at4cuda3cub17final_scan_kernelILi256ELi16ElEEvPKT1_PS3_S6_li
; %bb.0:
	s_clause 0x1
	s_load_b32 s26, s[0:1], 0x20
	s_load_b256 s[16:23], s[0:1], 0x0
	s_waitcnt lgkmcnt(0)
	s_lshl_b32 s2, s26, 12
	s_delay_alu instid0(SALU_CYCLE_1)
	s_ashr_i32 s3, s2, 31
	s_mul_hi_u32 s4, s2, s15
	s_mul_i32 s3, s3, s15
	s_mul_i32 s24, s2, s15
	s_add_i32 s25, s4, s3
	s_sub_u32 s22, s22, s24
	s_subb_u32 s23, s23, s25
	s_delay_alu instid0(SALU_CYCLE_1) | instskip(NEXT) | instid1(VALU_DEP_1)
	v_cmp_lt_i64_e64 s2, s[22:23], 1
	s_and_b32 vcc_lo, exec_lo, s2
	s_cbranch_vccnz .LBB34_114
; %bb.1:
	v_mov_b32_e32 v1, 0
	v_dual_mov_b32 v2, 0 :: v_dual_lshlrev_b32 v73, 3, v0
	s_mov_b32 s2, exec_lo
	v_cmpx_gt_u32_e64 s15, v0
	s_cbranch_execz .LBB34_3
; %bb.2:
	global_load_b64 v[1:2], v73, s[20:21]
.LBB34_3:
	s_or_b32 exec_lo, exec_lo, s2
	s_load_b32 s0, s[0:1], 0x34
	s_mov_b32 s1, exec_lo
	s_waitcnt lgkmcnt(0)
	s_and_b32 s2, s0, 0xffff
	s_delay_alu instid0(SALU_CYCLE_1) | instskip(NEXT) | instid1(VALU_DEP_1)
	v_add_nc_u32_e32 v3, s2, v0
	v_cmpx_gt_u32_e64 s15, v3
	s_cbranch_execz .LBB34_7
; %bb.4:
	v_mov_b32_e32 v4, 0
	s_mov_b32 s3, 0
.LBB34_5:                               ; =>This Inner Loop Header: Depth=1
	s_delay_alu instid0(VALU_DEP_1) | instskip(SKIP_1) | instid1(VALU_DEP_2)
	v_lshlrev_b64 v[5:6], 3, v[3:4]
	v_add_nc_u32_e32 v3, s2, v3
	v_add_co_u32 v5, vcc_lo, s20, v5
	s_delay_alu instid0(VALU_DEP_3) | instskip(NEXT) | instid1(VALU_DEP_3)
	v_add_co_ci_u32_e32 v6, vcc_lo, s21, v6, vcc_lo
	v_cmp_le_u32_e32 vcc_lo, s15, v3
	global_load_b64 v[5:6], v[5:6], off
	s_or_b32 s3, vcc_lo, s3
	s_waitcnt vmcnt(0)
	v_add_co_u32 v1, s0, v5, v1
	s_delay_alu instid0(VALU_DEP_1)
	v_add_co_ci_u32_e64 v2, s0, v6, v2, s0
	s_and_not1_b32 exec_lo, exec_lo, s3
	s_cbranch_execnz .LBB34_5
; %bb.6:
	s_or_b32 exec_lo, exec_lo, s3
.LBB34_7:
	s_delay_alu instid0(SALU_CYCLE_1) | instskip(SKIP_2) | instid1(VALU_DEP_1)
	s_or_b32 exec_lo, exec_lo, s1
	s_waitcnt vmcnt(0)
	v_mov_b32_dpp v3, v1 quad_perm:[1,0,3,2] row_mask:0xf bank_mask:0xf
	v_add_co_u32 v1, vcc_lo, v1, v3
	v_mov_b32_dpp v3, v2 quad_perm:[1,0,3,2] row_mask:0xf bank_mask:0xf
	v_add_co_ci_u32_e32 v2, vcc_lo, 0, v2, vcc_lo
	s_delay_alu instid0(VALU_DEP_3) | instskip(SKIP_1) | instid1(VALU_DEP_3)
	v_mov_b32_dpp v4, v1 quad_perm:[2,3,0,1] row_mask:0xf bank_mask:0xf
	v_add_co_u32 v1, vcc_lo, 0, v1
	v_add_co_ci_u32_e32 v2, vcc_lo, v3, v2, vcc_lo
	s_delay_alu instid0(VALU_DEP_2) | instskip(NEXT) | instid1(VALU_DEP_2)
	v_add_co_u32 v1, vcc_lo, v1, v4
	v_mov_b32_dpp v3, v2 quad_perm:[2,3,0,1] row_mask:0xf bank_mask:0xf
	v_add_co_ci_u32_e32 v2, vcc_lo, 0, v2, vcc_lo
	s_delay_alu instid0(VALU_DEP_3) | instskip(SKIP_1) | instid1(VALU_DEP_3)
	v_mov_b32_dpp v4, v1 row_ror:4 row_mask:0xf bank_mask:0xf
	v_add_co_u32 v1, vcc_lo, v1, 0
	v_add_co_ci_u32_e32 v2, vcc_lo, v2, v3, vcc_lo
	s_delay_alu instid0(VALU_DEP_2) | instskip(NEXT) | instid1(VALU_DEP_2)
	v_add_co_u32 v1, vcc_lo, v1, v4
	v_mov_b32_dpp v3, v2 row_ror:4 row_mask:0xf bank_mask:0xf
	v_add_co_ci_u32_e32 v2, vcc_lo, 0, v2, vcc_lo
	s_delay_alu instid0(VALU_DEP_3) | instskip(SKIP_1) | instid1(VALU_DEP_3)
	v_mov_b32_dpp v4, v1 row_ror:8 row_mask:0xf bank_mask:0xf
	v_add_co_u32 v1, vcc_lo, v1, 0
	v_add_co_ci_u32_e32 v2, vcc_lo, v2, v3, vcc_lo
	s_delay_alu instid0(VALU_DEP_2) | instskip(NEXT) | instid1(VALU_DEP_2)
	v_add_co_u32 v1, vcc_lo, v1, v4
	v_mov_b32_dpp v3, v2 row_ror:8 row_mask:0xf bank_mask:0xf
	v_add_co_ci_u32_e32 v2, vcc_lo, 0, v2, vcc_lo
	ds_swizzle_b32 v4, v1 offset:swizzle(BROADCAST,32,15)
	v_add_co_u32 v1, vcc_lo, v1, 0
	v_add_co_ci_u32_e32 v2, vcc_lo, v2, v3, vcc_lo
	ds_swizzle_b32 v3, v2 offset:swizzle(BROADCAST,32,15)
	s_waitcnt lgkmcnt(1)
	v_add_co_u32 v1, vcc_lo, v1, v4
	v_add_co_ci_u32_e32 v2, vcc_lo, 0, v2, vcc_lo
	v_mov_b32_e32 v4, 0
	s_waitcnt lgkmcnt(0)
	s_delay_alu instid0(VALU_DEP_2) | instskip(SKIP_4) | instid1(VALU_DEP_1)
	v_add_nc_u32_e32 v2, v3, v2
	ds_bpermute_b32 v35, v4, v1 offset:124
	v_mbcnt_lo_u32_b32 v1, -1, 0
	ds_bpermute_b32 v36, v4, v2 offset:124
	v_cmp_eq_u32_e64 s0, 0, v1
	s_and_saveexec_b32 s1, s0
	s_cbranch_execz .LBB34_9
; %bb.8:
	v_lshrrev_b32_e32 v2, 2, v0
	s_delay_alu instid0(VALU_DEP_1)
	v_and_b32_e32 v2, 0xf8, v2
	s_waitcnt lgkmcnt(0)
	ds_store_b64 v2, v[35:36]
.LBB34_9:
	s_or_b32 exec_lo, exec_lo, s1
	v_cmp_lt_u32_e64 s1, 31, v0
	v_cmp_gt_u32_e64 s2, 32, v0
	v_and_b32_e32 v2, 7, v1
	s_waitcnt lgkmcnt(0)
	s_barrier
	buffer_gl0_inv
	s_and_saveexec_b32 s3, s2
	s_cbranch_execz .LBB34_11
; %bb.10:
	v_lshlrev_b32_e32 v3, 3, v2
	v_cmp_ne_u32_e32 vcc_lo, 7, v2
	ds_load_b64 v[3:4], v3
	v_add_co_ci_u32_e32 v5, vcc_lo, 0, v1, vcc_lo
	v_cmp_gt_u32_e32 vcc_lo, 6, v2
	s_delay_alu instid0(VALU_DEP_2) | instskip(SKIP_1) | instid1(VALU_DEP_1)
	v_lshlrev_b32_e32 v5, 2, v5
	v_cndmask_b32_e64 v7, 0, 1, vcc_lo
	v_lshlrev_b32_e32 v7, 1, v7
	s_delay_alu instid0(VALU_DEP_1)
	v_add_lshl_u32 v7, v7, v1, 2
	s_waitcnt lgkmcnt(0)
	ds_bpermute_b32 v6, v5, v3
	ds_bpermute_b32 v5, v5, v4
	s_waitcnt lgkmcnt(1)
	v_add_co_u32 v3, vcc_lo, v3, v6
	v_add_co_ci_u32_e32 v4, vcc_lo, 0, v4, vcc_lo
	ds_bpermute_b32 v6, v7, v3
	v_add_co_u32 v3, vcc_lo, 0, v3
	s_waitcnt lgkmcnt(1)
	v_add_co_ci_u32_e32 v4, vcc_lo, v5, v4, vcc_lo
	v_cmp_gt_u32_e32 vcc_lo, 4, v2
	ds_bpermute_b32 v7, v7, v4
	v_cndmask_b32_e64 v5, 0, 1, vcc_lo
	s_delay_alu instid0(VALU_DEP_1) | instskip(NEXT) | instid1(VALU_DEP_1)
	v_lshlrev_b32_e32 v5, 2, v5
	v_add_lshl_u32 v5, v5, v1, 2
	s_waitcnt lgkmcnt(1)
	v_add_co_u32 v3, vcc_lo, v3, v6
	v_add_co_ci_u32_e32 v4, vcc_lo, 0, v4, vcc_lo
	ds_bpermute_b32 v6, v5, v3
	v_add_co_u32 v3, vcc_lo, v3, 0
	s_waitcnt lgkmcnt(1)
	v_add_co_ci_u32_e32 v4, vcc_lo, v4, v7, vcc_lo
	ds_bpermute_b32 v5, v5, v4
	s_waitcnt lgkmcnt(1)
	v_add_co_u32 v3, vcc_lo, v3, v6
	v_add_co_ci_u32_e32 v4, vcc_lo, 0, v4, vcc_lo
	s_delay_alu instid0(VALU_DEP_2) | instskip(SKIP_1) | instid1(VALU_DEP_2)
	v_add_co_u32 v35, vcc_lo, v3, 0
	s_waitcnt lgkmcnt(0)
	v_add_co_ci_u32_e32 v36, vcc_lo, v4, v5, vcc_lo
.LBB34_11:
	s_or_b32 exec_lo, exec_lo, s3
	s_cmp_lt_i32 s26, 1
	s_barrier
	buffer_gl0_inv
	s_cbranch_scc1 .LBB34_114
; %bb.12:
	v_lshlrev_b32_e32 v3, 4, v0
	v_cmp_ne_u32_e64 s10, 0, v2
	v_cmp_lt_u32_e64 s11, 1, v2
	v_cmp_lt_u32_e64 s12, 3, v2
	s_lshl_b64 s[14:15], s[24:25], 3
	v_and_b32_e32 v3, 0x3e00, v3
	v_cmp_gt_u32_e64 s9, 8, v0
	v_cmp_eq_u32_e64 s13, 0, v0
	v_lshlrev_b32_e32 v110, 3, v1
	s_mov_b32 s36, 0
	v_or_b32_e32 v74, v1, v3
	v_lshrrev_b32_e32 v3, 5, v3
	s_delay_alu instid0(VALU_DEP_2)
	v_or_b32_e32 v75, 32, v74
	v_or_b32_e32 v79, 0xa0, v74
	;; [unrolled: 1-line block ×5, first 2 shown]
	v_lshrrev_b32_e32 v4, 5, v75
	v_or_b32_e32 v78, 0x80, v74
	v_or_b32_e32 v81, 0xe0, v74
	;; [unrolled: 1-line block ×3, first 2 shown]
	v_lshrrev_b32_e32 v6, 5, v77
	v_add_lshl_u32 v91, v4, v75, 3
	v_lshrrev_b32_e32 v4, 5, v79
	v_add_lshl_u32 v90, v3, v74, 3
	;; [unrolled: 2-line block ×6, first 2 shown]
	v_or_b32_e32 v76, 64, v74
	v_add_lshl_u32 v100, v4, v84, 3
	v_lshrrev_b32_e32 v4, 5, v87
	v_add_lshl_u32 v99, v3, v83, 3
	v_or_b32_e32 v80, 0xc0, v74
	v_lshrrev_b32_e32 v5, 5, v76
	v_or_b32_e32 v85, 0x160, v74
	v_add_lshl_u32 v103, v4, v87, 3
	v_and_b32_e32 v4, 15, v1
	v_or_b32_e32 v82, 0x100, v74
	v_add_lshl_u32 v92, v5, v76, 3
	v_lshrrev_b32_e32 v5, 5, v80
	v_or_b32_e32 v88, 0x1c0, v74
	v_cmp_ne_u32_e64 s3, 0, v4
	v_cmp_lt_u32_e64 s4, 1, v4
	v_cmp_lt_u32_e64 s5, 3, v4
	;; [unrolled: 1-line block ×3, first 2 shown]
	v_add_nc_u32_e32 v4, -1, v1
	v_add_lshl_u32 v96, v5, v80, 3
	v_lshrrev_b32_e32 v5, 5, v85
	v_or_b32_e32 v86, 0x180, v74
	v_lshrrev_b32_e32 v7, 5, v82
	v_cmp_gt_i32_e32 vcc_lo, 0, v4
	v_and_b32_e32 v6, 0x3e0, v0
	v_add_lshl_u32 v101, v5, v85, 3
	v_lshrrev_b32_e32 v5, 5, v88
	v_or_b32_e32 v89, 0x1e0, v74
	v_add_lshl_u32 v98, v7, v82, 3
	v_or_b32_e32 v3, v1, v6
	v_lshrrev_b32_e32 v7, 5, v86
	v_add_lshl_u32 v104, v5, v88, 3
	v_and_b32_e32 v5, 16, v1
	s_delay_alu instid0(VALU_DEP_4) | instskip(SKIP_4) | instid1(VALU_DEP_4)
	v_lshlrev_b32_e32 v8, 4, v3
	v_bfe_u32 v3, v3, 1, 27
	v_add_lshl_u32 v102, v7, v86, 3
	v_lshrrev_b32_e32 v7, 5, v89
	v_cmp_ne_u32_e64 s7, 0, v5
	v_add_lshl_u32 v106, v3, v8, 3
	v_min_u32_e32 v3, 0xe0, v6
	v_lshrrev_b32_e32 v6, 5, v0
	v_add_lshl_u32 v105, v7, v89, 3
	s_delay_alu instid0(VALU_DEP_3) | instskip(NEXT) | instid1(VALU_DEP_3)
	v_or_b32_e32 v3, 31, v3
	v_lshlrev_b32_e32 v2, 12, v6
	v_lshlrev_b32_e32 v107, 3, v6
	s_delay_alu instid0(VALU_DEP_3) | instskip(SKIP_1) | instid1(VALU_DEP_4)
	v_cmp_eq_u32_e64 s8, v3, v0
	v_cndmask_b32_e32 v3, v4, v1, vcc_lo
	v_add_co_u32 v0, s14, s14, v2
	s_delay_alu instid0(VALU_DEP_4) | instskip(NEXT) | instid1(VALU_DEP_3)
	v_add_nc_u32_e32 v108, -8, v107
	v_dual_mov_b32 v2, 0 :: v_dual_lshlrev_b32 v109, 2, v3
	v_add_co_ci_u32_e64 v3, null, s15, 0, s14
	s_delay_alu instid0(VALU_DEP_4) | instskip(NEXT) | instid1(VALU_DEP_2)
	v_add_co_u32 v1, vcc_lo, v0, s18
	v_add_co_ci_u32_e32 v4, vcc_lo, s19, v3, vcc_lo
	s_delay_alu instid0(VALU_DEP_2) | instskip(NEXT) | instid1(VALU_DEP_2)
	v_add_co_u32 v37, vcc_lo, 0xf00, v1
	v_add_co_ci_u32_e32 v38, vcc_lo, 0, v4, vcc_lo
	v_add_co_u32 v39, vcc_lo, s16, v0
	v_add_co_ci_u32_e32 v40, vcc_lo, s17, v3, vcc_lo
	s_branch .LBB34_14
.LBB34_13:                              ;   in Loop: Header=BB34_14 Depth=1
	v_add_co_u32 v37, vcc_lo, 0x8000, v37
	v_add_co_ci_u32_e32 v38, vcc_lo, 0, v38, vcc_lo
	s_add_u32 s22, s22, 0xfffff000
	v_add_co_u32 v39, vcc_lo, 0x8000, v39
	s_addc_u32 s23, s23, -1
	s_add_i32 s26, s26, -1
	v_add_co_ci_u32_e32 v40, vcc_lo, 0, v40, vcc_lo
	s_cmp_eq_u32 s26, 0
	s_waitcnt lgkmcnt(0)
	s_waitcnt_vscnt null, 0x0
	s_cselect_b32 s14, -1, 0
	s_barrier
	buffer_gl0_inv
	s_and_not1_b32 vcc_lo, exec_lo, s14
	s_cbranch_vccz .LBB34_114
.LBB34_14:                              ; =>This Inner Loop Header: Depth=1
	v_cmp_lt_i64_e64 s14, 0xfff, s[22:23]
	v_cmp_gt_i64_e64 s15, 0x1000, s[22:23]
	s_mov_b32 s16, -1
	s_delay_alu instid0(VALU_DEP_2)
	s_and_b32 vcc_lo, exec_lo, s14
	v_cmp_gt_u32_e64 s14, s22, v74
	s_cbranch_vccnz .LBB34_33
; %bb.15:                               ;   in Loop: Header=BB34_14 Depth=1
	s_mov_b32 s37, s36
	s_mov_b32 s38, s36
	;; [unrolled: 1-line block ×31, first 2 shown]
	v_add_co_u32 v41, vcc_lo, v39, v110
	s_waitcnt lgkmcnt(0)
	v_dual_mov_b32 v3, s36 :: v_dual_mov_b32 v4, s37
	v_dual_mov_b32 v5, s38 :: v_dual_mov_b32 v6, s39
	v_dual_mov_b32 v7, s40 :: v_dual_mov_b32 v8, s41
	v_dual_mov_b32 v9, s42 :: v_dual_mov_b32 v10, s43
	v_dual_mov_b32 v11, s44 :: v_dual_mov_b32 v12, s45
	v_dual_mov_b32 v13, s46 :: v_dual_mov_b32 v14, s47
	v_dual_mov_b32 v15, s48 :: v_dual_mov_b32 v16, s49
	v_dual_mov_b32 v17, s50 :: v_dual_mov_b32 v18, s51
	v_dual_mov_b32 v19, s52 :: v_dual_mov_b32 v20, s53
	v_dual_mov_b32 v21, s54 :: v_dual_mov_b32 v22, s55
	v_dual_mov_b32 v23, s56 :: v_dual_mov_b32 v24, s57
	v_dual_mov_b32 v25, s58 :: v_dual_mov_b32 v26, s59
	v_dual_mov_b32 v27, s60 :: v_dual_mov_b32 v28, s61
	v_dual_mov_b32 v29, s62 :: v_dual_mov_b32 v30, s63
	v_dual_mov_b32 v31, s64 :: v_dual_mov_b32 v32, s65
	v_dual_mov_b32 v33, s66 :: v_dual_mov_b32 v34, s67
	v_add_co_ci_u32_e32 v42, vcc_lo, 0, v40, vcc_lo
	s_and_saveexec_b32 s16, s14
	s_cbranch_execnz .LBB34_99
; %bb.16:                               ;   in Loop: Header=BB34_14 Depth=1
	s_or_b32 exec_lo, exec_lo, s16
	s_delay_alu instid0(SALU_CYCLE_1)
	s_mov_b32 s14, exec_lo
	v_cmpx_gt_u32_e64 s22, v75
	s_cbranch_execnz .LBB34_100
.LBB34_17:                              ;   in Loop: Header=BB34_14 Depth=1
	s_or_b32 exec_lo, exec_lo, s14
	s_delay_alu instid0(SALU_CYCLE_1)
	s_mov_b32 s14, exec_lo
	v_cmpx_gt_u32_e64 s22, v76
	s_cbranch_execnz .LBB34_101
.LBB34_18:                              ;   in Loop: Header=BB34_14 Depth=1
	s_or_b32 exec_lo, exec_lo, s14
	s_delay_alu instid0(SALU_CYCLE_1)
	s_mov_b32 s14, exec_lo
	v_cmpx_gt_u32_e64 s22, v77
	s_cbranch_execnz .LBB34_102
.LBB34_19:                              ;   in Loop: Header=BB34_14 Depth=1
	s_or_b32 exec_lo, exec_lo, s14
	s_delay_alu instid0(SALU_CYCLE_1)
	s_mov_b32 s14, exec_lo
	v_cmpx_gt_u32_e64 s22, v78
	s_cbranch_execnz .LBB34_103
.LBB34_20:                              ;   in Loop: Header=BB34_14 Depth=1
	s_or_b32 exec_lo, exec_lo, s14
	s_delay_alu instid0(SALU_CYCLE_1)
	s_mov_b32 s14, exec_lo
	v_cmpx_gt_u32_e64 s22, v79
	s_cbranch_execnz .LBB34_104
.LBB34_21:                              ;   in Loop: Header=BB34_14 Depth=1
	s_or_b32 exec_lo, exec_lo, s14
	s_delay_alu instid0(SALU_CYCLE_1)
	s_mov_b32 s14, exec_lo
	v_cmpx_gt_u32_e64 s22, v80
	s_cbranch_execnz .LBB34_105
.LBB34_22:                              ;   in Loop: Header=BB34_14 Depth=1
	s_or_b32 exec_lo, exec_lo, s14
	s_delay_alu instid0(SALU_CYCLE_1)
	s_mov_b32 s14, exec_lo
	v_cmpx_gt_u32_e64 s22, v81
	s_cbranch_execnz .LBB34_106
.LBB34_23:                              ;   in Loop: Header=BB34_14 Depth=1
	s_or_b32 exec_lo, exec_lo, s14
	s_delay_alu instid0(SALU_CYCLE_1)
	s_mov_b32 s14, exec_lo
	v_cmpx_gt_u32_e64 s22, v82
	s_cbranch_execnz .LBB34_107
.LBB34_24:                              ;   in Loop: Header=BB34_14 Depth=1
	s_or_b32 exec_lo, exec_lo, s14
	s_delay_alu instid0(SALU_CYCLE_1)
	s_mov_b32 s14, exec_lo
	v_cmpx_gt_u32_e64 s22, v83
	s_cbranch_execnz .LBB34_108
.LBB34_25:                              ;   in Loop: Header=BB34_14 Depth=1
	s_or_b32 exec_lo, exec_lo, s14
	s_delay_alu instid0(SALU_CYCLE_1)
	s_mov_b32 s14, exec_lo
	v_cmpx_gt_u32_e64 s22, v84
	s_cbranch_execnz .LBB34_109
.LBB34_26:                              ;   in Loop: Header=BB34_14 Depth=1
	s_or_b32 exec_lo, exec_lo, s14
	s_delay_alu instid0(SALU_CYCLE_1)
	s_mov_b32 s14, exec_lo
	v_cmpx_gt_u32_e64 s22, v85
	s_cbranch_execnz .LBB34_110
.LBB34_27:                              ;   in Loop: Header=BB34_14 Depth=1
	s_or_b32 exec_lo, exec_lo, s14
	s_delay_alu instid0(SALU_CYCLE_1)
	s_mov_b32 s14, exec_lo
	v_cmpx_gt_u32_e64 s22, v86
	s_cbranch_execnz .LBB34_111
.LBB34_28:                              ;   in Loop: Header=BB34_14 Depth=1
	s_or_b32 exec_lo, exec_lo, s14
	s_delay_alu instid0(SALU_CYCLE_1)
	s_mov_b32 s14, exec_lo
	v_cmpx_gt_u32_e64 s22, v87
	s_cbranch_execnz .LBB34_112
.LBB34_29:                              ;   in Loop: Header=BB34_14 Depth=1
	s_or_b32 exec_lo, exec_lo, s14
	s_delay_alu instid0(SALU_CYCLE_1)
	s_mov_b32 s14, exec_lo
	v_cmpx_gt_u32_e64 s22, v88
	s_cbranch_execnz .LBB34_113
.LBB34_30:                              ;   in Loop: Header=BB34_14 Depth=1
	s_or_b32 exec_lo, exec_lo, s14
	s_delay_alu instid0(SALU_CYCLE_1)
	s_mov_b32 s14, exec_lo
	v_cmpx_gt_u32_e64 s22, v89
	s_cbranch_execz .LBB34_32
.LBB34_31:                              ;   in Loop: Header=BB34_14 Depth=1
	global_load_b64 v[33:34], v[41:42], off offset:3840
.LBB34_32:                              ;   in Loop: Header=BB34_14 Depth=1
	s_or_b32 exec_lo, exec_lo, s14
	s_mov_b32 s16, 0
	ds_store_b64 v90, v[3:4]
	s_waitcnt vmcnt(0)
	ds_store_b64 v91, v[5:6]
	ds_store_b64 v92, v[7:8]
	;; [unrolled: 1-line block ×15, first 2 shown]
	; wave barrier
.LBB34_33:                              ;   in Loop: Header=BB34_14 Depth=1
	s_and_b32 vcc_lo, exec_lo, s16
	s_cbranch_vccz .LBB34_35
; %bb.34:                               ;   in Loop: Header=BB34_14 Depth=1
	v_add_co_u32 v0, vcc_lo, v39, v110
	v_add_co_ci_u32_e32 v1, vcc_lo, 0, v40, vcc_lo
	s_clause 0x6
	global_load_b64 v[3:4], v[0:1], off
	global_load_b64 v[5:6], v[0:1], off offset:256
	global_load_b64 v[7:8], v[0:1], off offset:512
	;; [unrolled: 1-line block ×6, first 2 shown]
	s_waitcnt lgkmcnt(0)
	s_clause 0x8
	global_load_b64 v[17:18], v[0:1], off offset:1792
	global_load_b64 v[19:20], v[0:1], off offset:2048
	;; [unrolled: 1-line block ×9, first 2 shown]
	s_waitcnt vmcnt(15)
	ds_store_b64 v90, v[3:4]
	s_waitcnt vmcnt(14)
	ds_store_b64 v91, v[5:6]
	;; [unrolled: 2-line block ×16, first 2 shown]
	; wave barrier
.LBB34_35:                              ;   in Loop: Header=BB34_14 Depth=1
	ds_load_2addr_b64 v[3:6], v106 offset1:1
	ds_load_2addr_b64 v[7:10], v106 offset0:2 offset1:3
	ds_load_2addr_b64 v[11:14], v106 offset0:4 offset1:5
	;; [unrolled: 1-line block ×3, first 2 shown]
	s_waitcnt lgkmcnt(5)
	ds_load_2addr_b64 v[23:26], v106 offset0:8 offset1:9
	ds_load_2addr_b64 v[27:30], v106 offset0:10 offset1:11
	;; [unrolled: 1-line block ×3, first 2 shown]
	s_waitcnt lgkmcnt(7)
	ds_load_2addr_b64 v[15:18], v106 offset0:14 offset1:15
	s_waitcnt lgkmcnt(0)
	s_waitcnt_vscnt null, 0x0
	s_barrier
	buffer_gl0_inv
	v_add_co_u32 v0, vcc_lo, v5, v3
	v_add_co_ci_u32_e32 v1, vcc_lo, v6, v4, vcc_lo
	s_delay_alu instid0(VALU_DEP_2) | instskip(NEXT) | instid1(VALU_DEP_2)
	v_add_co_u32 v0, vcc_lo, v0, v7
	v_add_co_ci_u32_e32 v1, vcc_lo, v1, v8, vcc_lo
	s_delay_alu instid0(VALU_DEP_2) | instskip(NEXT) | instid1(VALU_DEP_2)
	;; [unrolled: 3-line block ×15, first 2 shown]
	v_mov_b32_dpp v44, v0 row_shr:1 row_mask:0xf bank_mask:0xf
	v_mov_b32_dpp v43, v1 row_shr:1 row_mask:0xf bank_mask:0xf
	v_dual_mov_b32 v42, v1 :: v_dual_mov_b32 v41, v0
	s_and_saveexec_b32 s14, s3
; %bb.36:                               ;   in Loop: Header=BB34_14 Depth=1
	s_delay_alu instid0(VALU_DEP_3) | instskip(SKIP_1) | instid1(VALU_DEP_2)
	v_add_co_u32 v0, vcc_lo, v0, v44
	v_add_co_ci_u32_e32 v1, vcc_lo, 0, v1, vcc_lo
	v_add_co_u32 v41, vcc_lo, v0, 0
	s_delay_alu instid0(VALU_DEP_2) | instskip(NEXT) | instid1(VALU_DEP_1)
	v_add_co_ci_u32_e32 v42, vcc_lo, v1, v43, vcc_lo
	v_mov_b32_e32 v1, v42
; %bb.37:                               ;   in Loop: Header=BB34_14 Depth=1
	s_or_b32 exec_lo, exec_lo, s14
	v_mov_b32_dpp v44, v0 row_shr:2 row_mask:0xf bank_mask:0xf
	s_delay_alu instid0(VALU_DEP_2)
	v_mov_b32_dpp v43, v1 row_shr:2 row_mask:0xf bank_mask:0xf
	s_and_saveexec_b32 s14, s4
; %bb.38:                               ;   in Loop: Header=BB34_14 Depth=1
	s_delay_alu instid0(VALU_DEP_2) | instskip(SKIP_1) | instid1(VALU_DEP_2)
	v_add_co_u32 v0, vcc_lo, v41, v44
	v_add_co_ci_u32_e32 v1, vcc_lo, 0, v42, vcc_lo
	v_add_co_u32 v41, vcc_lo, 0, v0
	s_delay_alu instid0(VALU_DEP_2) | instskip(NEXT) | instid1(VALU_DEP_1)
	v_add_co_ci_u32_e32 v42, vcc_lo, v43, v1, vcc_lo
	v_mov_b32_e32 v1, v42
; %bb.39:                               ;   in Loop: Header=BB34_14 Depth=1
	s_or_b32 exec_lo, exec_lo, s14
	v_mov_b32_dpp v44, v0 row_shr:4 row_mask:0xf bank_mask:0xf
	s_delay_alu instid0(VALU_DEP_2)
	v_mov_b32_dpp v43, v1 row_shr:4 row_mask:0xf bank_mask:0xf
	s_and_saveexec_b32 s14, s5
; %bb.40:                               ;   in Loop: Header=BB34_14 Depth=1
	s_delay_alu instid0(VALU_DEP_2) | instskip(SKIP_1) | instid1(VALU_DEP_2)
	;; [unrolled: 14-line block ×3, first 2 shown]
	v_add_co_u32 v0, vcc_lo, v41, v44
	v_add_co_ci_u32_e32 v1, vcc_lo, 0, v42, vcc_lo
	v_add_co_u32 v41, vcc_lo, 0, v0
	s_delay_alu instid0(VALU_DEP_2) | instskip(NEXT) | instid1(VALU_DEP_1)
	v_add_co_ci_u32_e32 v42, vcc_lo, v43, v1, vcc_lo
	v_mov_b32_e32 v1, v42
; %bb.43:                               ;   in Loop: Header=BB34_14 Depth=1
	s_or_b32 exec_lo, exec_lo, s14
	ds_swizzle_b32 v44, v0 offset:swizzle(BROADCAST,32,15)
	ds_swizzle_b32 v43, v1 offset:swizzle(BROADCAST,32,15)
	s_and_saveexec_b32 s14, s7
	s_cbranch_execz .LBB34_45
; %bb.44:                               ;   in Loop: Header=BB34_14 Depth=1
	s_waitcnt lgkmcnt(1)
	v_add_co_u32 v0, vcc_lo, v41, v44
	v_add_co_ci_u32_e32 v1, vcc_lo, 0, v42, vcc_lo
	s_delay_alu instid0(VALU_DEP_2) | instskip(SKIP_1) | instid1(VALU_DEP_2)
	v_add_co_u32 v41, vcc_lo, 0, v0
	s_waitcnt lgkmcnt(0)
	v_add_co_ci_u32_e32 v42, vcc_lo, v43, v1, vcc_lo
	s_delay_alu instid0(VALU_DEP_1)
	v_mov_b32_e32 v1, v42
.LBB34_45:                              ;   in Loop: Header=BB34_14 Depth=1
	s_or_b32 exec_lo, exec_lo, s14
	s_and_saveexec_b32 s14, s8
	s_cbranch_execz .LBB34_47
; %bb.46:                               ;   in Loop: Header=BB34_14 Depth=1
	ds_store_b64 v107, v[41:42]
.LBB34_47:                              ;   in Loop: Header=BB34_14 Depth=1
	s_or_b32 exec_lo, exec_lo, s14
	s_waitcnt lgkmcnt(0)
	s_barrier
	buffer_gl0_inv
	s_and_saveexec_b32 s14, s9
	s_cbranch_execz .LBB34_55
; %bb.48:                               ;   in Loop: Header=BB34_14 Depth=1
	ds_load_b64 v[41:42], v73
	s_waitcnt lgkmcnt(0)
	v_mov_b32_dpp v45, v41 row_shr:1 row_mask:0xf bank_mask:0xf
	v_mov_b32_dpp v44, v42 row_shr:1 row_mask:0xf bank_mask:0xf
	v_mov_b32_e32 v43, v41
	s_and_saveexec_b32 s16, s10
; %bb.49:                               ;   in Loop: Header=BB34_14 Depth=1
	s_delay_alu instid0(VALU_DEP_3) | instskip(SKIP_1) | instid1(VALU_DEP_2)
	v_add_co_u32 v43, vcc_lo, v41, v45
	v_add_co_ci_u32_e32 v42, vcc_lo, 0, v42, vcc_lo
	v_add_co_u32 v41, vcc_lo, 0, v43
	s_delay_alu instid0(VALU_DEP_2)
	v_add_co_ci_u32_e32 v42, vcc_lo, v44, v42, vcc_lo
; %bb.50:                               ;   in Loop: Header=BB34_14 Depth=1
	s_or_b32 exec_lo, exec_lo, s16
	v_mov_b32_dpp v45, v43 row_shr:2 row_mask:0xf bank_mask:0xf
	s_delay_alu instid0(VALU_DEP_2)
	v_mov_b32_dpp v44, v42 row_shr:2 row_mask:0xf bank_mask:0xf
	s_and_saveexec_b32 s16, s11
; %bb.51:                               ;   in Loop: Header=BB34_14 Depth=1
	s_delay_alu instid0(VALU_DEP_2) | instskip(SKIP_1) | instid1(VALU_DEP_2)
	v_add_co_u32 v43, vcc_lo, v41, v45
	v_add_co_ci_u32_e32 v42, vcc_lo, 0, v42, vcc_lo
	v_add_co_u32 v41, vcc_lo, 0, v43
	s_delay_alu instid0(VALU_DEP_2)
	v_add_co_ci_u32_e32 v42, vcc_lo, v44, v42, vcc_lo
; %bb.52:                               ;   in Loop: Header=BB34_14 Depth=1
	s_or_b32 exec_lo, exec_lo, s16
	v_mov_b32_dpp v44, v43 row_shr:4 row_mask:0xf bank_mask:0xf
	s_delay_alu instid0(VALU_DEP_2)
	v_mov_b32_dpp v43, v42 row_shr:4 row_mask:0xf bank_mask:0xf
	s_and_saveexec_b32 s16, s12
; %bb.53:                               ;   in Loop: Header=BB34_14 Depth=1
	s_delay_alu instid0(VALU_DEP_2) | instskip(SKIP_1) | instid1(VALU_DEP_2)
	v_add_co_u32 v41, vcc_lo, v41, v44
	v_add_co_ci_u32_e32 v42, vcc_lo, 0, v42, vcc_lo
	v_add_co_u32 v41, vcc_lo, v41, 0
	s_delay_alu instid0(VALU_DEP_2)
	v_add_co_ci_u32_e32 v42, vcc_lo, v42, v43, vcc_lo
; %bb.54:                               ;   in Loop: Header=BB34_14 Depth=1
	s_or_b32 exec_lo, exec_lo, s16
	ds_store_b64 v73, v[41:42]
.LBB34_55:                              ;   in Loop: Header=BB34_14 Depth=1
	s_or_b32 exec_lo, exec_lo, s14
	s_waitcnt lgkmcnt(0)
	s_barrier
	buffer_gl0_inv
                                        ; implicit-def: $vgpr41_vgpr42
	s_and_saveexec_b32 s14, s1
	s_cbranch_execz .LBB34_57
; %bb.56:                               ;   in Loop: Header=BB34_14 Depth=1
	ds_load_b64 v[41:42], v108
	s_waitcnt lgkmcnt(0)
	v_add_co_u32 v0, vcc_lo, v0, v41
	v_add_co_ci_u32_e32 v1, vcc_lo, v1, v42, vcc_lo
.LBB34_57:                              ;   in Loop: Header=BB34_14 Depth=1
	s_or_b32 exec_lo, exec_lo, s14
	ds_bpermute_b32 v43, v109, v0
	ds_bpermute_b32 v44, v109, v1
	s_and_saveexec_b32 s14, s2
	s_cbranch_execz .LBB34_61
; %bb.58:                               ;   in Loop: Header=BB34_14 Depth=1
	ds_load_b64 v[0:1], v2 offset:56
	s_and_saveexec_b32 s16, s13
	s_cbranch_execz .LBB34_60
; %bb.59:                               ;   in Loop: Header=BB34_14 Depth=1
	ds_store_b64 v2, v[35:36] offset:56
.LBB34_60:                              ;   in Loop: Header=BB34_14 Depth=1
	s_or_b32 exec_lo, exec_lo, s16
	s_waitcnt lgkmcnt(0)
	v_add_co_u32 v35, vcc_lo, v0, v35
	v_add_co_ci_u32_e32 v36, vcc_lo, v1, v36, vcc_lo
.LBB34_61:                              ;   in Loop: Header=BB34_14 Depth=1
	s_or_b32 exec_lo, exec_lo, s14
	s_waitcnt lgkmcnt(0)
	s_barrier
	buffer_gl0_inv
	ds_load_b64 v[0:1], v2 offset:56
	v_cndmask_b32_e64 v41, v43, v41, s0
	v_cndmask_b32_e64 v42, v44, v42, s0
	s_waitcnt lgkmcnt(0)
	s_barrier
	buffer_gl0_inv
	v_cndmask_b32_e64 v41, v41, 0, s13
	v_cndmask_b32_e64 v42, v42, 0, s13
	s_delay_alu instid0(VALU_DEP_2) | instskip(NEXT) | instid1(VALU_DEP_2)
	v_add_co_u32 v3, vcc_lo, v41, v3
	v_add_co_ci_u32_e32 v4, vcc_lo, v42, v4, vcc_lo
	s_delay_alu instid0(VALU_DEP_2) | instskip(NEXT) | instid1(VALU_DEP_2)
	v_add_co_u32 v45, vcc_lo, v3, v0
	v_add_co_ci_u32_e32 v46, vcc_lo, v4, v1, vcc_lo
	;; [unrolled: 3-line block ×17, first 2 shown]
	s_and_b32 vcc_lo, exec_lo, s15
	s_cbranch_vccz .LBB34_82
; %bb.62:                               ;   in Loop: Header=BB34_14 Depth=1
	ds_store_2addr_b64 v106, v[45:46], v[51:52] offset1:1
	ds_store_2addr_b64 v106, v[43:44], v[49:50] offset0:2 offset1:3
	ds_store_2addr_b64 v106, v[41:42], v[47:48] offset0:4 offset1:5
	;; [unrolled: 1-line block ×7, first 2 shown]
	; wave barrier
	ds_load_b64 v[71:72], v90
	ds_load_b64 v[69:70], v91
	;; [unrolled: 1-line block ×16, first 2 shown]
	v_add_co_u32 v25, vcc_lo, v37, v110
	v_add_co_ci_u32_e32 v26, vcc_lo, 0, v38, vcc_lo
	s_mov_b32 s14, exec_lo
	v_cmpx_gt_u32_e64 s22, v74
	s_cbranch_execnz .LBB34_85
; %bb.63:                               ;   in Loop: Header=BB34_14 Depth=1
	s_or_b32 exec_lo, exec_lo, s14
	s_delay_alu instid0(SALU_CYCLE_1)
	s_mov_b32 s14, exec_lo
	v_cmpx_gt_u32_e64 s22, v75
	s_cbranch_execnz .LBB34_86
.LBB34_64:                              ;   in Loop: Header=BB34_14 Depth=1
	s_or_b32 exec_lo, exec_lo, s14
	s_delay_alu instid0(SALU_CYCLE_1)
	s_mov_b32 s14, exec_lo
	v_cmpx_gt_u32_e64 s22, v76
	s_cbranch_execnz .LBB34_87
.LBB34_65:                              ;   in Loop: Header=BB34_14 Depth=1
	s_or_b32 exec_lo, exec_lo, s14
	s_delay_alu instid0(SALU_CYCLE_1)
	s_mov_b32 s14, exec_lo
	v_cmpx_gt_u32_e64 s22, v77
	s_cbranch_execnz .LBB34_88
.LBB34_66:                              ;   in Loop: Header=BB34_14 Depth=1
	s_or_b32 exec_lo, exec_lo, s14
	s_delay_alu instid0(SALU_CYCLE_1)
	s_mov_b32 s14, exec_lo
	v_cmpx_gt_u32_e64 s22, v78
	s_cbranch_execnz .LBB34_89
.LBB34_67:                              ;   in Loop: Header=BB34_14 Depth=1
	s_or_b32 exec_lo, exec_lo, s14
	s_delay_alu instid0(SALU_CYCLE_1)
	s_mov_b32 s14, exec_lo
	v_cmpx_gt_u32_e64 s22, v79
	s_cbranch_execnz .LBB34_90
.LBB34_68:                              ;   in Loop: Header=BB34_14 Depth=1
	s_or_b32 exec_lo, exec_lo, s14
	s_delay_alu instid0(SALU_CYCLE_1)
	s_mov_b32 s14, exec_lo
	v_cmpx_gt_u32_e64 s22, v80
	s_cbranch_execnz .LBB34_91
.LBB34_69:                              ;   in Loop: Header=BB34_14 Depth=1
	s_or_b32 exec_lo, exec_lo, s14
	s_delay_alu instid0(SALU_CYCLE_1)
	s_mov_b32 s14, exec_lo
	v_cmpx_gt_u32_e64 s22, v81
	s_cbranch_execnz .LBB34_92
.LBB34_70:                              ;   in Loop: Header=BB34_14 Depth=1
	s_or_b32 exec_lo, exec_lo, s14
	s_delay_alu instid0(SALU_CYCLE_1)
	s_mov_b32 s14, exec_lo
	v_cmpx_gt_u32_e64 s22, v82
	s_cbranch_execnz .LBB34_93
.LBB34_71:                              ;   in Loop: Header=BB34_14 Depth=1
	s_or_b32 exec_lo, exec_lo, s14
	s_delay_alu instid0(SALU_CYCLE_1)
	s_mov_b32 s14, exec_lo
	v_cmpx_gt_u32_e64 s22, v83
	s_cbranch_execnz .LBB34_94
.LBB34_72:                              ;   in Loop: Header=BB34_14 Depth=1
	s_or_b32 exec_lo, exec_lo, s14
	s_delay_alu instid0(SALU_CYCLE_1)
	s_mov_b32 s14, exec_lo
	v_cmpx_gt_u32_e64 s22, v84
	s_cbranch_execnz .LBB34_95
.LBB34_73:                              ;   in Loop: Header=BB34_14 Depth=1
	s_or_b32 exec_lo, exec_lo, s14
	s_delay_alu instid0(SALU_CYCLE_1)
	s_mov_b32 s14, exec_lo
	v_cmpx_gt_u32_e64 s22, v85
	s_cbranch_execnz .LBB34_96
.LBB34_74:                              ;   in Loop: Header=BB34_14 Depth=1
	s_or_b32 exec_lo, exec_lo, s14
	s_delay_alu instid0(SALU_CYCLE_1)
	s_mov_b32 s14, exec_lo
	v_cmpx_gt_u32_e64 s22, v86
	s_cbranch_execnz .LBB34_97
.LBB34_75:                              ;   in Loop: Header=BB34_14 Depth=1
	s_or_b32 exec_lo, exec_lo, s14
	s_delay_alu instid0(SALU_CYCLE_1)
	s_mov_b32 s14, exec_lo
	v_cmpx_gt_u32_e64 s22, v87
	s_cbranch_execnz .LBB34_98
.LBB34_76:                              ;   in Loop: Header=BB34_14 Depth=1
	s_or_b32 exec_lo, exec_lo, s14
	s_delay_alu instid0(SALU_CYCLE_1)
	s_mov_b32 s14, exec_lo
	v_cmpx_gt_u32_e64 s22, v88
	s_cbranch_execz .LBB34_78
.LBB34_77:                              ;   in Loop: Header=BB34_14 Depth=1
	s_waitcnt lgkmcnt(1)
	global_store_b64 v[25:26], v[23:24], off offset:-256
.LBB34_78:                              ;   in Loop: Header=BB34_14 Depth=1
	s_or_b32 exec_lo, exec_lo, s14
	v_cmp_gt_u32_e64 s14, s22, v89
	s_branch .LBB34_80
.LBB34_79:                              ;   in Loop: Header=BB34_14 Depth=1
	ds_store_2addr_b64 v106, v[45:46], v[51:52] offset1:1
	ds_store_2addr_b64 v106, v[43:44], v[49:50] offset0:2 offset1:3
	ds_store_2addr_b64 v106, v[41:42], v[47:48] offset0:4 offset1:5
	;; [unrolled: 1-line block ×7, first 2 shown]
	; wave barrier
	ds_load_b64 v[0:1], v90
	ds_load_b64 v[3:4], v91
	;; [unrolled: 1-line block ×10, first 2 shown]
	s_waitcnt lgkmcnt(19)
	ds_load_b64 v[23:24], v100
	ds_load_b64 v[25:26], v101
	;; [unrolled: 1-line block ×5, first 2 shown]
	s_waitcnt lgkmcnt(23)
	ds_load_b64 v[17:18], v105
	v_add_co_u32 v27, vcc_lo, v37, v110
	v_add_co_ci_u32_e32 v28, vcc_lo, 0, v38, vcc_lo
	s_or_b32 s14, s14, exec_lo
	s_waitcnt lgkmcnt(15)
	global_store_b64 v[27:28], v[0:1], off offset:-3840
	s_waitcnt lgkmcnt(14)
	global_store_b64 v[27:28], v[3:4], off offset:-3584
	;; [unrolled: 2-line block ×15, first 2 shown]
.LBB34_80:                              ;   in Loop: Header=BB34_14 Depth=1
	s_delay_alu instid0(VALU_DEP_1)
	s_and_saveexec_b32 s15, s14
	s_cbranch_execnz .LBB34_83
; %bb.81:                               ;   in Loop: Header=BB34_14 Depth=1
	s_or_b32 exec_lo, exec_lo, s15
	v_cmp_gt_i64_e64 s14, 0x1001, s[22:23]
	s_delay_alu instid0(VALU_DEP_1)
	s_and_b32 vcc_lo, exec_lo, s14
	s_cbranch_vccz .LBB34_13
	s_branch .LBB34_84
.LBB34_82:                              ;   in Loop: Header=BB34_14 Depth=1
	s_mov_b32 s14, 0
                                        ; implicit-def: $vgpr17_vgpr18
	s_cbranch_execnz .LBB34_79
	s_branch .LBB34_80
.LBB34_83:                              ;   in Loop: Header=BB34_14 Depth=1
	v_add_co_u32 v0, vcc_lo, v37, v110
	v_add_co_ci_u32_e32 v1, vcc_lo, 0, v38, vcc_lo
	s_waitcnt lgkmcnt(0)
	global_store_b64 v[0:1], v[17:18], off
	s_or_b32 exec_lo, exec_lo, s15
	v_cmp_gt_i64_e64 s14, 0x1001, s[22:23]
	s_delay_alu instid0(VALU_DEP_1)
	s_and_b32 vcc_lo, exec_lo, s14
	s_cbranch_vccz .LBB34_13
.LBB34_84:
                                        ; implicit-def: $vgpr35_vgpr36
                                        ; implicit-def: $sgpr22_sgpr23
                                        ; implicit-def: $sgpr26
                                        ; implicit-def: $vgpr37_vgpr38
                                        ; implicit-def: $vgpr39_vgpr40
	s_branch .LBB34_114
.LBB34_85:                              ;   in Loop: Header=BB34_14 Depth=1
	s_waitcnt lgkmcnt(15)
	global_store_b64 v[25:26], v[71:72], off offset:-3840
	s_or_b32 exec_lo, exec_lo, s14
	s_delay_alu instid0(SALU_CYCLE_1)
	s_mov_b32 s14, exec_lo
	v_cmpx_gt_u32_e64 s22, v75
	s_cbranch_execz .LBB34_64
.LBB34_86:                              ;   in Loop: Header=BB34_14 Depth=1
	s_waitcnt lgkmcnt(14)
	global_store_b64 v[25:26], v[69:70], off offset:-3584
	s_or_b32 exec_lo, exec_lo, s14
	s_delay_alu instid0(SALU_CYCLE_1)
	s_mov_b32 s14, exec_lo
	v_cmpx_gt_u32_e64 s22, v76
	s_cbranch_execz .LBB34_65
.LBB34_87:                              ;   in Loop: Header=BB34_14 Depth=1
	s_waitcnt lgkmcnt(13)
	global_store_b64 v[25:26], v[67:68], off offset:-3328
	s_or_b32 exec_lo, exec_lo, s14
	s_delay_alu instid0(SALU_CYCLE_1)
	s_mov_b32 s14, exec_lo
	v_cmpx_gt_u32_e64 s22, v77
	s_cbranch_execz .LBB34_66
.LBB34_88:                              ;   in Loop: Header=BB34_14 Depth=1
	s_waitcnt lgkmcnt(12)
	global_store_b64 v[25:26], v[65:66], off offset:-3072
	s_or_b32 exec_lo, exec_lo, s14
	s_delay_alu instid0(SALU_CYCLE_1)
	s_mov_b32 s14, exec_lo
	v_cmpx_gt_u32_e64 s22, v78
	s_cbranch_execz .LBB34_67
.LBB34_89:                              ;   in Loop: Header=BB34_14 Depth=1
	s_waitcnt lgkmcnt(11)
	global_store_b64 v[25:26], v[63:64], off offset:-2816
	s_or_b32 exec_lo, exec_lo, s14
	s_delay_alu instid0(SALU_CYCLE_1)
	s_mov_b32 s14, exec_lo
	v_cmpx_gt_u32_e64 s22, v79
	s_cbranch_execz .LBB34_68
.LBB34_90:                              ;   in Loop: Header=BB34_14 Depth=1
	s_waitcnt lgkmcnt(10)
	global_store_b64 v[25:26], v[61:62], off offset:-2560
	s_or_b32 exec_lo, exec_lo, s14
	s_delay_alu instid0(SALU_CYCLE_1)
	s_mov_b32 s14, exec_lo
	v_cmpx_gt_u32_e64 s22, v80
	s_cbranch_execz .LBB34_69
.LBB34_91:                              ;   in Loop: Header=BB34_14 Depth=1
	s_waitcnt lgkmcnt(9)
	global_store_b64 v[25:26], v[59:60], off offset:-2304
	s_or_b32 exec_lo, exec_lo, s14
	s_delay_alu instid0(SALU_CYCLE_1)
	s_mov_b32 s14, exec_lo
	v_cmpx_gt_u32_e64 s22, v81
	s_cbranch_execz .LBB34_70
.LBB34_92:                              ;   in Loop: Header=BB34_14 Depth=1
	s_waitcnt lgkmcnt(8)
	global_store_b64 v[25:26], v[57:58], off offset:-2048
	s_or_b32 exec_lo, exec_lo, s14
	s_delay_alu instid0(SALU_CYCLE_1)
	s_mov_b32 s14, exec_lo
	v_cmpx_gt_u32_e64 s22, v82
	s_cbranch_execz .LBB34_71
.LBB34_93:                              ;   in Loop: Header=BB34_14 Depth=1
	s_waitcnt lgkmcnt(7)
	global_store_b64 v[25:26], v[55:56], off offset:-1792
	s_or_b32 exec_lo, exec_lo, s14
	s_delay_alu instid0(SALU_CYCLE_1)
	s_mov_b32 s14, exec_lo
	v_cmpx_gt_u32_e64 s22, v83
	s_cbranch_execz .LBB34_72
.LBB34_94:                              ;   in Loop: Header=BB34_14 Depth=1
	s_waitcnt lgkmcnt(6)
	global_store_b64 v[25:26], v[53:54], off offset:-1536
	s_or_b32 exec_lo, exec_lo, s14
	s_delay_alu instid0(SALU_CYCLE_1)
	s_mov_b32 s14, exec_lo
	v_cmpx_gt_u32_e64 s22, v84
	s_cbranch_execz .LBB34_73
.LBB34_95:                              ;   in Loop: Header=BB34_14 Depth=1
	s_waitcnt lgkmcnt(5)
	global_store_b64 v[25:26], v[33:34], off offset:-1280
	s_or_b32 exec_lo, exec_lo, s14
	s_delay_alu instid0(SALU_CYCLE_1)
	s_mov_b32 s14, exec_lo
	v_cmpx_gt_u32_e64 s22, v85
	s_cbranch_execz .LBB34_74
.LBB34_96:                              ;   in Loop: Header=BB34_14 Depth=1
	s_waitcnt lgkmcnt(4)
	global_store_b64 v[25:26], v[31:32], off offset:-1024
	s_or_b32 exec_lo, exec_lo, s14
	s_delay_alu instid0(SALU_CYCLE_1)
	s_mov_b32 s14, exec_lo
	v_cmpx_gt_u32_e64 s22, v86
	s_cbranch_execz .LBB34_75
.LBB34_97:                              ;   in Loop: Header=BB34_14 Depth=1
	s_waitcnt lgkmcnt(3)
	global_store_b64 v[25:26], v[29:30], off offset:-768
	s_or_b32 exec_lo, exec_lo, s14
	s_delay_alu instid0(SALU_CYCLE_1)
	s_mov_b32 s14, exec_lo
	v_cmpx_gt_u32_e64 s22, v87
	s_cbranch_execz .LBB34_76
.LBB34_98:                              ;   in Loop: Header=BB34_14 Depth=1
	s_waitcnt lgkmcnt(2)
	global_store_b64 v[25:26], v[27:28], off offset:-512
	s_or_b32 exec_lo, exec_lo, s14
	s_delay_alu instid0(SALU_CYCLE_1)
	s_mov_b32 s14, exec_lo
	v_cmpx_gt_u32_e64 s22, v88
	s_cbranch_execnz .LBB34_77
	s_branch .LBB34_78
.LBB34_99:                              ;   in Loop: Header=BB34_14 Depth=1
	global_load_b64 v[0:1], v[41:42], off
	v_mov_b32_e32 v31, v2
	v_mov_b32_e32 v3, v2
	;; [unrolled: 1-line block ×29, first 2 shown]
	s_waitcnt vmcnt(0)
	v_mov_b32_e32 v34, v31
	s_delay_alu instid0(VALU_DEP_2)
	v_dual_mov_b32 v33, v30 :: v_dual_mov_b32 v32, v29
	v_mov_b32_e32 v31, v28
	v_mov_b32_e32 v30, v27
	;; [unrolled: 1-line block ×29, first 2 shown]
	s_or_b32 exec_lo, exec_lo, s16
	s_delay_alu instid0(SALU_CYCLE_1)
	s_mov_b32 s14, exec_lo
	v_cmpx_gt_u32_e64 s22, v75
	s_cbranch_execz .LBB34_17
.LBB34_100:                             ;   in Loop: Header=BB34_14 Depth=1
	global_load_b64 v[5:6], v[41:42], off offset:256
	s_or_b32 exec_lo, exec_lo, s14
	s_delay_alu instid0(SALU_CYCLE_1)
	s_mov_b32 s14, exec_lo
	v_cmpx_gt_u32_e64 s22, v76
	s_cbranch_execz .LBB34_18
.LBB34_101:                             ;   in Loop: Header=BB34_14 Depth=1
	global_load_b64 v[7:8], v[41:42], off offset:512
	s_or_b32 exec_lo, exec_lo, s14
	s_delay_alu instid0(SALU_CYCLE_1)
	s_mov_b32 s14, exec_lo
	v_cmpx_gt_u32_e64 s22, v77
	s_cbranch_execz .LBB34_19
.LBB34_102:                             ;   in Loop: Header=BB34_14 Depth=1
	global_load_b64 v[9:10], v[41:42], off offset:768
	s_or_b32 exec_lo, exec_lo, s14
	s_delay_alu instid0(SALU_CYCLE_1)
	s_mov_b32 s14, exec_lo
	v_cmpx_gt_u32_e64 s22, v78
	s_cbranch_execz .LBB34_20
.LBB34_103:                             ;   in Loop: Header=BB34_14 Depth=1
	global_load_b64 v[11:12], v[41:42], off offset:1024
	s_or_b32 exec_lo, exec_lo, s14
	s_delay_alu instid0(SALU_CYCLE_1)
	s_mov_b32 s14, exec_lo
	v_cmpx_gt_u32_e64 s22, v79
	s_cbranch_execz .LBB34_21
.LBB34_104:                             ;   in Loop: Header=BB34_14 Depth=1
	global_load_b64 v[13:14], v[41:42], off offset:1280
	s_or_b32 exec_lo, exec_lo, s14
	s_delay_alu instid0(SALU_CYCLE_1)
	s_mov_b32 s14, exec_lo
	v_cmpx_gt_u32_e64 s22, v80
	s_cbranch_execz .LBB34_22
.LBB34_105:                             ;   in Loop: Header=BB34_14 Depth=1
	global_load_b64 v[15:16], v[41:42], off offset:1536
	s_or_b32 exec_lo, exec_lo, s14
	s_delay_alu instid0(SALU_CYCLE_1)
	s_mov_b32 s14, exec_lo
	v_cmpx_gt_u32_e64 s22, v81
	s_cbranch_execz .LBB34_23
.LBB34_106:                             ;   in Loop: Header=BB34_14 Depth=1
	global_load_b64 v[17:18], v[41:42], off offset:1792
	s_or_b32 exec_lo, exec_lo, s14
	s_delay_alu instid0(SALU_CYCLE_1)
	s_mov_b32 s14, exec_lo
	v_cmpx_gt_u32_e64 s22, v82
	s_cbranch_execz .LBB34_24
.LBB34_107:                             ;   in Loop: Header=BB34_14 Depth=1
	global_load_b64 v[19:20], v[41:42], off offset:2048
	s_or_b32 exec_lo, exec_lo, s14
	s_delay_alu instid0(SALU_CYCLE_1)
	s_mov_b32 s14, exec_lo
	v_cmpx_gt_u32_e64 s22, v83
	s_cbranch_execz .LBB34_25
.LBB34_108:                             ;   in Loop: Header=BB34_14 Depth=1
	global_load_b64 v[21:22], v[41:42], off offset:2304
	s_or_b32 exec_lo, exec_lo, s14
	s_delay_alu instid0(SALU_CYCLE_1)
	s_mov_b32 s14, exec_lo
	v_cmpx_gt_u32_e64 s22, v84
	s_cbranch_execz .LBB34_26
.LBB34_109:                             ;   in Loop: Header=BB34_14 Depth=1
	global_load_b64 v[23:24], v[41:42], off offset:2560
	s_or_b32 exec_lo, exec_lo, s14
	s_delay_alu instid0(SALU_CYCLE_1)
	s_mov_b32 s14, exec_lo
	v_cmpx_gt_u32_e64 s22, v85
	s_cbranch_execz .LBB34_27
.LBB34_110:                             ;   in Loop: Header=BB34_14 Depth=1
	global_load_b64 v[25:26], v[41:42], off offset:2816
	s_or_b32 exec_lo, exec_lo, s14
	s_delay_alu instid0(SALU_CYCLE_1)
	s_mov_b32 s14, exec_lo
	v_cmpx_gt_u32_e64 s22, v86
	s_cbranch_execz .LBB34_28
.LBB34_111:                             ;   in Loop: Header=BB34_14 Depth=1
	global_load_b64 v[27:28], v[41:42], off offset:3072
	s_or_b32 exec_lo, exec_lo, s14
	s_delay_alu instid0(SALU_CYCLE_1)
	s_mov_b32 s14, exec_lo
	v_cmpx_gt_u32_e64 s22, v87
	s_cbranch_execz .LBB34_29
.LBB34_112:                             ;   in Loop: Header=BB34_14 Depth=1
	global_load_b64 v[29:30], v[41:42], off offset:3328
	s_or_b32 exec_lo, exec_lo, s14
	s_delay_alu instid0(SALU_CYCLE_1)
	s_mov_b32 s14, exec_lo
	v_cmpx_gt_u32_e64 s22, v88
	s_cbranch_execz .LBB34_30
.LBB34_113:                             ;   in Loop: Header=BB34_14 Depth=1
	global_load_b64 v[31:32], v[41:42], off offset:3584
	s_or_b32 exec_lo, exec_lo, s14
	s_delay_alu instid0(SALU_CYCLE_1)
	s_mov_b32 s14, exec_lo
	v_cmpx_gt_u32_e64 s22, v89
	s_cbranch_execnz .LBB34_31
	s_branch .LBB34_32
.LBB34_114:
	s_nop 0
	s_sendmsg sendmsg(MSG_DEALLOC_VGPRS)
	s_endpgm
	.section	.rodata,"a",@progbits
	.p2align	6, 0x0
	.amdhsa_kernel _ZN2at4cuda3cub17final_scan_kernelILi256ELi16ElEEvPKT1_PS3_S6_li
		.amdhsa_group_segment_fixed_size 33792
		.amdhsa_private_segment_fixed_size 0
		.amdhsa_kernarg_size 296
		.amdhsa_user_sgpr_count 15
		.amdhsa_user_sgpr_dispatch_ptr 0
		.amdhsa_user_sgpr_queue_ptr 0
		.amdhsa_user_sgpr_kernarg_segment_ptr 1
		.amdhsa_user_sgpr_dispatch_id 0
		.amdhsa_user_sgpr_private_segment_size 0
		.amdhsa_wavefront_size32 1
		.amdhsa_uses_dynamic_stack 0
		.amdhsa_enable_private_segment 0
		.amdhsa_system_sgpr_workgroup_id_x 1
		.amdhsa_system_sgpr_workgroup_id_y 0
		.amdhsa_system_sgpr_workgroup_id_z 0
		.amdhsa_system_sgpr_workgroup_info 0
		.amdhsa_system_vgpr_workitem_id 0
		.amdhsa_next_free_vgpr 111
		.amdhsa_next_free_sgpr 68
		.amdhsa_reserve_vcc 1
		.amdhsa_float_round_mode_32 0
		.amdhsa_float_round_mode_16_64 0
		.amdhsa_float_denorm_mode_32 3
		.amdhsa_float_denorm_mode_16_64 3
		.amdhsa_dx10_clamp 1
		.amdhsa_ieee_mode 1
		.amdhsa_fp16_overflow 0
		.amdhsa_workgroup_processor_mode 1
		.amdhsa_memory_ordered 1
		.amdhsa_forward_progress 0
		.amdhsa_shared_vgpr_count 0
		.amdhsa_exception_fp_ieee_invalid_op 0
		.amdhsa_exception_fp_denorm_src 0
		.amdhsa_exception_fp_ieee_div_zero 0
		.amdhsa_exception_fp_ieee_overflow 0
		.amdhsa_exception_fp_ieee_underflow 0
		.amdhsa_exception_fp_ieee_inexact 0
		.amdhsa_exception_int_div_zero 0
	.end_amdhsa_kernel
	.section	.text._ZN2at4cuda3cub17final_scan_kernelILi256ELi16ElEEvPKT1_PS3_S6_li,"axG",@progbits,_ZN2at4cuda3cub17final_scan_kernelILi256ELi16ElEEvPKT1_PS3_S6_li,comdat
.Lfunc_end34:
	.size	_ZN2at4cuda3cub17final_scan_kernelILi256ELi16ElEEvPKT1_PS3_S6_li, .Lfunc_end34-_ZN2at4cuda3cub17final_scan_kernelILi256ELi16ElEEvPKT1_PS3_S6_li
                                        ; -- End function
	.section	.AMDGPU.csdata,"",@progbits
; Kernel info:
; codeLenInByte = 6476
; NumSgprs: 70
; NumVgprs: 111
; ScratchSize: 0
; MemoryBound: 1
; FloatMode: 240
; IeeeMode: 1
; LDSByteSize: 33792 bytes/workgroup (compile time only)
; SGPRBlocks: 8
; VGPRBlocks: 13
; NumSGPRsForWavesPerEU: 70
; NumVGPRsForWavesPerEU: 111
; Occupancy: 12
; WaveLimiterHint : 1
; COMPUTE_PGM_RSRC2:SCRATCH_EN: 0
; COMPUTE_PGM_RSRC2:USER_SGPR: 15
; COMPUTE_PGM_RSRC2:TRAP_HANDLER: 0
; COMPUTE_PGM_RSRC2:TGID_X_EN: 1
; COMPUTE_PGM_RSRC2:TGID_Y_EN: 0
; COMPUTE_PGM_RSRC2:TGID_Z_EN: 0
; COMPUTE_PGM_RSRC2:TIDIG_COMP_CNT: 0
	.section	.text._ZN7rocprim17ROCPRIM_304000_NS6detail31init_lookback_scan_state_kernelINS1_19lookback_scan_stateIlLb1ELb1EEEEEvT_jjPNS5_10value_typeE,"axG",@progbits,_ZN7rocprim17ROCPRIM_304000_NS6detail31init_lookback_scan_state_kernelINS1_19lookback_scan_stateIlLb1ELb1EEEEEvT_jjPNS5_10value_typeE,comdat
	.protected	_ZN7rocprim17ROCPRIM_304000_NS6detail31init_lookback_scan_state_kernelINS1_19lookback_scan_stateIlLb1ELb1EEEEEvT_jjPNS5_10value_typeE ; -- Begin function _ZN7rocprim17ROCPRIM_304000_NS6detail31init_lookback_scan_state_kernelINS1_19lookback_scan_stateIlLb1ELb1EEEEEvT_jjPNS5_10value_typeE
	.globl	_ZN7rocprim17ROCPRIM_304000_NS6detail31init_lookback_scan_state_kernelINS1_19lookback_scan_stateIlLb1ELb1EEEEEvT_jjPNS5_10value_typeE
	.p2align	8
	.type	_ZN7rocprim17ROCPRIM_304000_NS6detail31init_lookback_scan_state_kernelINS1_19lookback_scan_stateIlLb1ELb1EEEEEvT_jjPNS5_10value_typeE,@function
_ZN7rocprim17ROCPRIM_304000_NS6detail31init_lookback_scan_state_kernelINS1_19lookback_scan_stateIlLb1ELb1EEEEEvT_jjPNS5_10value_typeE: ; @_ZN7rocprim17ROCPRIM_304000_NS6detail31init_lookback_scan_state_kernelINS1_19lookback_scan_stateIlLb1ELb1EEEEEvT_jjPNS5_10value_typeE
; %bb.0:
	s_clause 0x2
	s_load_b32 s6, s[0:1], 0x24
	s_load_b64 s[4:5], s[0:1], 0x10
	s_load_b128 s[0:3], s[0:1], 0x0
	s_waitcnt lgkmcnt(0)
	s_and_b32 s6, s6, 0xffff
	s_cmp_eq_u64 s[4:5], 0
	v_mad_u64_u32 v[1:2], null, s15, s6, v[0:1]
	s_cbranch_scc1 .LBB35_10
; %bb.1:
	s_cmp_lt_u32 s3, s2
	s_mov_b32 s7, 0
	s_cselect_b32 s6, s3, 0
	s_mov_b32 s8, exec_lo
	s_delay_alu instid0(VALU_DEP_1)
	v_cmpx_eq_u32_e64 s6, v1
	s_cbranch_execz .LBB35_9
; %bb.2:
	s_add_i32 s6, s3, 32
	s_mov_b32 s3, exec_lo
	s_lshl_b64 s[6:7], s[6:7], 4
	v_mov_b32_e32 v6, 0
	s_add_u32 s6, s0, s6
	s_addc_u32 s7, s1, s7
	s_delay_alu instid0(SALU_CYCLE_1) | instskip(SKIP_2) | instid1(VALU_DEP_1)
	v_dual_mov_b32 v2, s6 :: v_dual_mov_b32 v3, s7
	;;#ASMSTART
	global_load_dwordx4 v[2:5], v[2:3] off glc	
s_waitcnt vmcnt(0)
	;;#ASMEND
	v_and_b32_e32 v5, 0xff, v4
	v_cmpx_eq_u64_e32 0, v[5:6]
	s_cbranch_execz .LBB35_8
; %bb.3:
	v_dual_mov_b32 v8, s7 :: v_dual_mov_b32 v7, s6
	s_mov_b32 s7, 1
	s_mov_b32 s6, 0
	.p2align	6
.LBB35_4:                               ; =>This Loop Header: Depth=1
                                        ;     Child Loop BB35_5 Depth 2
	s_max_u32 s9, s7, 1
.LBB35_5:                               ;   Parent Loop BB35_4 Depth=1
                                        ; =>  This Inner Loop Header: Depth=2
	s_delay_alu instid0(SALU_CYCLE_1)
	s_add_i32 s9, s9, -1
	s_sleep 1
	s_cmp_eq_u32 s9, 0
	s_cbranch_scc0 .LBB35_5
; %bb.6:                                ;   in Loop: Header=BB35_4 Depth=1
	;;#ASMSTART
	global_load_dwordx4 v[2:5], v[7:8] off glc	
s_waitcnt vmcnt(0)
	;;#ASMEND
	v_and_b32_e32 v5, 0xff, v4
	s_cmp_lt_u32 s7, 32
	s_cselect_b32 s9, -1, 0
	s_delay_alu instid0(SALU_CYCLE_1) | instskip(NEXT) | instid1(VALU_DEP_1)
	s_cmp_lg_u32 s9, 0
	v_cmp_ne_u64_e32 vcc_lo, 0, v[5:6]
	s_addc_u32 s7, s7, 0
	s_or_b32 s6, vcc_lo, s6
	s_delay_alu instid0(SALU_CYCLE_1)
	s_and_not1_b32 exec_lo, exec_lo, s6
	s_cbranch_execnz .LBB35_4
; %bb.7:
	s_or_b32 exec_lo, exec_lo, s6
.LBB35_8:
	s_delay_alu instid0(SALU_CYCLE_1)
	s_or_b32 exec_lo, exec_lo, s3
	v_mov_b32_e32 v0, 0
	global_store_b64 v0, v[2:3], s[4:5]
.LBB35_9:
	s_or_b32 exec_lo, exec_lo, s8
.LBB35_10:
	s_delay_alu instid0(VALU_DEP_1)
	v_cmp_gt_u32_e32 vcc_lo, s2, v1
	s_and_saveexec_b32 s2, vcc_lo
	s_cbranch_execz .LBB35_12
; %bb.11:
	v_dual_mov_b32 v3, 0 :: v_dual_add_nc_u32 v2, 32, v1
	s_delay_alu instid0(VALU_DEP_1) | instskip(SKIP_2) | instid1(VALU_DEP_3)
	v_lshlrev_b64 v[5:6], 4, v[2:3]
	v_mov_b32_e32 v2, v3
	v_mov_b32_e32 v4, v3
	v_add_co_u32 v7, vcc_lo, s0, v5
	s_delay_alu instid0(VALU_DEP_4)
	v_add_co_ci_u32_e32 v8, vcc_lo, s1, v6, vcc_lo
	v_mov_b32_e32 v5, v3
	global_store_b128 v[7:8], v[2:5], off
.LBB35_12:
	s_or_b32 exec_lo, exec_lo, s2
	s_delay_alu instid0(SALU_CYCLE_1)
	s_mov_b32 s2, exec_lo
	v_cmpx_gt_u32_e32 32, v1
	s_cbranch_execz .LBB35_14
; %bb.13:
	v_dual_mov_b32 v2, 0 :: v_dual_mov_b32 v3, 0xff
	s_delay_alu instid0(VALU_DEP_1) | instskip(SKIP_1) | instid1(VALU_DEP_2)
	v_lshlrev_b64 v[4:5], 4, v[1:2]
	v_mov_b32_e32 v1, v2
	v_add_co_u32 v6, vcc_lo, s0, v4
	s_delay_alu instid0(VALU_DEP_3)
	v_add_co_ci_u32_e32 v7, vcc_lo, s1, v5, vcc_lo
	v_mov_b32_e32 v4, v2
	global_store_b128 v[6:7], v[1:4], off
.LBB35_14:
	s_nop 0
	s_sendmsg sendmsg(MSG_DEALLOC_VGPRS)
	s_endpgm
	.section	.rodata,"a",@progbits
	.p2align	6, 0x0
	.amdhsa_kernel _ZN7rocprim17ROCPRIM_304000_NS6detail31init_lookback_scan_state_kernelINS1_19lookback_scan_stateIlLb1ELb1EEEEEvT_jjPNS5_10value_typeE
		.amdhsa_group_segment_fixed_size 0
		.amdhsa_private_segment_fixed_size 0
		.amdhsa_kernarg_size 280
		.amdhsa_user_sgpr_count 15
		.amdhsa_user_sgpr_dispatch_ptr 0
		.amdhsa_user_sgpr_queue_ptr 0
		.amdhsa_user_sgpr_kernarg_segment_ptr 1
		.amdhsa_user_sgpr_dispatch_id 0
		.amdhsa_user_sgpr_private_segment_size 0
		.amdhsa_wavefront_size32 1
		.amdhsa_uses_dynamic_stack 0
		.amdhsa_enable_private_segment 0
		.amdhsa_system_sgpr_workgroup_id_x 1
		.amdhsa_system_sgpr_workgroup_id_y 0
		.amdhsa_system_sgpr_workgroup_id_z 0
		.amdhsa_system_sgpr_workgroup_info 0
		.amdhsa_system_vgpr_workitem_id 0
		.amdhsa_next_free_vgpr 9
		.amdhsa_next_free_sgpr 16
		.amdhsa_reserve_vcc 1
		.amdhsa_float_round_mode_32 0
		.amdhsa_float_round_mode_16_64 0
		.amdhsa_float_denorm_mode_32 3
		.amdhsa_float_denorm_mode_16_64 3
		.amdhsa_dx10_clamp 1
		.amdhsa_ieee_mode 1
		.amdhsa_fp16_overflow 0
		.amdhsa_workgroup_processor_mode 1
		.amdhsa_memory_ordered 1
		.amdhsa_forward_progress 0
		.amdhsa_shared_vgpr_count 0
		.amdhsa_exception_fp_ieee_invalid_op 0
		.amdhsa_exception_fp_denorm_src 0
		.amdhsa_exception_fp_ieee_div_zero 0
		.amdhsa_exception_fp_ieee_overflow 0
		.amdhsa_exception_fp_ieee_underflow 0
		.amdhsa_exception_fp_ieee_inexact 0
		.amdhsa_exception_int_div_zero 0
	.end_amdhsa_kernel
	.section	.text._ZN7rocprim17ROCPRIM_304000_NS6detail31init_lookback_scan_state_kernelINS1_19lookback_scan_stateIlLb1ELb1EEEEEvT_jjPNS5_10value_typeE,"axG",@progbits,_ZN7rocprim17ROCPRIM_304000_NS6detail31init_lookback_scan_state_kernelINS1_19lookback_scan_stateIlLb1ELb1EEEEEvT_jjPNS5_10value_typeE,comdat
.Lfunc_end35:
	.size	_ZN7rocprim17ROCPRIM_304000_NS6detail31init_lookback_scan_state_kernelINS1_19lookback_scan_stateIlLb1ELb1EEEEEvT_jjPNS5_10value_typeE, .Lfunc_end35-_ZN7rocprim17ROCPRIM_304000_NS6detail31init_lookback_scan_state_kernelINS1_19lookback_scan_stateIlLb1ELb1EEEEEvT_jjPNS5_10value_typeE
                                        ; -- End function
	.section	.AMDGPU.csdata,"",@progbits
; Kernel info:
; codeLenInByte = 496
; NumSgprs: 18
; NumVgprs: 9
; ScratchSize: 0
; MemoryBound: 0
; FloatMode: 240
; IeeeMode: 1
; LDSByteSize: 0 bytes/workgroup (compile time only)
; SGPRBlocks: 2
; VGPRBlocks: 1
; NumSGPRsForWavesPerEU: 18
; NumVGPRsForWavesPerEU: 9
; Occupancy: 16
; WaveLimiterHint : 0
; COMPUTE_PGM_RSRC2:SCRATCH_EN: 0
; COMPUTE_PGM_RSRC2:USER_SGPR: 15
; COMPUTE_PGM_RSRC2:TRAP_HANDLER: 0
; COMPUTE_PGM_RSRC2:TGID_X_EN: 1
; COMPUTE_PGM_RSRC2:TGID_Y_EN: 0
; COMPUTE_PGM_RSRC2:TGID_Z_EN: 0
; COMPUTE_PGM_RSRC2:TIDIG_COMP_CNT: 0
	.section	.text._ZN7rocprim17ROCPRIM_304000_NS6detail31init_lookback_scan_state_kernelINS1_19lookback_scan_stateIlLb0ELb1EEEEEvT_jjPNS5_10value_typeE,"axG",@progbits,_ZN7rocprim17ROCPRIM_304000_NS6detail31init_lookback_scan_state_kernelINS1_19lookback_scan_stateIlLb0ELb1EEEEEvT_jjPNS5_10value_typeE,comdat
	.protected	_ZN7rocprim17ROCPRIM_304000_NS6detail31init_lookback_scan_state_kernelINS1_19lookback_scan_stateIlLb0ELb1EEEEEvT_jjPNS5_10value_typeE ; -- Begin function _ZN7rocprim17ROCPRIM_304000_NS6detail31init_lookback_scan_state_kernelINS1_19lookback_scan_stateIlLb0ELb1EEEEEvT_jjPNS5_10value_typeE
	.globl	_ZN7rocprim17ROCPRIM_304000_NS6detail31init_lookback_scan_state_kernelINS1_19lookback_scan_stateIlLb0ELb1EEEEEvT_jjPNS5_10value_typeE
	.p2align	8
	.type	_ZN7rocprim17ROCPRIM_304000_NS6detail31init_lookback_scan_state_kernelINS1_19lookback_scan_stateIlLb0ELb1EEEEEvT_jjPNS5_10value_typeE,@function
_ZN7rocprim17ROCPRIM_304000_NS6detail31init_lookback_scan_state_kernelINS1_19lookback_scan_stateIlLb0ELb1EEEEEvT_jjPNS5_10value_typeE: ; @_ZN7rocprim17ROCPRIM_304000_NS6detail31init_lookback_scan_state_kernelINS1_19lookback_scan_stateIlLb0ELb1EEEEEvT_jjPNS5_10value_typeE
; %bb.0:
	s_clause 0x2
	s_load_b32 s6, s[0:1], 0x24
	s_load_b64 s[4:5], s[0:1], 0x10
	s_load_b128 s[0:3], s[0:1], 0x0
	s_waitcnt lgkmcnt(0)
	s_and_b32 s6, s6, 0xffff
	s_cmp_eq_u64 s[4:5], 0
	v_mad_u64_u32 v[1:2], null, s15, s6, v[0:1]
	s_cbranch_scc1 .LBB36_8
; %bb.1:
	s_cmp_lt_u32 s3, s2
	s_mov_b32 s7, 0
	s_cselect_b32 s6, s3, 0
	s_mov_b32 s8, exec_lo
	s_delay_alu instid0(VALU_DEP_1)
	v_cmpx_eq_u32_e64 s6, v1
	s_cbranch_execz .LBB36_7
; %bb.2:
	s_add_i32 s6, s3, 32
	s_mov_b32 s3, exec_lo
	s_lshl_b64 s[6:7], s[6:7], 4
	v_mov_b32_e32 v6, 0
	s_add_u32 s6, s0, s6
	s_addc_u32 s7, s1, s7
	s_delay_alu instid0(SALU_CYCLE_1) | instskip(SKIP_2) | instid1(VALU_DEP_1)
	v_dual_mov_b32 v2, s6 :: v_dual_mov_b32 v3, s7
	;;#ASMSTART
	global_load_dwordx4 v[2:5], v[2:3] off glc	
s_waitcnt vmcnt(0)
	;;#ASMEND
	v_and_b32_e32 v5, 0xff, v4
	v_cmpx_eq_u64_e32 0, v[5:6]
	s_cbranch_execz .LBB36_6
; %bb.3:
	v_dual_mov_b32 v8, s7 :: v_dual_mov_b32 v7, s6
	s_mov_b32 s6, 0
.LBB36_4:                               ; =>This Inner Loop Header: Depth=1
	;;#ASMSTART
	global_load_dwordx4 v[2:5], v[7:8] off glc	
s_waitcnt vmcnt(0)
	;;#ASMEND
	v_and_b32_e32 v5, 0xff, v4
	s_delay_alu instid0(VALU_DEP_1) | instskip(SKIP_1) | instid1(SALU_CYCLE_1)
	v_cmp_ne_u64_e32 vcc_lo, 0, v[5:6]
	s_or_b32 s6, vcc_lo, s6
	s_and_not1_b32 exec_lo, exec_lo, s6
	s_cbranch_execnz .LBB36_4
; %bb.5:
	s_or_b32 exec_lo, exec_lo, s6
.LBB36_6:
	s_delay_alu instid0(SALU_CYCLE_1)
	s_or_b32 exec_lo, exec_lo, s3
	v_mov_b32_e32 v0, 0
	global_store_b64 v0, v[2:3], s[4:5]
.LBB36_7:
	s_or_b32 exec_lo, exec_lo, s8
.LBB36_8:
	s_delay_alu instid0(VALU_DEP_1)
	v_cmp_gt_u32_e32 vcc_lo, s2, v1
	s_and_saveexec_b32 s2, vcc_lo
	s_cbranch_execz .LBB36_10
; %bb.9:
	v_dual_mov_b32 v3, 0 :: v_dual_add_nc_u32 v2, 32, v1
	s_delay_alu instid0(VALU_DEP_1) | instskip(SKIP_2) | instid1(VALU_DEP_3)
	v_lshlrev_b64 v[5:6], 4, v[2:3]
	v_mov_b32_e32 v2, v3
	v_mov_b32_e32 v4, v3
	v_add_co_u32 v7, vcc_lo, s0, v5
	s_delay_alu instid0(VALU_DEP_4)
	v_add_co_ci_u32_e32 v8, vcc_lo, s1, v6, vcc_lo
	v_mov_b32_e32 v5, v3
	global_store_b128 v[7:8], v[2:5], off
.LBB36_10:
	s_or_b32 exec_lo, exec_lo, s2
	s_delay_alu instid0(SALU_CYCLE_1)
	s_mov_b32 s2, exec_lo
	v_cmpx_gt_u32_e32 32, v1
	s_cbranch_execz .LBB36_12
; %bb.11:
	v_dual_mov_b32 v2, 0 :: v_dual_mov_b32 v3, 0xff
	s_delay_alu instid0(VALU_DEP_1) | instskip(SKIP_1) | instid1(VALU_DEP_2)
	v_lshlrev_b64 v[4:5], 4, v[1:2]
	v_mov_b32_e32 v1, v2
	v_add_co_u32 v6, vcc_lo, s0, v4
	s_delay_alu instid0(VALU_DEP_3)
	v_add_co_ci_u32_e32 v7, vcc_lo, s1, v5, vcc_lo
	v_mov_b32_e32 v4, v2
	global_store_b128 v[6:7], v[1:4], off
.LBB36_12:
	s_nop 0
	s_sendmsg sendmsg(MSG_DEALLOC_VGPRS)
	s_endpgm
	.section	.rodata,"a",@progbits
	.p2align	6, 0x0
	.amdhsa_kernel _ZN7rocprim17ROCPRIM_304000_NS6detail31init_lookback_scan_state_kernelINS1_19lookback_scan_stateIlLb0ELb1EEEEEvT_jjPNS5_10value_typeE
		.amdhsa_group_segment_fixed_size 0
		.amdhsa_private_segment_fixed_size 0
		.amdhsa_kernarg_size 280
		.amdhsa_user_sgpr_count 15
		.amdhsa_user_sgpr_dispatch_ptr 0
		.amdhsa_user_sgpr_queue_ptr 0
		.amdhsa_user_sgpr_kernarg_segment_ptr 1
		.amdhsa_user_sgpr_dispatch_id 0
		.amdhsa_user_sgpr_private_segment_size 0
		.amdhsa_wavefront_size32 1
		.amdhsa_uses_dynamic_stack 0
		.amdhsa_enable_private_segment 0
		.amdhsa_system_sgpr_workgroup_id_x 1
		.amdhsa_system_sgpr_workgroup_id_y 0
		.amdhsa_system_sgpr_workgroup_id_z 0
		.amdhsa_system_sgpr_workgroup_info 0
		.amdhsa_system_vgpr_workitem_id 0
		.amdhsa_next_free_vgpr 9
		.amdhsa_next_free_sgpr 16
		.amdhsa_reserve_vcc 1
		.amdhsa_float_round_mode_32 0
		.amdhsa_float_round_mode_16_64 0
		.amdhsa_float_denorm_mode_32 3
		.amdhsa_float_denorm_mode_16_64 3
		.amdhsa_dx10_clamp 1
		.amdhsa_ieee_mode 1
		.amdhsa_fp16_overflow 0
		.amdhsa_workgroup_processor_mode 1
		.amdhsa_memory_ordered 1
		.amdhsa_forward_progress 0
		.amdhsa_shared_vgpr_count 0
		.amdhsa_exception_fp_ieee_invalid_op 0
		.amdhsa_exception_fp_denorm_src 0
		.amdhsa_exception_fp_ieee_div_zero 0
		.amdhsa_exception_fp_ieee_overflow 0
		.amdhsa_exception_fp_ieee_underflow 0
		.amdhsa_exception_fp_ieee_inexact 0
		.amdhsa_exception_int_div_zero 0
	.end_amdhsa_kernel
	.section	.text._ZN7rocprim17ROCPRIM_304000_NS6detail31init_lookback_scan_state_kernelINS1_19lookback_scan_stateIlLb0ELb1EEEEEvT_jjPNS5_10value_typeE,"axG",@progbits,_ZN7rocprim17ROCPRIM_304000_NS6detail31init_lookback_scan_state_kernelINS1_19lookback_scan_stateIlLb0ELb1EEEEEvT_jjPNS5_10value_typeE,comdat
.Lfunc_end36:
	.size	_ZN7rocprim17ROCPRIM_304000_NS6detail31init_lookback_scan_state_kernelINS1_19lookback_scan_stateIlLb0ELb1EEEEEvT_jjPNS5_10value_typeE, .Lfunc_end36-_ZN7rocprim17ROCPRIM_304000_NS6detail31init_lookback_scan_state_kernelINS1_19lookback_scan_stateIlLb0ELb1EEEEEvT_jjPNS5_10value_typeE
                                        ; -- End function
	.section	.AMDGPU.csdata,"",@progbits
; Kernel info:
; codeLenInByte = 448
; NumSgprs: 18
; NumVgprs: 9
; ScratchSize: 0
; MemoryBound: 0
; FloatMode: 240
; IeeeMode: 1
; LDSByteSize: 0 bytes/workgroup (compile time only)
; SGPRBlocks: 2
; VGPRBlocks: 1
; NumSGPRsForWavesPerEU: 18
; NumVGPRsForWavesPerEU: 9
; Occupancy: 16
; WaveLimiterHint : 0
; COMPUTE_PGM_RSRC2:SCRATCH_EN: 0
; COMPUTE_PGM_RSRC2:USER_SGPR: 15
; COMPUTE_PGM_RSRC2:TRAP_HANDLER: 0
; COMPUTE_PGM_RSRC2:TGID_X_EN: 1
; COMPUTE_PGM_RSRC2:TGID_Y_EN: 0
; COMPUTE_PGM_RSRC2:TGID_Z_EN: 0
; COMPUTE_PGM_RSRC2:TIDIG_COMP_CNT: 0
	.section	.text._ZN7rocprim17ROCPRIM_304000_NS6detail20lookback_scan_kernelILNS1_25lookback_scan_determinismE0ELb0ENS1_19wrapped_scan_configINS0_14default_configElEEPKlPlSt4plusIlEllNS1_19lookback_scan_stateIlLb1ELb1EEEEEvT2_T3_mT5_T4_T7_jPT6_SK_bb,"axG",@progbits,_ZN7rocprim17ROCPRIM_304000_NS6detail20lookback_scan_kernelILNS1_25lookback_scan_determinismE0ELb0ENS1_19wrapped_scan_configINS0_14default_configElEEPKlPlSt4plusIlEllNS1_19lookback_scan_stateIlLb1ELb1EEEEEvT2_T3_mT5_T4_T7_jPT6_SK_bb,comdat
	.protected	_ZN7rocprim17ROCPRIM_304000_NS6detail20lookback_scan_kernelILNS1_25lookback_scan_determinismE0ELb0ENS1_19wrapped_scan_configINS0_14default_configElEEPKlPlSt4plusIlEllNS1_19lookback_scan_stateIlLb1ELb1EEEEEvT2_T3_mT5_T4_T7_jPT6_SK_bb ; -- Begin function _ZN7rocprim17ROCPRIM_304000_NS6detail20lookback_scan_kernelILNS1_25lookback_scan_determinismE0ELb0ENS1_19wrapped_scan_configINS0_14default_configElEEPKlPlSt4plusIlEllNS1_19lookback_scan_stateIlLb1ELb1EEEEEvT2_T3_mT5_T4_T7_jPT6_SK_bb
	.globl	_ZN7rocprim17ROCPRIM_304000_NS6detail20lookback_scan_kernelILNS1_25lookback_scan_determinismE0ELb0ENS1_19wrapped_scan_configINS0_14default_configElEEPKlPlSt4plusIlEllNS1_19lookback_scan_stateIlLb1ELb1EEEEEvT2_T3_mT5_T4_T7_jPT6_SK_bb
	.p2align	8
	.type	_ZN7rocprim17ROCPRIM_304000_NS6detail20lookback_scan_kernelILNS1_25lookback_scan_determinismE0ELb0ENS1_19wrapped_scan_configINS0_14default_configElEEPKlPlSt4plusIlEllNS1_19lookback_scan_stateIlLb1ELb1EEEEEvT2_T3_mT5_T4_T7_jPT6_SK_bb,@function
_ZN7rocprim17ROCPRIM_304000_NS6detail20lookback_scan_kernelILNS1_25lookback_scan_determinismE0ELb0ENS1_19wrapped_scan_configINS0_14default_configElEEPKlPlSt4plusIlEllNS1_19lookback_scan_stateIlLb1ELb1EEEEEvT2_T3_mT5_T4_T7_jPT6_SK_bb: ; @_ZN7rocprim17ROCPRIM_304000_NS6detail20lookback_scan_kernelILNS1_25lookback_scan_determinismE0ELb0ENS1_19wrapped_scan_configINS0_14default_configElEEPKlPlSt4plusIlEllNS1_19lookback_scan_stateIlLb1ELb1EEEEEvT2_T3_mT5_T4_T7_jPT6_SK_bb
; %bb.0:
	s_endpgm
	.section	.rodata,"a",@progbits
	.p2align	6, 0x0
	.amdhsa_kernel _ZN7rocprim17ROCPRIM_304000_NS6detail20lookback_scan_kernelILNS1_25lookback_scan_determinismE0ELb0ENS1_19wrapped_scan_configINS0_14default_configElEEPKlPlSt4plusIlEllNS1_19lookback_scan_stateIlLb1ELb1EEEEEvT2_T3_mT5_T4_T7_jPT6_SK_bb
		.amdhsa_group_segment_fixed_size 0
		.amdhsa_private_segment_fixed_size 0
		.amdhsa_kernarg_size 76
		.amdhsa_user_sgpr_count 15
		.amdhsa_user_sgpr_dispatch_ptr 0
		.amdhsa_user_sgpr_queue_ptr 0
		.amdhsa_user_sgpr_kernarg_segment_ptr 1
		.amdhsa_user_sgpr_dispatch_id 0
		.amdhsa_user_sgpr_private_segment_size 0
		.amdhsa_wavefront_size32 1
		.amdhsa_uses_dynamic_stack 0
		.amdhsa_enable_private_segment 0
		.amdhsa_system_sgpr_workgroup_id_x 1
		.amdhsa_system_sgpr_workgroup_id_y 0
		.amdhsa_system_sgpr_workgroup_id_z 0
		.amdhsa_system_sgpr_workgroup_info 0
		.amdhsa_system_vgpr_workitem_id 0
		.amdhsa_next_free_vgpr 1
		.amdhsa_next_free_sgpr 1
		.amdhsa_reserve_vcc 0
		.amdhsa_float_round_mode_32 0
		.amdhsa_float_round_mode_16_64 0
		.amdhsa_float_denorm_mode_32 3
		.amdhsa_float_denorm_mode_16_64 3
		.amdhsa_dx10_clamp 1
		.amdhsa_ieee_mode 1
		.amdhsa_fp16_overflow 0
		.amdhsa_workgroup_processor_mode 1
		.amdhsa_memory_ordered 1
		.amdhsa_forward_progress 0
		.amdhsa_shared_vgpr_count 0
		.amdhsa_exception_fp_ieee_invalid_op 0
		.amdhsa_exception_fp_denorm_src 0
		.amdhsa_exception_fp_ieee_div_zero 0
		.amdhsa_exception_fp_ieee_overflow 0
		.amdhsa_exception_fp_ieee_underflow 0
		.amdhsa_exception_fp_ieee_inexact 0
		.amdhsa_exception_int_div_zero 0
	.end_amdhsa_kernel
	.section	.text._ZN7rocprim17ROCPRIM_304000_NS6detail20lookback_scan_kernelILNS1_25lookback_scan_determinismE0ELb0ENS1_19wrapped_scan_configINS0_14default_configElEEPKlPlSt4plusIlEllNS1_19lookback_scan_stateIlLb1ELb1EEEEEvT2_T3_mT5_T4_T7_jPT6_SK_bb,"axG",@progbits,_ZN7rocprim17ROCPRIM_304000_NS6detail20lookback_scan_kernelILNS1_25lookback_scan_determinismE0ELb0ENS1_19wrapped_scan_configINS0_14default_configElEEPKlPlSt4plusIlEllNS1_19lookback_scan_stateIlLb1ELb1EEEEEvT2_T3_mT5_T4_T7_jPT6_SK_bb,comdat
.Lfunc_end37:
	.size	_ZN7rocprim17ROCPRIM_304000_NS6detail20lookback_scan_kernelILNS1_25lookback_scan_determinismE0ELb0ENS1_19wrapped_scan_configINS0_14default_configElEEPKlPlSt4plusIlEllNS1_19lookback_scan_stateIlLb1ELb1EEEEEvT2_T3_mT5_T4_T7_jPT6_SK_bb, .Lfunc_end37-_ZN7rocprim17ROCPRIM_304000_NS6detail20lookback_scan_kernelILNS1_25lookback_scan_determinismE0ELb0ENS1_19wrapped_scan_configINS0_14default_configElEEPKlPlSt4plusIlEllNS1_19lookback_scan_stateIlLb1ELb1EEEEEvT2_T3_mT5_T4_T7_jPT6_SK_bb
                                        ; -- End function
	.section	.AMDGPU.csdata,"",@progbits
; Kernel info:
; codeLenInByte = 4
; NumSgprs: 0
; NumVgprs: 0
; ScratchSize: 0
; MemoryBound: 0
; FloatMode: 240
; IeeeMode: 1
; LDSByteSize: 0 bytes/workgroup (compile time only)
; SGPRBlocks: 0
; VGPRBlocks: 0
; NumSGPRsForWavesPerEU: 1
; NumVGPRsForWavesPerEU: 1
; Occupancy: 16
; WaveLimiterHint : 0
; COMPUTE_PGM_RSRC2:SCRATCH_EN: 0
; COMPUTE_PGM_RSRC2:USER_SGPR: 15
; COMPUTE_PGM_RSRC2:TRAP_HANDLER: 0
; COMPUTE_PGM_RSRC2:TGID_X_EN: 1
; COMPUTE_PGM_RSRC2:TGID_Y_EN: 0
; COMPUTE_PGM_RSRC2:TGID_Z_EN: 0
; COMPUTE_PGM_RSRC2:TIDIG_COMP_CNT: 0
	.section	.text._ZN7rocprim17ROCPRIM_304000_NS6detail20lookback_scan_kernelILNS1_25lookback_scan_determinismE0ELb0ENS1_19wrapped_scan_configINS0_14default_configElEEPKlPlSt4plusIlEllNS1_19lookback_scan_stateIlLb0ELb1EEEEEvT2_T3_mT5_T4_T7_jPT6_SK_bb,"axG",@progbits,_ZN7rocprim17ROCPRIM_304000_NS6detail20lookback_scan_kernelILNS1_25lookback_scan_determinismE0ELb0ENS1_19wrapped_scan_configINS0_14default_configElEEPKlPlSt4plusIlEllNS1_19lookback_scan_stateIlLb0ELb1EEEEEvT2_T3_mT5_T4_T7_jPT6_SK_bb,comdat
	.protected	_ZN7rocprim17ROCPRIM_304000_NS6detail20lookback_scan_kernelILNS1_25lookback_scan_determinismE0ELb0ENS1_19wrapped_scan_configINS0_14default_configElEEPKlPlSt4plusIlEllNS1_19lookback_scan_stateIlLb0ELb1EEEEEvT2_T3_mT5_T4_T7_jPT6_SK_bb ; -- Begin function _ZN7rocprim17ROCPRIM_304000_NS6detail20lookback_scan_kernelILNS1_25lookback_scan_determinismE0ELb0ENS1_19wrapped_scan_configINS0_14default_configElEEPKlPlSt4plusIlEllNS1_19lookback_scan_stateIlLb0ELb1EEEEEvT2_T3_mT5_T4_T7_jPT6_SK_bb
	.globl	_ZN7rocprim17ROCPRIM_304000_NS6detail20lookback_scan_kernelILNS1_25lookback_scan_determinismE0ELb0ENS1_19wrapped_scan_configINS0_14default_configElEEPKlPlSt4plusIlEllNS1_19lookback_scan_stateIlLb0ELb1EEEEEvT2_T3_mT5_T4_T7_jPT6_SK_bb
	.p2align	8
	.type	_ZN7rocprim17ROCPRIM_304000_NS6detail20lookback_scan_kernelILNS1_25lookback_scan_determinismE0ELb0ENS1_19wrapped_scan_configINS0_14default_configElEEPKlPlSt4plusIlEllNS1_19lookback_scan_stateIlLb0ELb1EEEEEvT2_T3_mT5_T4_T7_jPT6_SK_bb,@function
_ZN7rocprim17ROCPRIM_304000_NS6detail20lookback_scan_kernelILNS1_25lookback_scan_determinismE0ELb0ENS1_19wrapped_scan_configINS0_14default_configElEEPKlPlSt4plusIlEllNS1_19lookback_scan_stateIlLb0ELb1EEEEEvT2_T3_mT5_T4_T7_jPT6_SK_bb: ; @_ZN7rocprim17ROCPRIM_304000_NS6detail20lookback_scan_kernelILNS1_25lookback_scan_determinismE0ELb0ENS1_19wrapped_scan_configINS0_14default_configElEEPKlPlSt4plusIlEllNS1_19lookback_scan_stateIlLb0ELb1EEEEEvT2_T3_mT5_T4_T7_jPT6_SK_bb
; %bb.0:
	s_clause 0x2
	s_load_b32 s10, s[0:1], 0x30
	s_load_b64 s[2:3], s[0:1], 0x10
	s_load_b128 s[4:7], s[0:1], 0x0
	s_lshl_b32 s8, s15, 12
	s_mov_b32 s9, 0
	v_lshlrev_b32_e32 v80, 3, v0
	v_lshrrev_b32_e32 v37, 2, v0
	v_or_b32_e32 v79, 0x100, v0
	v_or_b32_e32 v78, 0x200, v0
	;; [unrolled: 1-line block ×13, first 2 shown]
	s_waitcnt lgkmcnt(0)
	s_add_i32 s10, s10, -1
	v_or_b32_e32 v66, 0xe00, v0
	s_lshl_b32 s11, s10, 12
	v_or_b32_e32 v65, 0xf00, v0
	s_sub_u32 s14, s2, s11
	s_subb_u32 s16, s3, 0
	s_cmp_lg_u32 s15, s10
	s_mov_b32 s3, -1
	s_cselect_b32 s17, -1, 0
	s_lshl_b64 s[12:13], s[8:9], 3
	s_delay_alu instid0(SALU_CYCLE_1)
	s_add_u32 s4, s4, s12
	s_addc_u32 s5, s5, s13
	s_and_b32 vcc_lo, exec_lo, s17
	s_cbranch_vccz .LBB38_2
; %bb.1:
	v_add_co_u32 v27, s2, s4, v80
	s_delay_alu instid0(VALU_DEP_1)
	v_add_co_ci_u32_e64 v28, null, s5, 0, s2
	s_clause 0x1
	global_load_b64 v[1:2], v80, s[4:5]
	global_load_b64 v[3:4], v80, s[4:5] offset:2048
	v_add_co_u32 v5, vcc_lo, 0x1000, v27
	v_add_co_ci_u32_e32 v6, vcc_lo, 0, v28, vcc_lo
	v_add_co_u32 v7, vcc_lo, v27, 0x2000
	v_add_co_ci_u32_e32 v8, vcc_lo, 0, v28, vcc_lo
	v_add_co_u32 v9, vcc_lo, 0x2000, v27
	v_add_co_ci_u32_e32 v10, vcc_lo, 0, v28, vcc_lo
	v_add_co_u32 v11, vcc_lo, 0x3000, v27
	v_add_co_ci_u32_e32 v12, vcc_lo, 0, v28, vcc_lo
	v_add_co_u32 v13, vcc_lo, v27, 0x4000
	v_add_co_ci_u32_e32 v14, vcc_lo, 0, v28, vcc_lo
	v_add_co_u32 v15, vcc_lo, 0x4000, v27
	v_add_co_ci_u32_e32 v16, vcc_lo, 0, v28, vcc_lo
	v_add_co_u32 v21, vcc_lo, 0x5000, v27
	v_add_co_ci_u32_e32 v22, vcc_lo, 0, v28, vcc_lo
	v_add_co_u32 v23, vcc_lo, v27, 0x6000
	v_add_co_ci_u32_e32 v24, vcc_lo, 0, v28, vcc_lo
	v_add_co_u32 v25, vcc_lo, 0x6000, v27
	v_add_co_ci_u32_e32 v26, vcc_lo, 0, v28, vcc_lo
	v_add_co_u32 v27, vcc_lo, 0x7000, v27
	v_add_co_ci_u32_e32 v28, vcc_lo, 0, v28, vcc_lo
	s_clause 0xd
	global_load_b64 v[17:18], v[7:8], off offset:-4096
	global_load_b64 v[7:8], v[7:8], off
	global_load_b64 v[19:20], v[13:14], off offset:-4096
	global_load_b64 v[13:14], v[13:14], off
	global_load_b64 v[5:6], v[5:6], off offset:2048
	global_load_b64 v[9:10], v[9:10], off offset:2048
	;; [unrolled: 1-line block ×4, first 2 shown]
	global_load_b64 v[29:30], v[23:24], off offset:-4096
	global_load_b64 v[21:22], v[21:22], off offset:2048
	global_load_b64 v[23:24], v[23:24], off
	global_load_b64 v[25:26], v[25:26], off offset:2048
	global_load_b64 v[31:32], v[27:28], off
	global_load_b64 v[27:28], v[27:28], off offset:2048
	v_lshrrev_b32_e32 v34, 2, v79
	v_lshrrev_b32_e32 v35, 2, v78
	;; [unrolled: 1-line block ×4, first 2 shown]
	v_and_b32_e32 v33, 56, v37
	v_lshrrev_b32_e32 v39, 2, v75
	v_lshrrev_b32_e32 v40, 2, v74
	;; [unrolled: 1-line block ×11, first 2 shown]
	v_and_b32_e32 v34, 0x78, v34
	v_and_b32_e32 v35, 0xb8, v35
	;; [unrolled: 1-line block ×4, first 2 shown]
	v_add_nc_u32_e32 v33, v33, v80
	v_and_b32_e32 v39, 0x178, v39
	v_and_b32_e32 v40, 0x1b8, v40
	;; [unrolled: 1-line block ×11, first 2 shown]
	v_add_nc_u32_e32 v34, v34, v80
	v_add_nc_u32_e32 v35, v35, v80
	;; [unrolled: 1-line block ×4, first 2 shown]
	s_mov_b32 s3, 0
	v_add_nc_u32_e32 v39, v39, v80
	v_add_nc_u32_e32 v40, v40, v80
	;; [unrolled: 1-line block ×11, first 2 shown]
	s_waitcnt vmcnt(15)
	ds_store_b64 v33, v[1:2]
	s_waitcnt vmcnt(14)
	ds_store_b64 v34, v[3:4] offset:2048
	s_waitcnt vmcnt(13)
	ds_store_b64 v35, v[17:18] offset:4096
	;; [unrolled: 2-line block ×3, first 2 shown]
	ds_store_b64 v38, v[7:8] offset:8192
	s_waitcnt vmcnt(8)
	ds_store_b64 v39, v[9:10] offset:10240
	ds_store_b64 v40, v[19:20] offset:12288
	s_waitcnt vmcnt(7)
	ds_store_b64 v41, v[11:12] offset:14336
	;; [unrolled: 3-line block ×3, first 2 shown]
	s_waitcnt vmcnt(5)
	ds_store_b64 v44, v[29:30] offset:20480
	s_waitcnt vmcnt(4)
	ds_store_b64 v45, v[21:22] offset:22528
	;; [unrolled: 2-line block ×6, first 2 shown]
	s_waitcnt lgkmcnt(0)
	s_barrier
.LBB38_2:
	v_cmp_gt_u32_e64 s2, s14, v0
	s_and_not1_b32 vcc_lo, exec_lo, s3
	s_cbranch_vccnz .LBB38_21
; %bb.3:
	s_load_b64 s[36:37], s[4:5], 0x0
	v_add_co_u32 v35, s3, s4, v80
	s_delay_alu instid0(VALU_DEP_1)
	v_add_co_ci_u32_e64 v36, null, s5, 0, s3
	s_waitcnt lgkmcnt(0)
	s_mov_b32 s38, s36
	s_mov_b32 s39, s37
	;; [unrolled: 1-line block ×30, first 2 shown]
	v_dual_mov_b32 v1, s36 :: v_dual_mov_b32 v2, s37
	v_dual_mov_b32 v3, s38 :: v_dual_mov_b32 v4, s39
	;; [unrolled: 1-line block ×17, first 2 shown]
	s_and_saveexec_b32 s3, s2
	s_cbranch_execnz .LBB38_168
; %bb.4:
	s_or_b32 exec_lo, exec_lo, s3
	s_delay_alu instid0(SALU_CYCLE_1)
	s_mov_b32 s2, exec_lo
	v_cmpx_gt_u32_e64 s14, v79
	s_cbranch_execnz .LBB38_169
.LBB38_5:
	s_or_b32 exec_lo, exec_lo, s2
	s_delay_alu instid0(SALU_CYCLE_1)
	s_mov_b32 s2, exec_lo
	v_cmpx_gt_u32_e64 s14, v78
	s_cbranch_execnz .LBB38_170
.LBB38_6:
	s_or_b32 exec_lo, exec_lo, s2
	s_delay_alu instid0(SALU_CYCLE_1)
	s_mov_b32 s2, exec_lo
	v_cmpx_gt_u32_e64 s14, v77
	s_cbranch_execnz .LBB38_171
.LBB38_7:
	s_or_b32 exec_lo, exec_lo, s2
	s_delay_alu instid0(SALU_CYCLE_1)
	s_mov_b32 s2, exec_lo
	v_cmpx_gt_u32_e64 s14, v76
	s_cbranch_execnz .LBB38_172
.LBB38_8:
	s_or_b32 exec_lo, exec_lo, s2
	s_delay_alu instid0(SALU_CYCLE_1)
	s_mov_b32 s2, exec_lo
	v_cmpx_gt_u32_e64 s14, v75
	s_cbranch_execnz .LBB38_173
.LBB38_9:
	s_or_b32 exec_lo, exec_lo, s2
	s_delay_alu instid0(SALU_CYCLE_1)
	s_mov_b32 s2, exec_lo
	v_cmpx_gt_u32_e64 s14, v74
	s_cbranch_execnz .LBB38_174
.LBB38_10:
	s_or_b32 exec_lo, exec_lo, s2
	s_delay_alu instid0(SALU_CYCLE_1)
	s_mov_b32 s2, exec_lo
	v_cmpx_gt_u32_e64 s14, v73
	s_cbranch_execnz .LBB38_175
.LBB38_11:
	s_or_b32 exec_lo, exec_lo, s2
	s_delay_alu instid0(SALU_CYCLE_1)
	s_mov_b32 s2, exec_lo
	v_cmpx_gt_u32_e64 s14, v72
	s_cbranch_execnz .LBB38_176
.LBB38_12:
	s_or_b32 exec_lo, exec_lo, s2
	s_delay_alu instid0(SALU_CYCLE_1)
	s_mov_b32 s2, exec_lo
	v_cmpx_gt_u32_e64 s14, v71
	s_cbranch_execnz .LBB38_177
.LBB38_13:
	s_or_b32 exec_lo, exec_lo, s2
	s_delay_alu instid0(SALU_CYCLE_1)
	s_mov_b32 s2, exec_lo
	v_cmpx_gt_u32_e64 s14, v70
	s_cbranch_execnz .LBB38_178
.LBB38_14:
	s_or_b32 exec_lo, exec_lo, s2
	s_delay_alu instid0(SALU_CYCLE_1)
	s_mov_b32 s2, exec_lo
	v_cmpx_gt_u32_e64 s14, v69
	s_cbranch_execnz .LBB38_179
.LBB38_15:
	s_or_b32 exec_lo, exec_lo, s2
	s_delay_alu instid0(SALU_CYCLE_1)
	s_mov_b32 s2, exec_lo
	v_cmpx_gt_u32_e64 s14, v68
	s_cbranch_execnz .LBB38_180
.LBB38_16:
	s_or_b32 exec_lo, exec_lo, s2
	s_delay_alu instid0(SALU_CYCLE_1)
	s_mov_b32 s2, exec_lo
	v_cmpx_gt_u32_e64 s14, v67
	s_cbranch_execnz .LBB38_181
.LBB38_17:
	s_or_b32 exec_lo, exec_lo, s2
	s_delay_alu instid0(SALU_CYCLE_1)
	s_mov_b32 s2, exec_lo
	v_cmpx_gt_u32_e64 s14, v66
	s_cbranch_execnz .LBB38_182
.LBB38_18:
	s_or_b32 exec_lo, exec_lo, s2
	s_delay_alu instid0(SALU_CYCLE_1)
	s_mov_b32 s2, exec_lo
	v_cmpx_gt_u32_e64 s14, v65
	s_cbranch_execz .LBB38_20
.LBB38_19:
	v_add_co_u32 v1, vcc_lo, 0x7000, v35
	v_add_co_ci_u32_e32 v2, vcc_lo, 0, v36, vcc_lo
	global_load_b64 v[31:32], v[1:2], off offset:2048
.LBB38_20:
	s_or_b32 exec_lo, exec_lo, s2
	v_lshrrev_b32_e32 v1, 2, v79
	v_lshrrev_b32_e32 v2, 2, v78
	;; [unrolled: 1-line block ×3, first 2 shown]
	v_and_b32_e32 v36, 56, v37
	v_lshrrev_b32_e32 v37, 2, v76
	v_and_b32_e32 v1, 0x78, v1
	v_and_b32_e32 v2, 0xf8, v2
	;; [unrolled: 1-line block ×3, first 2 shown]
	v_lshrrev_b32_e32 v38, 2, v75
	v_add_nc_u32_e32 v36, v36, v80
	v_add_nc_u32_e32 v1, v1, v80
	v_lshrrev_b32_e32 v39, 2, v74
	v_add_nc_u32_e32 v2, v2, v80
	v_lshrrev_b32_e32 v40, 2, v73
	v_add_nc_u32_e32 v35, v35, v80
	v_and_b32_e32 v37, 0x1f8, v37
	v_and_b32_e32 v38, 0x1f8, v38
	s_waitcnt vmcnt(0)
	ds_store_b64 v36, v[33:34]
	ds_store_b64 v1, v[3:4] offset:2048
	ds_store_b64 v2, v[5:6] offset:4096
	;; [unrolled: 1-line block ×3, first 2 shown]
	v_lshrrev_b32_e32 v5, 2, v72
	v_and_b32_e32 v3, 0x1f8, v39
	v_lshrrev_b32_e32 v6, 2, v71
	v_lshrrev_b32_e32 v7, 2, v70
	v_and_b32_e32 v4, 0x1f8, v40
	v_add_nc_u32_e32 v1, v37, v80
	v_add_nc_u32_e32 v2, v38, v80
	v_and_b32_e32 v5, 0x3f8, v5
	v_add_nc_u32_e32 v3, v3, v80
	v_and_b32_e32 v6, 0x3f8, v6
	v_and_b32_e32 v7, 0x3f8, v7
	v_add_nc_u32_e32 v4, v4, v80
	ds_store_b64 v1, v[9:10] offset:8192
	ds_store_b64 v2, v[11:12] offset:10240
	;; [unrolled: 1-line block ×4, first 2 shown]
	v_lshrrev_b32_e32 v4, 2, v69
	v_add_nc_u32_e32 v1, v5, v80
	v_lshrrev_b32_e32 v5, 2, v68
	v_add_nc_u32_e32 v2, v6, v80
	v_add_nc_u32_e32 v3, v7, v80
	v_lshrrev_b32_e32 v6, 2, v67
	v_lshrrev_b32_e32 v7, 2, v66
	;; [unrolled: 1-line block ×3, first 2 shown]
	v_and_b32_e32 v4, 0x3f8, v4
	v_and_b32_e32 v5, 0x3f8, v5
	;; [unrolled: 1-line block ×5, first 2 shown]
	v_add_nc_u32_e32 v4, v4, v80
	v_add_nc_u32_e32 v5, v5, v80
	;; [unrolled: 1-line block ×5, first 2 shown]
	ds_store_b64 v1, v[17:18] offset:16384
	ds_store_b64 v2, v[19:20] offset:18432
	;; [unrolled: 1-line block ×8, first 2 shown]
	s_waitcnt lgkmcnt(0)
	s_barrier
.LBB38_21:
	v_lshlrev_b32_e32 v1, 4, v0
	v_lshrrev_b32_e32 v82, 1, v0
	buffer_gl0_inv
	s_load_b64 s[4:5], s[0:1], 0x28
	v_lshrrev_b32_e32 v81, 5, v0
	v_cmp_gt_u32_e32 vcc_lo, 32, v0
	v_add_lshl_u32 v1, v82, v1, 3
	s_cmp_lg_u32 s15, 0
	ds_load_2addr_b64 v[57:60], v1 offset1:1
	ds_load_2addr_b64 v[61:64], v1 offset0:2 offset1:3
	ds_load_2addr_b64 v[53:56], v1 offset0:4 offset1:5
	;; [unrolled: 1-line block ×7, first 2 shown]
	s_waitcnt lgkmcnt(0)
	s_barrier
	buffer_gl0_inv
	s_cbranch_scc0 .LBB38_74
; %bb.22:
	v_add_co_u32 v1, s2, v59, v57
	s_delay_alu instid0(VALU_DEP_1) | instskip(SKIP_1) | instid1(VALU_DEP_3)
	v_add_co_ci_u32_e64 v2, s2, v60, v58, s2
	v_add_lshl_u32 v3, v81, v0, 3
	v_add_co_u32 v1, s2, v1, v61
	s_delay_alu instid0(VALU_DEP_1) | instskip(NEXT) | instid1(VALU_DEP_2)
	v_add_co_ci_u32_e64 v2, s2, v2, v62, s2
	v_add_co_u32 v1, s2, v1, v63
	s_delay_alu instid0(VALU_DEP_1) | instskip(NEXT) | instid1(VALU_DEP_2)
	v_add_co_ci_u32_e64 v2, s2, v2, v64, s2
	;; [unrolled: 3-line block ×13, first 2 shown]
	v_add_co_u32 v17, s2, v1, v35
	s_delay_alu instid0(VALU_DEP_1)
	v_add_co_ci_u32_e64 v18, s2, v2, v36, s2
	ds_store_b64 v3, v[17:18]
	s_waitcnt lgkmcnt(0)
	s_barrier
	buffer_gl0_inv
	s_and_saveexec_b32 s3, vcc_lo
	s_cbranch_execz .LBB38_32
; %bb.23:
	v_lshlrev_b32_e32 v1, 1, v0
	v_mbcnt_lo_u32_b32 v24, -1, 0
	s_mov_b32 s8, exec_lo
	s_delay_alu instid0(VALU_DEP_2) | instskip(NEXT) | instid1(VALU_DEP_2)
	v_and_b32_e32 v1, 0x1f8, v1
	v_and_b32_e32 v25, 15, v24
	s_delay_alu instid0(VALU_DEP_2)
	v_lshl_or_b32 v23, v0, 6, v1
	ds_load_2addr_b64 v[1:4], v23 offset1:1
	ds_load_2addr_b64 v[5:8], v23 offset0:2 offset1:3
	ds_load_2addr_b64 v[9:12], v23 offset0:4 offset1:5
	ds_load_2addr_b64 v[13:16], v23 offset0:6 offset1:7
	s_waitcnt lgkmcnt(3)
	v_add_co_u32 v19, s2, v3, v1
	s_delay_alu instid0(VALU_DEP_1) | instskip(SKIP_1) | instid1(VALU_DEP_2)
	v_add_co_ci_u32_e64 v20, s2, v4, v2, s2
	s_waitcnt lgkmcnt(2)
	v_add_co_u32 v19, s2, v19, v5
	s_delay_alu instid0(VALU_DEP_1) | instskip(NEXT) | instid1(VALU_DEP_2)
	v_add_co_ci_u32_e64 v20, s2, v20, v6, s2
	v_add_co_u32 v19, s2, v19, v7
	s_delay_alu instid0(VALU_DEP_1) | instskip(SKIP_1) | instid1(VALU_DEP_2)
	v_add_co_ci_u32_e64 v20, s2, v20, v8, s2
	s_waitcnt lgkmcnt(1)
	v_add_co_u32 v19, s2, v19, v9
	s_delay_alu instid0(VALU_DEP_1) | instskip(NEXT) | instid1(VALU_DEP_2)
	v_add_co_ci_u32_e64 v20, s2, v20, v10, s2
	v_add_co_u32 v19, s2, v19, v11
	s_delay_alu instid0(VALU_DEP_1) | instskip(SKIP_1) | instid1(VALU_DEP_2)
	v_add_co_ci_u32_e64 v20, s2, v20, v12, s2
	s_waitcnt lgkmcnt(0)
	v_add_co_u32 v19, s2, v19, v13
	s_delay_alu instid0(VALU_DEP_1) | instskip(NEXT) | instid1(VALU_DEP_2)
	v_add_co_ci_u32_e64 v20, s2, v20, v14, s2
	v_add_co_u32 v19, s2, v19, v15
	s_delay_alu instid0(VALU_DEP_1) | instskip(NEXT) | instid1(VALU_DEP_2)
	v_add_co_ci_u32_e64 v20, s2, v20, v16, s2
	v_mov_b32_dpp v27, v19 row_shr:1 row_mask:0xf bank_mask:0xf
	s_delay_alu instid0(VALU_DEP_2)
	v_mov_b32_e32 v22, v20
	v_mov_b32_dpp v26, v20 row_shr:1 row_mask:0xf bank_mask:0xf
	v_mov_b32_e32 v21, v19
	v_cmpx_ne_u32_e32 0, v25
; %bb.24:
	v_add_co_u32 v19, s2, v19, v27
	s_delay_alu instid0(VALU_DEP_1) | instskip(NEXT) | instid1(VALU_DEP_2)
	v_add_co_ci_u32_e64 v20, s2, 0, v20, s2
	v_add_co_u32 v21, s2, 0, v19
	s_delay_alu instid0(VALU_DEP_1) | instskip(NEXT) | instid1(VALU_DEP_1)
	v_add_co_ci_u32_e64 v22, s2, v26, v20, s2
	v_mov_b32_e32 v20, v22
; %bb.25:
	s_or_b32 exec_lo, exec_lo, s8
	v_mov_b32_dpp v27, v19 row_shr:2 row_mask:0xf bank_mask:0xf
	s_delay_alu instid0(VALU_DEP_2)
	v_mov_b32_dpp v26, v20 row_shr:2 row_mask:0xf bank_mask:0xf
	s_mov_b32 s8, exec_lo
	v_cmpx_lt_u32_e32 1, v25
; %bb.26:
	s_delay_alu instid0(VALU_DEP_3) | instskip(NEXT) | instid1(VALU_DEP_1)
	v_add_co_u32 v19, s2, v21, v27
	v_add_co_ci_u32_e64 v20, s2, 0, v22, s2
	s_delay_alu instid0(VALU_DEP_2) | instskip(NEXT) | instid1(VALU_DEP_1)
	v_add_co_u32 v21, s2, 0, v19
	v_add_co_ci_u32_e64 v22, s2, v26, v20, s2
	s_delay_alu instid0(VALU_DEP_1)
	v_mov_b32_e32 v20, v22
; %bb.27:
	s_or_b32 exec_lo, exec_lo, s8
	v_mov_b32_dpp v27, v19 row_shr:4 row_mask:0xf bank_mask:0xf
	s_delay_alu instid0(VALU_DEP_2)
	v_mov_b32_dpp v26, v20 row_shr:4 row_mask:0xf bank_mask:0xf
	s_mov_b32 s8, exec_lo
	v_cmpx_lt_u32_e32 3, v25
; %bb.28:
	s_delay_alu instid0(VALU_DEP_3) | instskip(NEXT) | instid1(VALU_DEP_1)
	v_add_co_u32 v19, s2, v21, v27
	v_add_co_ci_u32_e64 v20, s2, 0, v22, s2
	s_delay_alu instid0(VALU_DEP_2) | instskip(NEXT) | instid1(VALU_DEP_1)
	v_add_co_u32 v21, s2, 0, v19
	v_add_co_ci_u32_e64 v22, s2, v26, v20, s2
	s_delay_alu instid0(VALU_DEP_1)
	;; [unrolled: 16-line block ×3, first 2 shown]
	v_mov_b32_e32 v20, v22
; %bb.31:
	s_or_b32 exec_lo, exec_lo, s8
	ds_swizzle_b32 v25, v19 offset:swizzle(BROADCAST,32,15)
	ds_swizzle_b32 v26, v20 offset:swizzle(BROADCAST,32,15)
	v_add_nc_u32_e32 v27, -1, v24
	v_and_b32_e32 v28, 16, v24
	s_delay_alu instid0(VALU_DEP_2) | instskip(NEXT) | instid1(VALU_DEP_1)
	v_cmp_gt_i32_e64 s2, 0, v27
	v_cndmask_b32_e64 v24, v27, v24, s2
	s_delay_alu instid0(VALU_DEP_1) | instskip(SKIP_2) | instid1(VALU_DEP_1)
	v_lshlrev_b32_e32 v24, 2, v24
	s_waitcnt lgkmcnt(1)
	v_add_co_u32 v21, s2, v21, v25
	v_add_co_ci_u32_e64 v22, s2, 0, v22, s2
	v_cmp_eq_u32_e64 s2, 0, v28
	s_delay_alu instid0(VALU_DEP_1) | instskip(SKIP_1) | instid1(VALU_DEP_3)
	v_cndmask_b32_e64 v19, v21, v19, s2
	s_waitcnt lgkmcnt(0)
	v_add_nc_u32_e32 v21, v26, v22
	ds_bpermute_b32 v19, v24, v19
	v_cndmask_b32_e64 v20, v21, v20, s2
	ds_bpermute_b32 v20, v24, v20
	s_waitcnt lgkmcnt(1)
	v_add_co_u32 v1, s2, v1, v19
	s_delay_alu instid0(VALU_DEP_1) | instskip(NEXT) | instid1(VALU_DEP_2)
	v_add_co_ci_u32_e64 v2, s2, 0, v2, s2
	v_add_co_u32 v1, s2, v1, 0
	s_waitcnt lgkmcnt(0)
	s_delay_alu instid0(VALU_DEP_2) | instskip(SKIP_1) | instid1(VALU_DEP_1)
	v_add_co_ci_u32_e64 v2, s2, v2, v20, s2
	v_cmp_eq_u32_e64 s2, 0, v0
	v_cndmask_b32_e64 v1, v1, v17, s2
	s_delay_alu instid0(VALU_DEP_3) | instskip(NEXT) | instid1(VALU_DEP_2)
	v_cndmask_b32_e64 v2, v2, v18, s2
	v_add_co_u32 v3, s2, v1, v3
	s_delay_alu instid0(VALU_DEP_1) | instskip(NEXT) | instid1(VALU_DEP_2)
	v_add_co_ci_u32_e64 v4, s2, v2, v4, s2
	v_add_co_u32 v5, s2, v3, v5
	s_delay_alu instid0(VALU_DEP_1) | instskip(NEXT) | instid1(VALU_DEP_2)
	v_add_co_ci_u32_e64 v6, s2, v4, v6, s2
	;; [unrolled: 3-line block ×6, first 2 shown]
	v_add_co_u32 v15, s2, v13, v15
	s_delay_alu instid0(VALU_DEP_1)
	v_add_co_ci_u32_e64 v16, s2, v14, v16, s2
	ds_store_2addr_b64 v23, v[1:2], v[3:4] offset1:1
	ds_store_2addr_b64 v23, v[5:6], v[7:8] offset0:2 offset1:3
	ds_store_2addr_b64 v23, v[9:10], v[11:12] offset0:4 offset1:5
	ds_store_2addr_b64 v23, v[13:14], v[15:16] offset0:6 offset1:7
.LBB38_32:
	s_or_b32 exec_lo, exec_lo, s3
	v_mov_b32_e32 v7, 0
	v_cmp_eq_u32_e64 s2, 0, v0
	v_mov_b32_e32 v8, 0
	s_mov_b32 s8, exec_lo
	s_waitcnt lgkmcnt(0)
	s_barrier
	buffer_gl0_inv
	v_cmpx_ne_u32_e32 0, v0
	s_cbranch_execz .LBB38_34
; %bb.33:
	v_add_nc_u32_e32 v1, -1, v0
	s_delay_alu instid0(VALU_DEP_1) | instskip(NEXT) | instid1(VALU_DEP_1)
	v_lshrrev_b32_e32 v2, 5, v1
	v_add_lshl_u32 v1, v2, v1, 3
	ds_load_b64 v[7:8], v1
.LBB38_34:
	s_or_b32 exec_lo, exec_lo, s8
	s_and_saveexec_b32 s10, vcc_lo
	s_cbranch_execz .LBB38_73
; %bb.35:
	v_mov_b32_e32 v4, 0
	v_mbcnt_lo_u32_b32 v12, -1, 0
	ds_load_b64 v[1:2], v4 offset:2096
	v_cmp_eq_u32_e64 s3, 0, v12
	s_delay_alu instid0(VALU_DEP_1)
	s_and_saveexec_b32 s11, s3
	s_cbranch_execz .LBB38_37
; %bb.36:
	s_add_i32 s8, s15, 32
	s_delay_alu instid0(SALU_CYCLE_1) | instskip(NEXT) | instid1(SALU_CYCLE_1)
	s_lshl_b64 s[8:9], s[8:9], 4
	s_add_u32 s8, s4, s8
	s_addc_u32 s9, s5, s9
	v_mov_b32_e32 v5, s8
	v_dual_mov_b32 v3, 1 :: v_dual_mov_b32 v6, s9
	s_waitcnt lgkmcnt(0)
	;;#ASMSTART
	global_store_dwordx4 v[5:6], v[1:4] off	
s_waitcnt vmcnt(0)
	;;#ASMEND
.LBB38_37:
	s_or_b32 exec_lo, exec_lo, s11
	v_xad_u32 v9, v12, -1, s15
	s_mov_b32 s8, exec_lo
	s_delay_alu instid0(VALU_DEP_1) | instskip(NEXT) | instid1(VALU_DEP_1)
	v_add_nc_u32_e32 v3, 32, v9
	v_lshlrev_b64 v[3:4], 4, v[3:4]
	s_delay_alu instid0(VALU_DEP_1) | instskip(NEXT) | instid1(VALU_DEP_2)
	v_add_co_u32 v10, vcc_lo, s4, v3
	v_add_co_ci_u32_e32 v11, vcc_lo, s5, v4, vcc_lo
	;;#ASMSTART
	global_load_dwordx4 v[3:6], v[10:11] off glc	
s_waitcnt vmcnt(0)
	;;#ASMEND
	v_and_b32_e32 v6, 0xff, v5
	s_delay_alu instid0(VALU_DEP_1)
	v_cmpx_eq_u16_e32 0, v6
	s_cbranch_execz .LBB38_41
; %bb.38:
	s_mov_b32 s9, 0
.LBB38_39:                              ; =>This Inner Loop Header: Depth=1
	;;#ASMSTART
	global_load_dwordx4 v[3:6], v[10:11] off glc	
s_waitcnt vmcnt(0)
	;;#ASMEND
	v_and_b32_e32 v6, 0xff, v5
	s_delay_alu instid0(VALU_DEP_1) | instskip(SKIP_1) | instid1(SALU_CYCLE_1)
	v_cmp_ne_u16_e32 vcc_lo, 0, v6
	s_or_b32 s9, vcc_lo, s9
	s_and_not1_b32 exec_lo, exec_lo, s9
	s_cbranch_execnz .LBB38_39
; %bb.40:
	s_or_b32 exec_lo, exec_lo, s9
.LBB38_41:
	s_delay_alu instid0(SALU_CYCLE_1)
	s_or_b32 exec_lo, exec_lo, s8
	v_cmp_ne_u32_e32 vcc_lo, 31, v12
	v_and_b32_e32 v10, 0xff, v5
	v_lshlrev_b32_e64 v16, v12, -1
	v_add_nc_u32_e32 v17, 1, v12
	s_mov_b32 s8, exec_lo
	v_add_co_ci_u32_e32 v6, vcc_lo, 0, v12, vcc_lo
	v_cmp_eq_u16_e32 vcc_lo, 2, v10
	s_delay_alu instid0(VALU_DEP_2) | instskip(SKIP_4) | instid1(VALU_DEP_1)
	v_dual_mov_b32 v10, v3 :: v_dual_lshlrev_b32 v15, 2, v6
	v_and_or_b32 v6, vcc_lo, v16, 0x80000000
	ds_bpermute_b32 v13, v15, v3
	ds_bpermute_b32 v11, v15, v4
	v_ctz_i32_b32_e32 v6, v6
	v_cmpx_le_u32_e64 v17, v6
	s_cbranch_execz .LBB38_43
; %bb.42:
	s_waitcnt lgkmcnt(1)
	v_add_co_u32 v10, vcc_lo, v3, v13
	v_add_co_ci_u32_e32 v4, vcc_lo, 0, v4, vcc_lo
	s_delay_alu instid0(VALU_DEP_2) | instskip(SKIP_1) | instid1(VALU_DEP_2)
	v_add_co_u32 v3, vcc_lo, 0, v10
	s_waitcnt lgkmcnt(0)
	v_add_co_ci_u32_e32 v4, vcc_lo, v11, v4, vcc_lo
.LBB38_43:
	s_or_b32 exec_lo, exec_lo, s8
	v_cmp_gt_u32_e32 vcc_lo, 30, v12
	v_add_nc_u32_e32 v19, 2, v12
	s_mov_b32 s8, exec_lo
	s_waitcnt lgkmcnt(0)
	v_cndmask_b32_e64 v11, 0, 1, vcc_lo
	s_delay_alu instid0(VALU_DEP_1) | instskip(NEXT) | instid1(VALU_DEP_1)
	v_lshlrev_b32_e32 v11, 1, v11
	v_add_lshl_u32 v18, v11, v12, 2
	ds_bpermute_b32 v13, v18, v10
	ds_bpermute_b32 v11, v18, v4
	v_cmpx_le_u32_e64 v19, v6
	s_cbranch_execz .LBB38_45
; %bb.44:
	s_waitcnt lgkmcnt(1)
	v_add_co_u32 v10, vcc_lo, v3, v13
	v_add_co_ci_u32_e32 v4, vcc_lo, 0, v4, vcc_lo
	s_delay_alu instid0(VALU_DEP_2) | instskip(SKIP_1) | instid1(VALU_DEP_2)
	v_add_co_u32 v3, vcc_lo, 0, v10
	s_waitcnt lgkmcnt(0)
	v_add_co_ci_u32_e32 v4, vcc_lo, v11, v4, vcc_lo
.LBB38_45:
	s_or_b32 exec_lo, exec_lo, s8
	v_cmp_gt_u32_e32 vcc_lo, 28, v12
	v_add_nc_u32_e32 v21, 4, v12
	s_mov_b32 s8, exec_lo
	s_waitcnt lgkmcnt(0)
	v_cndmask_b32_e64 v11, 0, 1, vcc_lo
	s_delay_alu instid0(VALU_DEP_1) | instskip(NEXT) | instid1(VALU_DEP_1)
	v_lshlrev_b32_e32 v11, 2, v11
	v_add_lshl_u32 v20, v11, v12, 2
	ds_bpermute_b32 v13, v20, v10
	ds_bpermute_b32 v11, v20, v4
	;; [unrolled: 22-line block ×4, first 2 shown]
	v_cmpx_le_u32_e64 v25, v6
	s_cbranch_execz .LBB38_51
; %bb.50:
	s_waitcnt lgkmcnt(1)
	v_add_co_u32 v3, vcc_lo, v3, v11
	v_add_co_ci_u32_e32 v4, vcc_lo, 0, v4, vcc_lo
	s_delay_alu instid0(VALU_DEP_2) | instskip(SKIP_1) | instid1(VALU_DEP_2)
	v_add_co_u32 v3, vcc_lo, v3, 0
	s_waitcnt lgkmcnt(0)
	v_add_co_ci_u32_e32 v4, vcc_lo, v4, v10, vcc_lo
.LBB38_51:
	s_or_b32 exec_lo, exec_lo, s8
	s_waitcnt lgkmcnt(0)
	v_mov_b32_e32 v10, 0
	s_branch .LBB38_53
.LBB38_52:                              ;   in Loop: Header=BB38_53 Depth=1
	s_or_b32 exec_lo, exec_lo, s8
	v_add_co_u32 v3, vcc_lo, v3, v11
	v_subrev_nc_u32_e32 v9, 32, v9
	v_add_co_ci_u32_e32 v4, vcc_lo, v4, v12, vcc_lo
.LBB38_53:                              ; =>This Loop Header: Depth=1
                                        ;     Child Loop BB38_56 Depth 2
	s_delay_alu instid0(VALU_DEP_1) | instskip(NEXT) | instid1(VALU_DEP_4)
	v_dual_mov_b32 v12, v4 :: v_dual_and_b32 v5, 0xff, v5
	v_mov_b32_e32 v11, v3
	s_delay_alu instid0(VALU_DEP_2) | instskip(SKIP_2) | instid1(VALU_DEP_1)
	v_cmp_ne_u16_e32 vcc_lo, 2, v5
	v_cndmask_b32_e64 v5, 0, 1, vcc_lo
	;;#ASMSTART
	;;#ASMEND
	v_cmp_ne_u32_e32 vcc_lo, 0, v5
	s_cmp_lg_u32 vcc_lo, exec_lo
	s_cbranch_scc1 .LBB38_68
; %bb.54:                               ;   in Loop: Header=BB38_53 Depth=1
	v_lshlrev_b64 v[3:4], 4, v[9:10]
	s_mov_b32 s8, exec_lo
	s_waitcnt lgkmcnt(0)
	s_delay_alu instid0(VALU_DEP_1) | instskip(NEXT) | instid1(VALU_DEP_2)
	v_add_co_u32 v13, vcc_lo, s4, v3
	v_add_co_ci_u32_e32 v14, vcc_lo, s5, v4, vcc_lo
	;;#ASMSTART
	global_load_dwordx4 v[3:6], v[13:14] off glc	
s_waitcnt vmcnt(0)
	;;#ASMEND
	v_and_b32_e32 v6, 0xff, v5
	s_delay_alu instid0(VALU_DEP_1)
	v_cmpx_eq_u16_e32 0, v6
	s_cbranch_execz .LBB38_58
; %bb.55:                               ;   in Loop: Header=BB38_53 Depth=1
	s_mov_b32 s9, 0
.LBB38_56:                              ;   Parent Loop BB38_53 Depth=1
                                        ; =>  This Inner Loop Header: Depth=2
	;;#ASMSTART
	global_load_dwordx4 v[3:6], v[13:14] off glc	
s_waitcnt vmcnt(0)
	;;#ASMEND
	v_and_b32_e32 v6, 0xff, v5
	s_delay_alu instid0(VALU_DEP_1) | instskip(SKIP_1) | instid1(SALU_CYCLE_1)
	v_cmp_ne_u16_e32 vcc_lo, 0, v6
	s_or_b32 s9, vcc_lo, s9
	s_and_not1_b32 exec_lo, exec_lo, s9
	s_cbranch_execnz .LBB38_56
; %bb.57:                               ;   in Loop: Header=BB38_53 Depth=1
	s_or_b32 exec_lo, exec_lo, s9
.LBB38_58:                              ;   in Loop: Header=BB38_53 Depth=1
	s_delay_alu instid0(SALU_CYCLE_1)
	s_or_b32 exec_lo, exec_lo, s8
	v_dual_mov_b32 v13, v3 :: v_dual_and_b32 v6, 0xff, v5
	ds_bpermute_b32 v26, v15, v3
	ds_bpermute_b32 v14, v15, v4
	s_mov_b32 s8, exec_lo
	v_cmp_eq_u16_e32 vcc_lo, 2, v6
	v_and_or_b32 v6, vcc_lo, v16, 0x80000000
	s_delay_alu instid0(VALU_DEP_1) | instskip(NEXT) | instid1(VALU_DEP_1)
	v_ctz_i32_b32_e32 v6, v6
	v_cmpx_le_u32_e64 v17, v6
	s_cbranch_execz .LBB38_60
; %bb.59:                               ;   in Loop: Header=BB38_53 Depth=1
	s_waitcnt lgkmcnt(1)
	v_add_co_u32 v13, vcc_lo, v3, v26
	v_add_co_ci_u32_e32 v4, vcc_lo, 0, v4, vcc_lo
	s_delay_alu instid0(VALU_DEP_2) | instskip(SKIP_1) | instid1(VALU_DEP_2)
	v_add_co_u32 v3, vcc_lo, 0, v13
	s_waitcnt lgkmcnt(0)
	v_add_co_ci_u32_e32 v4, vcc_lo, v14, v4, vcc_lo
.LBB38_60:                              ;   in Loop: Header=BB38_53 Depth=1
	s_or_b32 exec_lo, exec_lo, s8
	s_waitcnt lgkmcnt(1)
	ds_bpermute_b32 v26, v18, v13
	s_waitcnt lgkmcnt(1)
	ds_bpermute_b32 v14, v18, v4
	s_mov_b32 s8, exec_lo
	v_cmpx_le_u32_e64 v19, v6
	s_cbranch_execz .LBB38_62
; %bb.61:                               ;   in Loop: Header=BB38_53 Depth=1
	s_waitcnt lgkmcnt(1)
	v_add_co_u32 v13, vcc_lo, v3, v26
	v_add_co_ci_u32_e32 v4, vcc_lo, 0, v4, vcc_lo
	s_delay_alu instid0(VALU_DEP_2) | instskip(SKIP_1) | instid1(VALU_DEP_2)
	v_add_co_u32 v3, vcc_lo, 0, v13
	s_waitcnt lgkmcnt(0)
	v_add_co_ci_u32_e32 v4, vcc_lo, v14, v4, vcc_lo
.LBB38_62:                              ;   in Loop: Header=BB38_53 Depth=1
	s_or_b32 exec_lo, exec_lo, s8
	s_waitcnt lgkmcnt(1)
	ds_bpermute_b32 v26, v20, v13
	s_waitcnt lgkmcnt(1)
	ds_bpermute_b32 v14, v20, v4
	s_mov_b32 s8, exec_lo
	;; [unrolled: 17-line block ×3, first 2 shown]
	v_cmpx_le_u32_e64 v23, v6
	s_cbranch_execz .LBB38_66
; %bb.65:                               ;   in Loop: Header=BB38_53 Depth=1
	s_waitcnt lgkmcnt(1)
	v_add_co_u32 v13, vcc_lo, v3, v26
	v_add_co_ci_u32_e32 v4, vcc_lo, 0, v4, vcc_lo
	s_delay_alu instid0(VALU_DEP_2) | instskip(SKIP_1) | instid1(VALU_DEP_2)
	v_add_co_u32 v3, vcc_lo, 0, v13
	s_waitcnt lgkmcnt(0)
	v_add_co_ci_u32_e32 v4, vcc_lo, v14, v4, vcc_lo
.LBB38_66:                              ;   in Loop: Header=BB38_53 Depth=1
	s_or_b32 exec_lo, exec_lo, s8
	s_waitcnt lgkmcnt(0)
	ds_bpermute_b32 v14, v24, v13
	ds_bpermute_b32 v13, v24, v4
	s_mov_b32 s8, exec_lo
	v_cmpx_le_u32_e64 v25, v6
	s_cbranch_execz .LBB38_52
; %bb.67:                               ;   in Loop: Header=BB38_53 Depth=1
	s_waitcnt lgkmcnt(1)
	v_add_co_u32 v3, vcc_lo, v3, v14
	v_add_co_ci_u32_e32 v4, vcc_lo, 0, v4, vcc_lo
	s_delay_alu instid0(VALU_DEP_2) | instskip(SKIP_1) | instid1(VALU_DEP_2)
	v_add_co_u32 v3, vcc_lo, v3, 0
	s_waitcnt lgkmcnt(0)
	v_add_co_ci_u32_e32 v4, vcc_lo, v4, v13, vcc_lo
	s_branch .LBB38_52
.LBB38_68:                              ;   in Loop: Header=BB38_53 Depth=1
                                        ; implicit-def: $vgpr3_vgpr4
	s_cbranch_execz .LBB38_53
; %bb.69:
	s_and_saveexec_b32 s8, s3
	s_cbranch_execz .LBB38_71
; %bb.70:
	s_add_i32 s18, s15, 32
	s_mov_b32 s19, 0
	v_add_co_u32 v1, vcc_lo, v11, v1
	s_lshl_b64 s[18:19], s[18:19], 4
	v_add_co_ci_u32_e32 v2, vcc_lo, v12, v2, vcc_lo
	s_add_u32 s18, s4, s18
	s_addc_u32 s19, s5, s19
	v_dual_mov_b32 v3, 2 :: v_dual_mov_b32 v4, 0
	v_dual_mov_b32 v5, s18 :: v_dual_mov_b32 v6, s19
	;;#ASMSTART
	global_store_dwordx4 v[5:6], v[1:4] off	
s_waitcnt vmcnt(0)
	;;#ASMEND
.LBB38_71:
	s_or_b32 exec_lo, exec_lo, s8
	s_delay_alu instid0(SALU_CYCLE_1)
	s_and_b32 exec_lo, exec_lo, s2
	s_cbranch_execz .LBB38_73
; %bb.72:
	v_mov_b32_e32 v1, 0
	ds_store_b64 v1, v[11:12]
.LBB38_73:
	s_or_b32 exec_lo, exec_lo, s10
	v_mov_b32_e32 v1, 0
	s_waitcnt lgkmcnt(0)
	s_barrier
	buffer_gl0_inv
	v_add_co_u32 v3, vcc_lo, v7, v57
	ds_load_b64 v[1:2], v1
	v_add_co_ci_u32_e32 v4, vcc_lo, v8, v58, vcc_lo
	s_waitcnt lgkmcnt(0)
	v_add_co_u32 v1, vcc_lo, v3, v1
	s_delay_alu instid0(VALU_DEP_2) | instskip(NEXT) | instid1(VALU_DEP_2)
	v_add_co_ci_u32_e32 v2, vcc_lo, v4, v2, vcc_lo
	v_add_co_u32 v3, vcc_lo, v1, v59
	s_delay_alu instid0(VALU_DEP_2) | instskip(NEXT) | instid1(VALU_DEP_2)
	v_add_co_ci_u32_e32 v4, vcc_lo, v2, v60, vcc_lo
	;; [unrolled: 3-line block ×15, first 2 shown]
	v_add_co_u32 v31, vcc_lo, v29, v35
	s_delay_alu instid0(VALU_DEP_2)
	v_add_co_ci_u32_e32 v32, vcc_lo, v30, v36, vcc_lo
	s_load_b128 s[8:11], s[0:1], 0x38
	s_branch .LBB38_92
.LBB38_74:
                                        ; implicit-def: $vgpr1_vgpr2_vgpr3_vgpr4_vgpr5_vgpr6_vgpr7_vgpr8_vgpr9_vgpr10_vgpr11_vgpr12_vgpr13_vgpr14_vgpr15_vgpr16_vgpr17_vgpr18_vgpr19_vgpr20_vgpr21_vgpr22_vgpr23_vgpr24_vgpr25_vgpr26_vgpr27_vgpr28_vgpr29_vgpr30_vgpr31_vgpr32
	s_load_b128 s[8:11], s[0:1], 0x38
	s_cbranch_execz .LBB38_92
; %bb.75:
	s_load_b32 s2, s[0:1], 0x48
	v_cmp_eq_u32_e32 vcc_lo, 0, v0
	s_waitcnt lgkmcnt(0)
	s_bitcmp1_b32 s2, 0
	v_cmp_ne_u32_e64 s2, 0, v0
	s_cselect_b32 s3, -1, 0
	s_delay_alu instid0(SALU_CYCLE_1) | instskip(NEXT) | instid1(SALU_CYCLE_1)
	s_and_b32 s3, vcc_lo, s3
	s_and_saveexec_b32 s15, s3
	s_cbranch_execz .LBB38_77
; %bb.76:
	s_load_b64 s[8:9], s[8:9], 0x0
	s_waitcnt lgkmcnt(0)
	v_add_co_u32 v57, s3, s8, v57
	s_delay_alu instid0(VALU_DEP_1)
	v_add_co_ci_u32_e64 v58, s3, s9, v58, s3
.LBB38_77:
	s_or_b32 exec_lo, exec_lo, s15
	s_delay_alu instid0(VALU_DEP_2) | instskip(NEXT) | instid1(VALU_DEP_1)
	v_add_co_u32 v1, s3, v59, v57
	v_add_co_ci_u32_e64 v2, s3, v60, v58, s3
	v_add_lshl_u32 v3, v81, v0, 3
	s_delay_alu instid0(VALU_DEP_3) | instskip(NEXT) | instid1(VALU_DEP_1)
	v_add_co_u32 v1, s3, v1, v61
	v_add_co_ci_u32_e64 v2, s3, v2, v62, s3
	s_mov_b32 s8, exec_lo
	s_delay_alu instid0(VALU_DEP_2) | instskip(NEXT) | instid1(VALU_DEP_1)
	v_add_co_u32 v1, s3, v1, v63
	v_add_co_ci_u32_e64 v2, s3, v2, v64, s3
	s_delay_alu instid0(VALU_DEP_2) | instskip(NEXT) | instid1(VALU_DEP_1)
	v_add_co_u32 v1, s3, v1, v53
	v_add_co_ci_u32_e64 v2, s3, v2, v54, s3
	;; [unrolled: 3-line block ×13, first 2 shown]
	ds_store_b64 v3, v[17:18]
	s_waitcnt lgkmcnt(0)
	s_barrier
	buffer_gl0_inv
	v_cmpx_gt_u32_e32 32, v0
	s_cbranch_execz .LBB38_87
; %bb.78:
	v_lshlrev_b32_e32 v1, 1, v0
	v_mbcnt_lo_u32_b32 v24, -1, 0
	s_mov_b32 s9, exec_lo
	s_delay_alu instid0(VALU_DEP_2) | instskip(NEXT) | instid1(VALU_DEP_2)
	v_and_b32_e32 v1, 0x1f8, v1
	v_and_b32_e32 v25, 15, v24
	s_delay_alu instid0(VALU_DEP_2)
	v_lshl_or_b32 v23, v0, 6, v1
	ds_load_2addr_b64 v[1:4], v23 offset1:1
	ds_load_2addr_b64 v[5:8], v23 offset0:2 offset1:3
	ds_load_2addr_b64 v[9:12], v23 offset0:4 offset1:5
	;; [unrolled: 1-line block ×3, first 2 shown]
	s_waitcnt lgkmcnt(3)
	v_add_co_u32 v19, s3, v3, v1
	s_delay_alu instid0(VALU_DEP_1) | instskip(SKIP_1) | instid1(VALU_DEP_2)
	v_add_co_ci_u32_e64 v20, s3, v4, v2, s3
	s_waitcnt lgkmcnt(2)
	v_add_co_u32 v19, s3, v19, v5
	s_delay_alu instid0(VALU_DEP_1) | instskip(NEXT) | instid1(VALU_DEP_2)
	v_add_co_ci_u32_e64 v20, s3, v20, v6, s3
	v_add_co_u32 v19, s3, v19, v7
	s_delay_alu instid0(VALU_DEP_1) | instskip(SKIP_1) | instid1(VALU_DEP_2)
	v_add_co_ci_u32_e64 v20, s3, v20, v8, s3
	s_waitcnt lgkmcnt(1)
	v_add_co_u32 v19, s3, v19, v9
	s_delay_alu instid0(VALU_DEP_1) | instskip(NEXT) | instid1(VALU_DEP_2)
	v_add_co_ci_u32_e64 v20, s3, v20, v10, s3
	;; [unrolled: 7-line block ×3, first 2 shown]
	v_add_co_u32 v19, s3, v19, v15
	s_delay_alu instid0(VALU_DEP_1) | instskip(NEXT) | instid1(VALU_DEP_2)
	v_add_co_ci_u32_e64 v20, s3, v20, v16, s3
	v_mov_b32_dpp v27, v19 row_shr:1 row_mask:0xf bank_mask:0xf
	s_delay_alu instid0(VALU_DEP_2)
	v_mov_b32_e32 v22, v20
	v_mov_b32_dpp v26, v20 row_shr:1 row_mask:0xf bank_mask:0xf
	v_mov_b32_e32 v21, v19
	v_cmpx_ne_u32_e32 0, v25
; %bb.79:
	v_add_co_u32 v19, s3, v19, v27
	s_delay_alu instid0(VALU_DEP_1) | instskip(NEXT) | instid1(VALU_DEP_2)
	v_add_co_ci_u32_e64 v20, s3, 0, v20, s3
	v_add_co_u32 v21, s3, 0, v19
	s_delay_alu instid0(VALU_DEP_1) | instskip(NEXT) | instid1(VALU_DEP_1)
	v_add_co_ci_u32_e64 v22, s3, v26, v20, s3
	v_mov_b32_e32 v20, v22
; %bb.80:
	s_or_b32 exec_lo, exec_lo, s9
	v_mov_b32_dpp v27, v19 row_shr:2 row_mask:0xf bank_mask:0xf
	s_delay_alu instid0(VALU_DEP_2)
	v_mov_b32_dpp v26, v20 row_shr:2 row_mask:0xf bank_mask:0xf
	s_mov_b32 s9, exec_lo
	v_cmpx_lt_u32_e32 1, v25
; %bb.81:
	s_delay_alu instid0(VALU_DEP_3) | instskip(NEXT) | instid1(VALU_DEP_1)
	v_add_co_u32 v19, s3, v21, v27
	v_add_co_ci_u32_e64 v20, s3, 0, v22, s3
	s_delay_alu instid0(VALU_DEP_2) | instskip(NEXT) | instid1(VALU_DEP_1)
	v_add_co_u32 v21, s3, 0, v19
	v_add_co_ci_u32_e64 v22, s3, v26, v20, s3
	s_delay_alu instid0(VALU_DEP_1)
	v_mov_b32_e32 v20, v22
; %bb.82:
	s_or_b32 exec_lo, exec_lo, s9
	v_mov_b32_dpp v27, v19 row_shr:4 row_mask:0xf bank_mask:0xf
	s_delay_alu instid0(VALU_DEP_2)
	v_mov_b32_dpp v26, v20 row_shr:4 row_mask:0xf bank_mask:0xf
	s_mov_b32 s9, exec_lo
	v_cmpx_lt_u32_e32 3, v25
; %bb.83:
	s_delay_alu instid0(VALU_DEP_3) | instskip(NEXT) | instid1(VALU_DEP_1)
	v_add_co_u32 v19, s3, v21, v27
	v_add_co_ci_u32_e64 v20, s3, 0, v22, s3
	s_delay_alu instid0(VALU_DEP_2) | instskip(NEXT) | instid1(VALU_DEP_1)
	v_add_co_u32 v21, s3, 0, v19
	v_add_co_ci_u32_e64 v22, s3, v26, v20, s3
	s_delay_alu instid0(VALU_DEP_1)
	;; [unrolled: 16-line block ×3, first 2 shown]
	v_mov_b32_e32 v20, v22
; %bb.86:
	s_or_b32 exec_lo, exec_lo, s9
	ds_swizzle_b32 v25, v19 offset:swizzle(BROADCAST,32,15)
	ds_swizzle_b32 v26, v20 offset:swizzle(BROADCAST,32,15)
	v_add_nc_u32_e32 v27, -1, v24
	v_and_b32_e32 v28, 16, v24
	s_delay_alu instid0(VALU_DEP_2) | instskip(NEXT) | instid1(VALU_DEP_1)
	v_cmp_gt_i32_e64 s3, 0, v27
	v_cndmask_b32_e64 v24, v27, v24, s3
	s_delay_alu instid0(VALU_DEP_1) | instskip(SKIP_2) | instid1(VALU_DEP_1)
	v_lshlrev_b32_e32 v24, 2, v24
	s_waitcnt lgkmcnt(1)
	v_add_co_u32 v21, s3, v21, v25
	v_add_co_ci_u32_e64 v22, s3, 0, v22, s3
	v_cmp_eq_u32_e64 s3, 0, v28
	s_delay_alu instid0(VALU_DEP_1) | instskip(SKIP_1) | instid1(VALU_DEP_3)
	v_cndmask_b32_e64 v19, v21, v19, s3
	s_waitcnt lgkmcnt(0)
	v_add_nc_u32_e32 v21, v26, v22
	ds_bpermute_b32 v19, v24, v19
	v_cndmask_b32_e64 v20, v21, v20, s3
	ds_bpermute_b32 v20, v24, v20
	s_waitcnt lgkmcnt(1)
	v_add_co_u32 v1, s3, v1, v19
	s_delay_alu instid0(VALU_DEP_1) | instskip(NEXT) | instid1(VALU_DEP_2)
	v_add_co_ci_u32_e64 v2, s3, 0, v2, s3
	v_add_co_u32 v1, s3, v1, 0
	s_waitcnt lgkmcnt(0)
	s_delay_alu instid0(VALU_DEP_2) | instskip(NEXT) | instid1(VALU_DEP_1)
	v_add_co_ci_u32_e64 v2, s3, v2, v20, s3
	v_dual_cndmask_b32 v1, v1, v17 :: v_dual_cndmask_b32 v2, v2, v18
	s_delay_alu instid0(VALU_DEP_1) | instskip(NEXT) | instid1(VALU_DEP_1)
	v_add_co_u32 v3, s3, v1, v3
	v_add_co_ci_u32_e64 v4, s3, v2, v4, s3
	s_delay_alu instid0(VALU_DEP_2) | instskip(NEXT) | instid1(VALU_DEP_1)
	v_add_co_u32 v5, s3, v3, v5
	v_add_co_ci_u32_e64 v6, s3, v4, v6, s3
	s_delay_alu instid0(VALU_DEP_2) | instskip(NEXT) | instid1(VALU_DEP_1)
	;; [unrolled: 3-line block ×6, first 2 shown]
	v_add_co_u32 v15, s3, v13, v15
	v_add_co_ci_u32_e64 v16, s3, v14, v16, s3
	ds_store_2addr_b64 v23, v[1:2], v[3:4] offset1:1
	ds_store_2addr_b64 v23, v[5:6], v[7:8] offset0:2 offset1:3
	ds_store_2addr_b64 v23, v[9:10], v[11:12] offset0:4 offset1:5
	;; [unrolled: 1-line block ×3, first 2 shown]
.LBB38_87:
	s_or_b32 exec_lo, exec_lo, s8
	v_mov_b32_e32 v1, 0
	v_mov_b32_e32 v2, 0
	s_waitcnt lgkmcnt(0)
	s_barrier
	buffer_gl0_inv
	s_and_saveexec_b32 s3, s2
	s_cbranch_execz .LBB38_89
; %bb.88:
	v_add_nc_u32_e32 v1, -1, v0
	s_delay_alu instid0(VALU_DEP_1) | instskip(NEXT) | instid1(VALU_DEP_1)
	v_lshrrev_b32_e32 v2, 5, v1
	v_add_lshl_u32 v1, v2, v1, 3
	ds_load_b64 v[1:2], v1
.LBB38_89:
	s_or_b32 exec_lo, exec_lo, s3
	s_waitcnt lgkmcnt(0)
	v_add_co_u32 v1, s2, v1, v57
	s_delay_alu instid0(VALU_DEP_1) | instskip(NEXT) | instid1(VALU_DEP_2)
	v_add_co_ci_u32_e64 v2, s2, v2, v58, s2
	v_add_co_u32 v3, s2, v1, v59
	s_delay_alu instid0(VALU_DEP_1) | instskip(NEXT) | instid1(VALU_DEP_2)
	v_add_co_ci_u32_e64 v4, s2, v2, v60, s2
	;; [unrolled: 3-line block ×15, first 2 shown]
	v_add_co_u32 v31, s2, v29, v35
	s_delay_alu instid0(VALU_DEP_1)
	v_add_co_ci_u32_e64 v32, s2, v30, v36, s2
	s_and_saveexec_b32 s2, vcc_lo
	s_cbranch_execz .LBB38_91
; %bb.90:
	v_dual_mov_b32 v36, 0 :: v_dual_mov_b32 v35, 2
	s_add_u32 s4, s4, 0x200
	s_addc_u32 s5, s5, 0
	s_delay_alu instid0(SALU_CYCLE_1)
	v_dual_mov_b32 v38, s5 :: v_dual_mov_b32 v37, s4
	ds_load_b64 v[33:34], v36 offset:2096
	s_waitcnt lgkmcnt(0)
	;;#ASMSTART
	global_store_dwordx4 v[37:38], v[33:36] off	
s_waitcnt vmcnt(0)
	;;#ASMEND
.LBB38_91:
	s_or_b32 exec_lo, exec_lo, s2
.LBB38_92:
	v_lshlrev_b32_e32 v33, 7, v0
	s_add_u32 s2, s6, s12
	s_addc_u32 s3, s7, s13
	s_and_b32 vcc_lo, exec_lo, s17
	s_mov_b32 s4, -1
	s_waitcnt lgkmcnt(0)
	s_barrier
	buffer_gl0_inv
	s_cbranch_vccz .LBB38_94
; %bb.93:
	v_lshl_add_u32 v34, v82, 3, v33
	v_lshrrev_b32_e32 v35, 5, v78
	v_lshrrev_b32_e32 v36, 5, v77
	v_add_lshl_u32 v37, v81, v0, 3
	v_lshrrev_b32_e32 v51, 5, v71
	ds_store_2addr_b64 v34, v[1:2], v[3:4] offset1:1
	ds_store_2addr_b64 v34, v[5:6], v[7:8] offset0:2 offset1:3
	ds_store_2addr_b64 v34, v[9:10], v[11:12] offset0:4 offset1:5
	;; [unrolled: 1-line block ×7, first 2 shown]
	v_lshrrev_b32_e32 v34, 5, v79
	v_add_lshl_u32 v39, v35, v0, 3
	v_add_lshl_u32 v40, v36, v0, 3
	s_waitcnt lgkmcnt(0)
	s_barrier
	v_add_lshl_u32 v38, v34, v0, 3
	buffer_gl0_inv
	v_lshrrev_b32_e32 v52, 5, v70
	ds_load_b64 v[34:35], v37
	ds_load_b64 v[36:37], v38 offset:2048
	ds_load_b64 v[38:39], v39 offset:4096
	;; [unrolled: 1-line block ×3, first 2 shown]
	v_lshrrev_b32_e32 v42, 5, v76
	v_lshrrev_b32_e32 v50, 5, v72
	v_lshrrev_b32_e32 v43, 5, v75
	v_lshrrev_b32_e32 v44, 5, v74
	v_lshrrev_b32_e32 v45, 5, v73
	v_add_lshl_u32 v53, v51, v0, 3
	v_lshrrev_b32_e32 v51, 5, v69
	v_add_lshl_u32 v54, v52, v0, 3
	v_lshrrev_b32_e32 v52, 5, v68
	v_lshrrev_b32_e32 v55, 5, v67
	;; [unrolled: 1-line block ×4, first 2 shown]
	v_add_lshl_u32 v42, v42, v0, 3
	v_add_lshl_u32 v50, v50, v0, 3
	;; [unrolled: 1-line block ×10, first 2 shown]
	ds_load_b64 v[42:43], v42 offset:8192
	ds_load_b64 v[44:45], v46 offset:10240
	;; [unrolled: 1-line block ×12, first 2 shown]
	v_add_co_u32 v64, s5, s2, v80
	s_delay_alu instid0(VALU_DEP_1)
	v_add_co_ci_u32_e64 v95, null, s3, 0, s5
	s_waitcnt lgkmcnt(14)
	global_store_b64 v80, v[36:37], s[2:3] offset:2048
	v_add_co_u32 v36, vcc_lo, 0x1000, v64
	v_add_co_ci_u32_e32 v37, vcc_lo, 0, v95, vcc_lo
	v_add_co_u32 v85, vcc_lo, v64, 0x2000
	v_add_co_ci_u32_e32 v86, vcc_lo, 0, v95, vcc_lo
	;; [unrolled: 2-line block ×6, first 2 shown]
	s_waitcnt lgkmcnt(13)
	global_store_b64 v[85:86], v[38:39], off offset:-4096
	s_waitcnt lgkmcnt(11)
	global_store_b64 v[85:86], v[42:43], off
	s_waitcnt lgkmcnt(9)
	global_store_b64 v[91:92], v[46:47], off offset:-4096
	s_waitcnt lgkmcnt(7)
	s_clause 0x3
	global_store_b64 v[91:92], v[50:51], off
	global_store_b64 v[36:37], v[40:41], off offset:2048
	global_store_b64 v[87:88], v[44:45], off offset:2048
	;; [unrolled: 1-line block ×3, first 2 shown]
	s_waitcnt lgkmcnt(6)
	global_store_b64 v[93:94], v[52:53], off offset:2048
	v_add_co_u32 v36, vcc_lo, v64, 0x6000
	v_add_co_ci_u32_e32 v37, vcc_lo, 0, v95, vcc_lo
	v_add_co_u32 v38, vcc_lo, 0x5000, v64
	v_add_co_ci_u32_e32 v39, vcc_lo, 0, v95, vcc_lo
	v_add_co_u32 v40, vcc_lo, 0x6000, v64
	v_add_co_ci_u32_e32 v41, vcc_lo, 0, v95, vcc_lo
	v_add_co_u32 v42, vcc_lo, 0x7000, v64
	v_add_co_ci_u32_e32 v43, vcc_lo, 0, v95, vcc_lo
	s_mov_b32 s4, 0
	s_waitcnt lgkmcnt(5)
	s_clause 0x1
	global_store_b64 v[36:37], v[54:55], off offset:-4096
	global_store_b64 v80, v[34:35], s[2:3]
	s_waitcnt lgkmcnt(3)
	s_clause 0x1
	global_store_b64 v[36:37], v[58:59], off
	global_store_b64 v[38:39], v[56:57], off offset:2048
	s_waitcnt lgkmcnt(2)
	global_store_b64 v[40:41], v[60:61], off offset:2048
	s_waitcnt lgkmcnt(1)
	global_store_b64 v[42:43], v[62:63], off
	s_waitcnt lgkmcnt(0)
	global_store_b64 v[42:43], v[83:84], off offset:2048
.LBB38_94:
	s_and_not1_b32 vcc_lo, exec_lo, s4
	s_cbranch_vccnz .LBB38_167
; %bb.95:
	v_lshl_add_u32 v33, v82, 3, v33
	v_add_co_u32 v34, s2, s2, v80
	s_delay_alu instid0(VALU_DEP_1)
	v_add_co_ci_u32_e64 v35, null, s3, 0, s2
	ds_store_2addr_b64 v33, v[1:2], v[3:4] offset1:1
	ds_store_2addr_b64 v33, v[5:6], v[7:8] offset0:2 offset1:3
	ds_store_2addr_b64 v33, v[9:10], v[11:12] offset0:4 offset1:5
	;; [unrolled: 1-line block ×7, first 2 shown]
	v_lshrrev_b32_e32 v1, 5, v79
	v_lshrrev_b32_e32 v2, 5, v78
	;; [unrolled: 1-line block ×3, first 2 shown]
	v_add_lshl_u32 v4, v81, v0, 3
	v_lshrrev_b32_e32 v10, 5, v76
	v_add_lshl_u32 v1, v1, v0, 3
	v_lshrrev_b32_e32 v11, 5, v75
	;; [unrolled: 2-line block ×4, first 2 shown]
	s_waitcnt lgkmcnt(0)
	s_waitcnt_vscnt null, 0x0
	s_barrier
	buffer_gl0_inv
	ds_load_b64 v[4:5], v4
	ds_load_b64 v[2:3], v1 offset:2048
	ds_load_b64 v[6:7], v6 offset:4096
	;; [unrolled: 1-line block ×3, first 2 shown]
	v_add_lshl_u32 v1, v10, v0, 3
	v_lshrrev_b32_e32 v18, 5, v72
	v_add_lshl_u32 v14, v11, v0, 3
	v_lshrrev_b32_e32 v19, 5, v71
	v_lshrrev_b32_e32 v20, 5, v70
	v_add_lshl_u32 v15, v12, v0, 3
	v_add_lshl_u32 v16, v13, v0, 3
	ds_load_b64 v[10:11], v1 offset:8192
	ds_load_b64 v[12:13], v14 offset:10240
	;; [unrolled: 1-line block ×4, first 2 shown]
	v_add_lshl_u32 v1, v18, v0, 3
	v_lshrrev_b32_e32 v18, 5, v69
	v_add_lshl_u32 v21, v19, v0, 3
	v_add_lshl_u32 v22, v20, v0, 3
	v_lshrrev_b32_e32 v19, 5, v68
	v_lshrrev_b32_e32 v20, 5, v67
	;; [unrolled: 1-line block ×4, first 2 shown]
	v_add_lshl_u32 v25, v18, v0, 3
	v_add_lshl_u32 v26, v19, v0, 3
	;; [unrolled: 1-line block ×5, first 2 shown]
	ds_load_b64 v[18:19], v1 offset:16384
	ds_load_b64 v[20:21], v21 offset:18432
	ds_load_b64 v[22:23], v22 offset:20480
	ds_load_b64 v[24:25], v25 offset:22528
	ds_load_b64 v[26:27], v26 offset:24576
	ds_load_b64 v[28:29], v28 offset:26624
	ds_load_b64 v[30:31], v30 offset:28672
	ds_load_b64 v[32:33], v32 offset:30720
	v_mov_b32_e32 v1, 0
	s_mov_b32 s2, exec_lo
	v_cmpx_gt_u32_e64 s14, v0
	s_cbranch_execnz .LBB38_183
; %bb.96:
	s_or_b32 exec_lo, exec_lo, s2
	s_delay_alu instid0(SALU_CYCLE_1)
	s_mov_b32 s2, exec_lo
	v_cmpx_gt_u32_e64 s14, v79
	s_cbranch_execnz .LBB38_184
.LBB38_97:
	s_or_b32 exec_lo, exec_lo, s2
	s_delay_alu instid0(SALU_CYCLE_1)
	s_mov_b32 s2, exec_lo
	v_cmpx_gt_u32_e64 s14, v78
	s_cbranch_execnz .LBB38_185
.LBB38_98:
	s_or_b32 exec_lo, exec_lo, s2
	s_delay_alu instid0(SALU_CYCLE_1)
	s_mov_b32 s2, exec_lo
	v_cmpx_gt_u32_e64 s14, v77
	s_cbranch_execnz .LBB38_186
.LBB38_99:
	s_or_b32 exec_lo, exec_lo, s2
	s_delay_alu instid0(SALU_CYCLE_1)
	s_mov_b32 s2, exec_lo
	v_cmpx_gt_u32_e64 s14, v76
	s_cbranch_execnz .LBB38_187
.LBB38_100:
	s_or_b32 exec_lo, exec_lo, s2
	s_delay_alu instid0(SALU_CYCLE_1)
	s_mov_b32 s2, exec_lo
	v_cmpx_gt_u32_e64 s14, v75
	s_cbranch_execnz .LBB38_188
.LBB38_101:
	s_or_b32 exec_lo, exec_lo, s2
	s_delay_alu instid0(SALU_CYCLE_1)
	s_mov_b32 s2, exec_lo
	v_cmpx_gt_u32_e64 s14, v74
	s_cbranch_execnz .LBB38_189
.LBB38_102:
	s_or_b32 exec_lo, exec_lo, s2
	s_delay_alu instid0(SALU_CYCLE_1)
	s_mov_b32 s2, exec_lo
	v_cmpx_gt_u32_e64 s14, v73
	s_cbranch_execnz .LBB38_190
.LBB38_103:
	s_or_b32 exec_lo, exec_lo, s2
	s_delay_alu instid0(SALU_CYCLE_1)
	s_mov_b32 s2, exec_lo
	v_cmpx_gt_u32_e64 s14, v72
	s_cbranch_execnz .LBB38_191
.LBB38_104:
	s_or_b32 exec_lo, exec_lo, s2
	s_delay_alu instid0(SALU_CYCLE_1)
	s_mov_b32 s2, exec_lo
	v_cmpx_gt_u32_e64 s14, v71
	s_cbranch_execnz .LBB38_192
.LBB38_105:
	s_or_b32 exec_lo, exec_lo, s2
	s_delay_alu instid0(SALU_CYCLE_1)
	s_mov_b32 s2, exec_lo
	v_cmpx_gt_u32_e64 s14, v70
	s_cbranch_execnz .LBB38_193
.LBB38_106:
	s_or_b32 exec_lo, exec_lo, s2
	s_delay_alu instid0(SALU_CYCLE_1)
	s_mov_b32 s2, exec_lo
	v_cmpx_gt_u32_e64 s14, v69
	s_cbranch_execnz .LBB38_194
.LBB38_107:
	s_or_b32 exec_lo, exec_lo, s2
	s_delay_alu instid0(SALU_CYCLE_1)
	s_mov_b32 s2, exec_lo
	v_cmpx_gt_u32_e64 s14, v68
	s_cbranch_execnz .LBB38_195
.LBB38_108:
	s_or_b32 exec_lo, exec_lo, s2
	s_delay_alu instid0(SALU_CYCLE_1)
	s_mov_b32 s2, exec_lo
	v_cmpx_gt_u32_e64 s14, v67
	s_cbranch_execnz .LBB38_196
.LBB38_109:
	s_or_b32 exec_lo, exec_lo, s2
	s_delay_alu instid0(SALU_CYCLE_1)
	s_mov_b32 s2, exec_lo
	v_cmpx_gt_u32_e64 s14, v66
	s_cbranch_execnz .LBB38_197
.LBB38_110:
	s_or_b32 exec_lo, exec_lo, s2
	s_delay_alu instid0(SALU_CYCLE_1)
	s_mov_b32 s2, exec_lo
	v_cmpx_gt_u32_e64 s14, v65
	s_cbranch_execz .LBB38_112
.LBB38_111:
	v_add_co_u32 v34, vcc_lo, 0x7000, v34
	v_add_co_ci_u32_e32 v35, vcc_lo, 0, v35, vcc_lo
	s_waitcnt lgkmcnt(0)
	global_store_b64 v[34:35], v[32:33], off offset:2048
.LBB38_112:
	s_or_b32 exec_lo, exec_lo, s2
	s_load_b32 s0, s[0:1], 0x48
	s_waitcnt lgkmcnt(0)
	s_bfe_u32 s0, s0, 0x10008
	s_delay_alu instid0(SALU_CYCLE_1)
	s_cmp_eq_u32 s0, 0
	s_cbranch_scc1 .LBB38_167
; %bb.113:
	s_add_u32 s0, s14, -1
	s_addc_u32 s1, s16, -1
	s_delay_alu instid0(SALU_CYCLE_1)
	s_lshr_b64 s[2:3], s[0:1], 4
	s_mov_b32 s1, exec_lo
	v_cmpx_eq_u64_e64 s[2:3], v[0:1]
	s_cbranch_execz .LBB38_167
; %bb.114:
	s_and_b32 s0, s0, 15
	s_mov_b32 s1, 0
	s_delay_alu instid0(SALU_CYCLE_1) | instskip(NEXT) | instid1(VALU_DEP_1)
	v_cmp_lt_i64_e64 s2, s[0:1], 8
	s_and_b32 vcc_lo, exec_lo, s2
	s_mov_b32 s2, -1
	s_cbranch_vccnz .LBB38_141
; %bb.115:
	v_cmp_lt_i64_e64 s2, s[0:1], 12
	s_delay_alu instid0(VALU_DEP_1)
	s_and_b32 vcc_lo, exec_lo, s2
	s_mov_b32 s2, -1
	s_cbranch_vccnz .LBB38_128
; %bb.116:
	v_cmp_lt_i64_e64 s2, s[0:1], 14
	s_delay_alu instid0(VALU_DEP_1)
	s_and_b32 vcc_lo, exec_lo, s2
	s_mov_b32 s2, -1
	s_cbranch_vccnz .LBB38_122
; %bb.117:
	v_cmp_gt_i64_e64 s2, s[0:1], 14
	s_delay_alu instid0(VALU_DEP_1)
	s_and_b32 vcc_lo, exec_lo, s2
	s_mov_b32 s2, -1
	s_cbranch_vccz .LBB38_119
; %bb.118:
	v_mov_b32_e32 v0, 0
	s_mov_b32 s2, 0
	global_store_b64 v0, v[32:33], s[10:11]
.LBB38_119:
	s_and_not1_b32 vcc_lo, exec_lo, s2
	s_cbranch_vccnz .LBB38_121
; %bb.120:
	v_mov_b32_e32 v0, 0
	global_store_b64 v0, v[30:31], s[10:11]
.LBB38_121:
	s_mov_b32 s2, 0
.LBB38_122:
	s_delay_alu instid0(SALU_CYCLE_1)
	s_and_not1_b32 vcc_lo, exec_lo, s2
	s_cbranch_vccnz .LBB38_127
; %bb.123:
	v_cmp_gt_i64_e64 s2, s[0:1], 12
	s_delay_alu instid0(VALU_DEP_1)
	s_and_b32 vcc_lo, exec_lo, s2
	s_mov_b32 s2, -1
	s_cbranch_vccz .LBB38_125
; %bb.124:
	v_mov_b32_e32 v0, 0
	s_mov_b32 s2, 0
	global_store_b64 v0, v[28:29], s[10:11]
.LBB38_125:
	s_and_not1_b32 vcc_lo, exec_lo, s2
	s_cbranch_vccnz .LBB38_127
; %bb.126:
	v_mov_b32_e32 v0, 0
	global_store_b64 v0, v[26:27], s[10:11]
.LBB38_127:
	s_mov_b32 s2, 0
.LBB38_128:
	s_delay_alu instid0(SALU_CYCLE_1)
	s_and_not1_b32 vcc_lo, exec_lo, s2
	s_cbranch_vccnz .LBB38_140
; %bb.129:
	v_cmp_lt_i64_e64 s2, s[0:1], 10
	s_delay_alu instid0(VALU_DEP_1)
	s_and_b32 vcc_lo, exec_lo, s2
	s_mov_b32 s2, -1
	s_cbranch_vccnz .LBB38_135
; %bb.130:
	v_cmp_gt_i64_e64 s2, s[0:1], 10
	s_delay_alu instid0(VALU_DEP_1)
	s_and_b32 vcc_lo, exec_lo, s2
	s_mov_b32 s2, -1
	s_cbranch_vccz .LBB38_132
; %bb.131:
	v_mov_b32_e32 v0, 0
	s_mov_b32 s2, 0
	global_store_b64 v0, v[24:25], s[10:11]
.LBB38_132:
	s_and_not1_b32 vcc_lo, exec_lo, s2
	s_cbranch_vccnz .LBB38_134
; %bb.133:
	v_mov_b32_e32 v0, 0
	global_store_b64 v0, v[22:23], s[10:11]
.LBB38_134:
	s_mov_b32 s2, 0
.LBB38_135:
	s_delay_alu instid0(SALU_CYCLE_1)
	s_and_not1_b32 vcc_lo, exec_lo, s2
	s_cbranch_vccnz .LBB38_140
; %bb.136:
	v_cmp_gt_i64_e64 s2, s[0:1], 8
	s_delay_alu instid0(VALU_DEP_1)
	s_and_b32 vcc_lo, exec_lo, s2
	s_mov_b32 s2, -1
	s_cbranch_vccz .LBB38_138
; %bb.137:
	v_mov_b32_e32 v0, 0
	s_mov_b32 s2, 0
	global_store_b64 v0, v[20:21], s[10:11]
.LBB38_138:
	s_and_not1_b32 vcc_lo, exec_lo, s2
	s_cbranch_vccnz .LBB38_140
; %bb.139:
	v_mov_b32_e32 v0, 0
	global_store_b64 v0, v[18:19], s[10:11]
.LBB38_140:
	s_mov_b32 s2, 0
.LBB38_141:
	s_delay_alu instid0(SALU_CYCLE_1)
	s_and_not1_b32 vcc_lo, exec_lo, s2
	s_cbranch_vccnz .LBB38_167
; %bb.142:
	v_cmp_lt_i64_e64 s2, s[0:1], 4
	s_delay_alu instid0(VALU_DEP_1)
	s_and_b32 vcc_lo, exec_lo, s2
	s_mov_b32 s2, -1
	s_cbranch_vccnz .LBB38_155
; %bb.143:
	v_cmp_lt_i64_e64 s2, s[0:1], 6
	s_delay_alu instid0(VALU_DEP_1)
	s_and_b32 vcc_lo, exec_lo, s2
	s_mov_b32 s2, -1
	s_cbranch_vccnz .LBB38_149
; %bb.144:
	v_cmp_gt_i64_e64 s2, s[0:1], 6
	s_delay_alu instid0(VALU_DEP_1)
	s_and_b32 vcc_lo, exec_lo, s2
	s_mov_b32 s2, -1
	s_cbranch_vccz .LBB38_146
; %bb.145:
	v_mov_b32_e32 v0, 0
	s_mov_b32 s2, 0
	global_store_b64 v0, v[16:17], s[10:11]
.LBB38_146:
	s_and_not1_b32 vcc_lo, exec_lo, s2
	s_cbranch_vccnz .LBB38_148
; %bb.147:
	v_mov_b32_e32 v0, 0
	global_store_b64 v0, v[14:15], s[10:11]
.LBB38_148:
	s_mov_b32 s2, 0
.LBB38_149:
	s_delay_alu instid0(SALU_CYCLE_1)
	s_and_not1_b32 vcc_lo, exec_lo, s2
	s_cbranch_vccnz .LBB38_154
; %bb.150:
	v_cmp_gt_i64_e64 s2, s[0:1], 4
	s_delay_alu instid0(VALU_DEP_1)
	s_and_b32 vcc_lo, exec_lo, s2
	s_mov_b32 s2, -1
	s_cbranch_vccz .LBB38_152
; %bb.151:
	v_mov_b32_e32 v0, 0
	s_mov_b32 s2, 0
	global_store_b64 v0, v[12:13], s[10:11]
.LBB38_152:
	s_and_not1_b32 vcc_lo, exec_lo, s2
	s_cbranch_vccnz .LBB38_154
; %bb.153:
	v_mov_b32_e32 v0, 0
	global_store_b64 v0, v[10:11], s[10:11]
.LBB38_154:
	s_mov_b32 s2, 0
.LBB38_155:
	s_delay_alu instid0(SALU_CYCLE_1)
	s_and_not1_b32 vcc_lo, exec_lo, s2
	s_cbranch_vccnz .LBB38_167
; %bb.156:
	v_cmp_lt_i64_e64 s2, s[0:1], 2
	s_delay_alu instid0(VALU_DEP_1)
	s_and_b32 vcc_lo, exec_lo, s2
	s_mov_b32 s2, -1
	s_cbranch_vccnz .LBB38_162
; %bb.157:
	v_cmp_gt_i64_e64 s2, s[0:1], 2
	s_delay_alu instid0(VALU_DEP_1)
	s_and_b32 vcc_lo, exec_lo, s2
	s_mov_b32 s2, -1
	s_cbranch_vccz .LBB38_159
; %bb.158:
	v_mov_b32_e32 v0, 0
	s_mov_b32 s2, 0
	global_store_b64 v0, v[8:9], s[10:11]
.LBB38_159:
	s_and_not1_b32 vcc_lo, exec_lo, s2
	s_cbranch_vccnz .LBB38_161
; %bb.160:
	v_mov_b32_e32 v0, 0
	global_store_b64 v0, v[6:7], s[10:11]
.LBB38_161:
	s_mov_b32 s2, 0
.LBB38_162:
	s_delay_alu instid0(SALU_CYCLE_1)
	s_and_not1_b32 vcc_lo, exec_lo, s2
	s_cbranch_vccnz .LBB38_167
; %bb.163:
	s_cmp_eq_u64 s[0:1], 1
	s_mov_b32 s0, -1
	s_cbranch_scc1 .LBB38_165
; %bb.164:
	v_mov_b32_e32 v0, 0
	s_mov_b32 s0, 0
	global_store_b64 v0, v[4:5], s[10:11]
.LBB38_165:
	s_and_not1_b32 vcc_lo, exec_lo, s0
	s_cbranch_vccnz .LBB38_167
; %bb.166:
	v_mov_b32_e32 v0, 0
	global_store_b64 v0, v[2:3], s[10:11]
.LBB38_167:
	s_nop 0
	s_sendmsg sendmsg(MSG_DEALLOC_VGPRS)
	s_endpgm
.LBB38_168:
	global_load_b64 v[33:34], v[35:36], off
	v_dual_mov_b32 v1, s36 :: v_dual_mov_b32 v2, s37
	v_dual_mov_b32 v3, s38 :: v_dual_mov_b32 v4, s39
	;; [unrolled: 1-line block ×16, first 2 shown]
	s_or_b32 exec_lo, exec_lo, s3
	s_delay_alu instid0(SALU_CYCLE_1)
	s_mov_b32 s2, exec_lo
	v_cmpx_gt_u32_e64 s14, v79
	s_cbranch_execz .LBB38_5
.LBB38_169:
	global_load_b64 v[3:4], v[35:36], off offset:2048
	s_or_b32 exec_lo, exec_lo, s2
	s_delay_alu instid0(SALU_CYCLE_1)
	s_mov_b32 s2, exec_lo
	v_cmpx_gt_u32_e64 s14, v78
	s_cbranch_execz .LBB38_6
.LBB38_170:
	v_add_co_u32 v1, vcc_lo, 0x1000, v35
	v_add_co_ci_u32_e32 v2, vcc_lo, 0, v36, vcc_lo
	global_load_b64 v[5:6], v[1:2], off
	s_or_b32 exec_lo, exec_lo, s2
	s_delay_alu instid0(SALU_CYCLE_1)
	s_mov_b32 s2, exec_lo
	v_cmpx_gt_u32_e64 s14, v77
	s_cbranch_execz .LBB38_7
.LBB38_171:
	v_add_co_u32 v1, vcc_lo, 0x1000, v35
	v_add_co_ci_u32_e32 v2, vcc_lo, 0, v36, vcc_lo
	global_load_b64 v[7:8], v[1:2], off offset:2048
	s_or_b32 exec_lo, exec_lo, s2
	s_delay_alu instid0(SALU_CYCLE_1)
	s_mov_b32 s2, exec_lo
	v_cmpx_gt_u32_e64 s14, v76
	s_cbranch_execz .LBB38_8
.LBB38_172:
	v_add_co_u32 v1, vcc_lo, 0x2000, v35
	v_add_co_ci_u32_e32 v2, vcc_lo, 0, v36, vcc_lo
	global_load_b64 v[9:10], v[1:2], off
	s_or_b32 exec_lo, exec_lo, s2
	s_delay_alu instid0(SALU_CYCLE_1)
	s_mov_b32 s2, exec_lo
	v_cmpx_gt_u32_e64 s14, v75
	s_cbranch_execz .LBB38_9
.LBB38_173:
	v_add_co_u32 v1, vcc_lo, 0x2000, v35
	v_add_co_ci_u32_e32 v2, vcc_lo, 0, v36, vcc_lo
	global_load_b64 v[11:12], v[1:2], off offset:2048
	s_or_b32 exec_lo, exec_lo, s2
	s_delay_alu instid0(SALU_CYCLE_1)
	s_mov_b32 s2, exec_lo
	v_cmpx_gt_u32_e64 s14, v74
	s_cbranch_execz .LBB38_10
.LBB38_174:
	v_add_co_u32 v1, vcc_lo, 0x3000, v35
	v_add_co_ci_u32_e32 v2, vcc_lo, 0, v36, vcc_lo
	global_load_b64 v[13:14], v[1:2], off
	s_or_b32 exec_lo, exec_lo, s2
	s_delay_alu instid0(SALU_CYCLE_1)
	s_mov_b32 s2, exec_lo
	v_cmpx_gt_u32_e64 s14, v73
	s_cbranch_execz .LBB38_11
.LBB38_175:
	v_add_co_u32 v1, vcc_lo, 0x3000, v35
	v_add_co_ci_u32_e32 v2, vcc_lo, 0, v36, vcc_lo
	global_load_b64 v[15:16], v[1:2], off offset:2048
	s_or_b32 exec_lo, exec_lo, s2
	s_delay_alu instid0(SALU_CYCLE_1)
	s_mov_b32 s2, exec_lo
	v_cmpx_gt_u32_e64 s14, v72
	s_cbranch_execz .LBB38_12
.LBB38_176:
	v_add_co_u32 v1, vcc_lo, 0x4000, v35
	v_add_co_ci_u32_e32 v2, vcc_lo, 0, v36, vcc_lo
	global_load_b64 v[17:18], v[1:2], off
	s_or_b32 exec_lo, exec_lo, s2
	s_delay_alu instid0(SALU_CYCLE_1)
	s_mov_b32 s2, exec_lo
	v_cmpx_gt_u32_e64 s14, v71
	s_cbranch_execz .LBB38_13
.LBB38_177:
	v_add_co_u32 v1, vcc_lo, 0x4000, v35
	v_add_co_ci_u32_e32 v2, vcc_lo, 0, v36, vcc_lo
	global_load_b64 v[19:20], v[1:2], off offset:2048
	s_or_b32 exec_lo, exec_lo, s2
	s_delay_alu instid0(SALU_CYCLE_1)
	s_mov_b32 s2, exec_lo
	v_cmpx_gt_u32_e64 s14, v70
	s_cbranch_execz .LBB38_14
.LBB38_178:
	v_add_co_u32 v1, vcc_lo, 0x5000, v35
	v_add_co_ci_u32_e32 v2, vcc_lo, 0, v36, vcc_lo
	global_load_b64 v[21:22], v[1:2], off
	s_or_b32 exec_lo, exec_lo, s2
	s_delay_alu instid0(SALU_CYCLE_1)
	s_mov_b32 s2, exec_lo
	v_cmpx_gt_u32_e64 s14, v69
	s_cbranch_execz .LBB38_15
.LBB38_179:
	v_add_co_u32 v1, vcc_lo, 0x5000, v35
	v_add_co_ci_u32_e32 v2, vcc_lo, 0, v36, vcc_lo
	global_load_b64 v[23:24], v[1:2], off offset:2048
	s_or_b32 exec_lo, exec_lo, s2
	s_delay_alu instid0(SALU_CYCLE_1)
	s_mov_b32 s2, exec_lo
	v_cmpx_gt_u32_e64 s14, v68
	s_cbranch_execz .LBB38_16
.LBB38_180:
	v_add_co_u32 v1, vcc_lo, 0x6000, v35
	v_add_co_ci_u32_e32 v2, vcc_lo, 0, v36, vcc_lo
	global_load_b64 v[25:26], v[1:2], off
	s_or_b32 exec_lo, exec_lo, s2
	s_delay_alu instid0(SALU_CYCLE_1)
	s_mov_b32 s2, exec_lo
	v_cmpx_gt_u32_e64 s14, v67
	s_cbranch_execz .LBB38_17
.LBB38_181:
	v_add_co_u32 v1, vcc_lo, 0x6000, v35
	v_add_co_ci_u32_e32 v2, vcc_lo, 0, v36, vcc_lo
	global_load_b64 v[27:28], v[1:2], off offset:2048
	s_or_b32 exec_lo, exec_lo, s2
	s_delay_alu instid0(SALU_CYCLE_1)
	s_mov_b32 s2, exec_lo
	v_cmpx_gt_u32_e64 s14, v66
	s_cbranch_execz .LBB38_18
.LBB38_182:
	v_add_co_u32 v1, vcc_lo, 0x7000, v35
	v_add_co_ci_u32_e32 v2, vcc_lo, 0, v36, vcc_lo
	global_load_b64 v[29:30], v[1:2], off
	s_or_b32 exec_lo, exec_lo, s2
	s_delay_alu instid0(SALU_CYCLE_1)
	s_mov_b32 s2, exec_lo
	v_cmpx_gt_u32_e64 s14, v65
	s_cbranch_execnz .LBB38_19
	s_branch .LBB38_20
.LBB38_183:
	s_waitcnt lgkmcnt(15)
	global_store_b64 v[34:35], v[4:5], off
	s_or_b32 exec_lo, exec_lo, s2
	s_delay_alu instid0(SALU_CYCLE_1)
	s_mov_b32 s2, exec_lo
	v_cmpx_gt_u32_e64 s14, v79
	s_cbranch_execz .LBB38_97
.LBB38_184:
	s_waitcnt lgkmcnt(14)
	global_store_b64 v[34:35], v[2:3], off offset:2048
	s_or_b32 exec_lo, exec_lo, s2
	s_delay_alu instid0(SALU_CYCLE_1)
	s_mov_b32 s2, exec_lo
	v_cmpx_gt_u32_e64 s14, v78
	s_cbranch_execz .LBB38_98
.LBB38_185:
	v_add_co_u32 v36, vcc_lo, 0x1000, v34
	v_add_co_ci_u32_e32 v37, vcc_lo, 0, v35, vcc_lo
	s_waitcnt lgkmcnt(13)
	global_store_b64 v[36:37], v[6:7], off
	s_or_b32 exec_lo, exec_lo, s2
	s_delay_alu instid0(SALU_CYCLE_1)
	s_mov_b32 s2, exec_lo
	v_cmpx_gt_u32_e64 s14, v77
	s_cbranch_execz .LBB38_99
.LBB38_186:
	v_add_co_u32 v36, vcc_lo, 0x1000, v34
	v_add_co_ci_u32_e32 v37, vcc_lo, 0, v35, vcc_lo
	s_waitcnt lgkmcnt(12)
	global_store_b64 v[36:37], v[8:9], off offset:2048
	s_or_b32 exec_lo, exec_lo, s2
	s_delay_alu instid0(SALU_CYCLE_1)
	s_mov_b32 s2, exec_lo
	v_cmpx_gt_u32_e64 s14, v76
	s_cbranch_execz .LBB38_100
.LBB38_187:
	v_add_co_u32 v36, vcc_lo, 0x2000, v34
	v_add_co_ci_u32_e32 v37, vcc_lo, 0, v35, vcc_lo
	s_waitcnt lgkmcnt(11)
	global_store_b64 v[36:37], v[10:11], off
	s_or_b32 exec_lo, exec_lo, s2
	s_delay_alu instid0(SALU_CYCLE_1)
	s_mov_b32 s2, exec_lo
	v_cmpx_gt_u32_e64 s14, v75
	s_cbranch_execz .LBB38_101
.LBB38_188:
	v_add_co_u32 v36, vcc_lo, 0x2000, v34
	v_add_co_ci_u32_e32 v37, vcc_lo, 0, v35, vcc_lo
	s_waitcnt lgkmcnt(10)
	global_store_b64 v[36:37], v[12:13], off offset:2048
	s_or_b32 exec_lo, exec_lo, s2
	s_delay_alu instid0(SALU_CYCLE_1)
	s_mov_b32 s2, exec_lo
	v_cmpx_gt_u32_e64 s14, v74
	s_cbranch_execz .LBB38_102
.LBB38_189:
	v_add_co_u32 v36, vcc_lo, 0x3000, v34
	v_add_co_ci_u32_e32 v37, vcc_lo, 0, v35, vcc_lo
	s_waitcnt lgkmcnt(9)
	global_store_b64 v[36:37], v[14:15], off
	s_or_b32 exec_lo, exec_lo, s2
	s_delay_alu instid0(SALU_CYCLE_1)
	s_mov_b32 s2, exec_lo
	v_cmpx_gt_u32_e64 s14, v73
	s_cbranch_execz .LBB38_103
.LBB38_190:
	v_add_co_u32 v36, vcc_lo, 0x3000, v34
	v_add_co_ci_u32_e32 v37, vcc_lo, 0, v35, vcc_lo
	s_waitcnt lgkmcnt(8)
	global_store_b64 v[36:37], v[16:17], off offset:2048
	s_or_b32 exec_lo, exec_lo, s2
	s_delay_alu instid0(SALU_CYCLE_1)
	s_mov_b32 s2, exec_lo
	v_cmpx_gt_u32_e64 s14, v72
	s_cbranch_execz .LBB38_104
.LBB38_191:
	v_add_co_u32 v36, vcc_lo, 0x4000, v34
	v_add_co_ci_u32_e32 v37, vcc_lo, 0, v35, vcc_lo
	s_waitcnt lgkmcnt(7)
	global_store_b64 v[36:37], v[18:19], off
	s_or_b32 exec_lo, exec_lo, s2
	s_delay_alu instid0(SALU_CYCLE_1)
	s_mov_b32 s2, exec_lo
	v_cmpx_gt_u32_e64 s14, v71
	s_cbranch_execz .LBB38_105
.LBB38_192:
	v_add_co_u32 v36, vcc_lo, 0x4000, v34
	v_add_co_ci_u32_e32 v37, vcc_lo, 0, v35, vcc_lo
	s_waitcnt lgkmcnt(6)
	global_store_b64 v[36:37], v[20:21], off offset:2048
	s_or_b32 exec_lo, exec_lo, s2
	s_delay_alu instid0(SALU_CYCLE_1)
	s_mov_b32 s2, exec_lo
	v_cmpx_gt_u32_e64 s14, v70
	s_cbranch_execz .LBB38_106
.LBB38_193:
	v_add_co_u32 v36, vcc_lo, 0x5000, v34
	v_add_co_ci_u32_e32 v37, vcc_lo, 0, v35, vcc_lo
	s_waitcnt lgkmcnt(5)
	global_store_b64 v[36:37], v[22:23], off
	s_or_b32 exec_lo, exec_lo, s2
	s_delay_alu instid0(SALU_CYCLE_1)
	s_mov_b32 s2, exec_lo
	v_cmpx_gt_u32_e64 s14, v69
	s_cbranch_execz .LBB38_107
.LBB38_194:
	v_add_co_u32 v36, vcc_lo, 0x5000, v34
	v_add_co_ci_u32_e32 v37, vcc_lo, 0, v35, vcc_lo
	s_waitcnt lgkmcnt(4)
	global_store_b64 v[36:37], v[24:25], off offset:2048
	s_or_b32 exec_lo, exec_lo, s2
	s_delay_alu instid0(SALU_CYCLE_1)
	s_mov_b32 s2, exec_lo
	v_cmpx_gt_u32_e64 s14, v68
	s_cbranch_execz .LBB38_108
.LBB38_195:
	v_add_co_u32 v36, vcc_lo, 0x6000, v34
	v_add_co_ci_u32_e32 v37, vcc_lo, 0, v35, vcc_lo
	s_waitcnt lgkmcnt(3)
	global_store_b64 v[36:37], v[26:27], off
	s_or_b32 exec_lo, exec_lo, s2
	s_delay_alu instid0(SALU_CYCLE_1)
	s_mov_b32 s2, exec_lo
	v_cmpx_gt_u32_e64 s14, v67
	s_cbranch_execz .LBB38_109
.LBB38_196:
	v_add_co_u32 v36, vcc_lo, 0x6000, v34
	v_add_co_ci_u32_e32 v37, vcc_lo, 0, v35, vcc_lo
	s_waitcnt lgkmcnt(2)
	global_store_b64 v[36:37], v[28:29], off offset:2048
	s_or_b32 exec_lo, exec_lo, s2
	s_delay_alu instid0(SALU_CYCLE_1)
	s_mov_b32 s2, exec_lo
	v_cmpx_gt_u32_e64 s14, v66
	s_cbranch_execz .LBB38_110
.LBB38_197:
	v_add_co_u32 v36, vcc_lo, 0x7000, v34
	v_add_co_ci_u32_e32 v37, vcc_lo, 0, v35, vcc_lo
	s_waitcnt lgkmcnt(1)
	global_store_b64 v[36:37], v[30:31], off
	s_or_b32 exec_lo, exec_lo, s2
	s_delay_alu instid0(SALU_CYCLE_1)
	s_mov_b32 s2, exec_lo
	v_cmpx_gt_u32_e64 s14, v65
	s_cbranch_execnz .LBB38_111
	s_branch .LBB38_112
	.section	.rodata,"a",@progbits
	.p2align	6, 0x0
	.amdhsa_kernel _ZN7rocprim17ROCPRIM_304000_NS6detail20lookback_scan_kernelILNS1_25lookback_scan_determinismE0ELb0ENS1_19wrapped_scan_configINS0_14default_configElEEPKlPlSt4plusIlEllNS1_19lookback_scan_stateIlLb0ELb1EEEEEvT2_T3_mT5_T4_T7_jPT6_SK_bb
		.amdhsa_group_segment_fixed_size 33792
		.amdhsa_private_segment_fixed_size 0
		.amdhsa_kernarg_size 76
		.amdhsa_user_sgpr_count 15
		.amdhsa_user_sgpr_dispatch_ptr 0
		.amdhsa_user_sgpr_queue_ptr 0
		.amdhsa_user_sgpr_kernarg_segment_ptr 1
		.amdhsa_user_sgpr_dispatch_id 0
		.amdhsa_user_sgpr_private_segment_size 0
		.amdhsa_wavefront_size32 1
		.amdhsa_uses_dynamic_stack 0
		.amdhsa_enable_private_segment 0
		.amdhsa_system_sgpr_workgroup_id_x 1
		.amdhsa_system_sgpr_workgroup_id_y 0
		.amdhsa_system_sgpr_workgroup_id_z 0
		.amdhsa_system_sgpr_workgroup_info 0
		.amdhsa_system_vgpr_workitem_id 0
		.amdhsa_next_free_vgpr 96
		.amdhsa_next_free_sgpr 68
		.amdhsa_reserve_vcc 1
		.amdhsa_float_round_mode_32 0
		.amdhsa_float_round_mode_16_64 0
		.amdhsa_float_denorm_mode_32 3
		.amdhsa_float_denorm_mode_16_64 3
		.amdhsa_dx10_clamp 1
		.amdhsa_ieee_mode 1
		.amdhsa_fp16_overflow 0
		.amdhsa_workgroup_processor_mode 1
		.amdhsa_memory_ordered 1
		.amdhsa_forward_progress 0
		.amdhsa_shared_vgpr_count 0
		.amdhsa_exception_fp_ieee_invalid_op 0
		.amdhsa_exception_fp_denorm_src 0
		.amdhsa_exception_fp_ieee_div_zero 0
		.amdhsa_exception_fp_ieee_overflow 0
		.amdhsa_exception_fp_ieee_underflow 0
		.amdhsa_exception_fp_ieee_inexact 0
		.amdhsa_exception_int_div_zero 0
	.end_amdhsa_kernel
	.section	.text._ZN7rocprim17ROCPRIM_304000_NS6detail20lookback_scan_kernelILNS1_25lookback_scan_determinismE0ELb0ENS1_19wrapped_scan_configINS0_14default_configElEEPKlPlSt4plusIlEllNS1_19lookback_scan_stateIlLb0ELb1EEEEEvT2_T3_mT5_T4_T7_jPT6_SK_bb,"axG",@progbits,_ZN7rocprim17ROCPRIM_304000_NS6detail20lookback_scan_kernelILNS1_25lookback_scan_determinismE0ELb0ENS1_19wrapped_scan_configINS0_14default_configElEEPKlPlSt4plusIlEllNS1_19lookback_scan_stateIlLb0ELb1EEEEEvT2_T3_mT5_T4_T7_jPT6_SK_bb,comdat
.Lfunc_end38:
	.size	_ZN7rocprim17ROCPRIM_304000_NS6detail20lookback_scan_kernelILNS1_25lookback_scan_determinismE0ELb0ENS1_19wrapped_scan_configINS0_14default_configElEEPKlPlSt4plusIlEllNS1_19lookback_scan_stateIlLb0ELb1EEEEEvT2_T3_mT5_T4_T7_jPT6_SK_bb, .Lfunc_end38-_ZN7rocprim17ROCPRIM_304000_NS6detail20lookback_scan_kernelILNS1_25lookback_scan_determinismE0ELb0ENS1_19wrapped_scan_configINS0_14default_configElEEPKlPlSt4plusIlEllNS1_19lookback_scan_stateIlLb0ELb1EEEEEvT2_T3_mT5_T4_T7_jPT6_SK_bb
                                        ; -- End function
	.section	.AMDGPU.csdata,"",@progbits
; Kernel info:
; codeLenInByte = 11436
; NumSgprs: 70
; NumVgprs: 96
; ScratchSize: 0
; MemoryBound: 1
; FloatMode: 240
; IeeeMode: 1
; LDSByteSize: 33792 bytes/workgroup (compile time only)
; SGPRBlocks: 8
; VGPRBlocks: 11
; NumSGPRsForWavesPerEU: 70
; NumVGPRsForWavesPerEU: 96
; Occupancy: 6
; WaveLimiterHint : 1
; COMPUTE_PGM_RSRC2:SCRATCH_EN: 0
; COMPUTE_PGM_RSRC2:USER_SGPR: 15
; COMPUTE_PGM_RSRC2:TRAP_HANDLER: 0
; COMPUTE_PGM_RSRC2:TGID_X_EN: 1
; COMPUTE_PGM_RSRC2:TGID_Y_EN: 0
; COMPUTE_PGM_RSRC2:TGID_Z_EN: 0
; COMPUTE_PGM_RSRC2:TIDIG_COMP_CNT: 0
	.section	.text._ZN7rocprim17ROCPRIM_304000_NS6detail16transform_kernelINS1_24wrapped_transform_configINS0_14default_configElEElPlS6_NS0_8identityIlEEEEvT1_mT2_T3_,"axG",@progbits,_ZN7rocprim17ROCPRIM_304000_NS6detail16transform_kernelINS1_24wrapped_transform_configINS0_14default_configElEElPlS6_NS0_8identityIlEEEEvT1_mT2_T3_,comdat
	.protected	_ZN7rocprim17ROCPRIM_304000_NS6detail16transform_kernelINS1_24wrapped_transform_configINS0_14default_configElEElPlS6_NS0_8identityIlEEEEvT1_mT2_T3_ ; -- Begin function _ZN7rocprim17ROCPRIM_304000_NS6detail16transform_kernelINS1_24wrapped_transform_configINS0_14default_configElEElPlS6_NS0_8identityIlEEEEvT1_mT2_T3_
	.globl	_ZN7rocprim17ROCPRIM_304000_NS6detail16transform_kernelINS1_24wrapped_transform_configINS0_14default_configElEElPlS6_NS0_8identityIlEEEEvT1_mT2_T3_
	.p2align	8
	.type	_ZN7rocprim17ROCPRIM_304000_NS6detail16transform_kernelINS1_24wrapped_transform_configINS0_14default_configElEElPlS6_NS0_8identityIlEEEEvT1_mT2_T3_,@function
_ZN7rocprim17ROCPRIM_304000_NS6detail16transform_kernelINS1_24wrapped_transform_configINS0_14default_configElEElPlS6_NS0_8identityIlEEEEvT1_mT2_T3_: ; @_ZN7rocprim17ROCPRIM_304000_NS6detail16transform_kernelINS1_24wrapped_transform_configINS0_14default_configElEElPlS6_NS0_8identityIlEEEEvT1_mT2_T3_
; %bb.0:
	s_clause 0x2
	s_load_b32 s3, s[0:1], 0x20
	s_load_b128 s[4:7], s[0:1], 0x0
	s_load_b64 s[0:1], s[0:1], 0x10
	v_lshlrev_b32_e32 v2, 3, v0
	s_lshl_b32 s2, s15, 9
	s_waitcnt lgkmcnt(0)
	s_add_i32 s7, s3, -1
	s_mov_b32 s3, 0
	s_cmp_lg_u32 s15, s7
	s_mov_b32 s7, -1
	s_cbranch_scc0 .LBB39_2
; %bb.1:
	s_lshl_b64 s[8:9], s[2:3], 3
	s_mov_b32 s7, s3
	s_add_u32 s10, s4, s8
	s_addc_u32 s11, s5, s9
	s_add_u32 s8, s0, s8
	global_load_b64 v[3:4], v2, s[10:11]
	s_addc_u32 s9, s1, s9
	s_waitcnt vmcnt(0)
	global_store_b64 v2, v[3:4], s[8:9]
.LBB39_2:
	s_and_not1_b32 vcc_lo, exec_lo, s7
	s_cbranch_vccnz .LBB39_7
; %bb.3:
	s_sub_i32 s6, s6, s2
	s_delay_alu instid0(SALU_CYCLE_1)
	v_cmp_gt_u32_e32 vcc_lo, s6, v0
                                        ; implicit-def: $vgpr0_vgpr1
	s_and_saveexec_b32 s6, vcc_lo
	s_cbranch_execz .LBB39_5
; %bb.4:
	s_lshl_b64 s[8:9], s[2:3], 3
	s_delay_alu instid0(SALU_CYCLE_1)
	s_add_u32 s4, s4, s8
	s_addc_u32 s5, s5, s9
	global_load_b64 v[0:1], v2, s[4:5]
.LBB39_5:
	s_or_b32 exec_lo, exec_lo, s6
	s_and_saveexec_b32 s4, vcc_lo
	s_cbranch_execz .LBB39_7
; %bb.6:
	s_lshl_b64 s[2:3], s[2:3], 3
	s_delay_alu instid0(SALU_CYCLE_1)
	s_add_u32 s0, s0, s2
	s_addc_u32 s1, s1, s3
	s_waitcnt vmcnt(0)
	global_store_b64 v2, v[0:1], s[0:1]
.LBB39_7:
	s_nop 0
	s_sendmsg sendmsg(MSG_DEALLOC_VGPRS)
	s_endpgm
	.section	.rodata,"a",@progbits
	.p2align	6, 0x0
	.amdhsa_kernel _ZN7rocprim17ROCPRIM_304000_NS6detail16transform_kernelINS1_24wrapped_transform_configINS0_14default_configElEElPlS6_NS0_8identityIlEEEEvT1_mT2_T3_
		.amdhsa_group_segment_fixed_size 0
		.amdhsa_private_segment_fixed_size 0
		.amdhsa_kernarg_size 288
		.amdhsa_user_sgpr_count 15
		.amdhsa_user_sgpr_dispatch_ptr 0
		.amdhsa_user_sgpr_queue_ptr 0
		.amdhsa_user_sgpr_kernarg_segment_ptr 1
		.amdhsa_user_sgpr_dispatch_id 0
		.amdhsa_user_sgpr_private_segment_size 0
		.amdhsa_wavefront_size32 1
		.amdhsa_uses_dynamic_stack 0
		.amdhsa_enable_private_segment 0
		.amdhsa_system_sgpr_workgroup_id_x 1
		.amdhsa_system_sgpr_workgroup_id_y 0
		.amdhsa_system_sgpr_workgroup_id_z 0
		.amdhsa_system_sgpr_workgroup_info 0
		.amdhsa_system_vgpr_workitem_id 0
		.amdhsa_next_free_vgpr 5
		.amdhsa_next_free_sgpr 16
		.amdhsa_reserve_vcc 1
		.amdhsa_float_round_mode_32 0
		.amdhsa_float_round_mode_16_64 0
		.amdhsa_float_denorm_mode_32 3
		.amdhsa_float_denorm_mode_16_64 3
		.amdhsa_dx10_clamp 1
		.amdhsa_ieee_mode 1
		.amdhsa_fp16_overflow 0
		.amdhsa_workgroup_processor_mode 1
		.amdhsa_memory_ordered 1
		.amdhsa_forward_progress 0
		.amdhsa_shared_vgpr_count 0
		.amdhsa_exception_fp_ieee_invalid_op 0
		.amdhsa_exception_fp_denorm_src 0
		.amdhsa_exception_fp_ieee_div_zero 0
		.amdhsa_exception_fp_ieee_overflow 0
		.amdhsa_exception_fp_ieee_underflow 0
		.amdhsa_exception_fp_ieee_inexact 0
		.amdhsa_exception_int_div_zero 0
	.end_amdhsa_kernel
	.section	.text._ZN7rocprim17ROCPRIM_304000_NS6detail16transform_kernelINS1_24wrapped_transform_configINS0_14default_configElEElPlS6_NS0_8identityIlEEEEvT1_mT2_T3_,"axG",@progbits,_ZN7rocprim17ROCPRIM_304000_NS6detail16transform_kernelINS1_24wrapped_transform_configINS0_14default_configElEElPlS6_NS0_8identityIlEEEEvT1_mT2_T3_,comdat
.Lfunc_end39:
	.size	_ZN7rocprim17ROCPRIM_304000_NS6detail16transform_kernelINS1_24wrapped_transform_configINS0_14default_configElEElPlS6_NS0_8identityIlEEEEvT1_mT2_T3_, .Lfunc_end39-_ZN7rocprim17ROCPRIM_304000_NS6detail16transform_kernelINS1_24wrapped_transform_configINS0_14default_configElEElPlS6_NS0_8identityIlEEEEvT1_mT2_T3_
                                        ; -- End function
	.section	.AMDGPU.csdata,"",@progbits
; Kernel info:
; codeLenInByte = 208
; NumSgprs: 18
; NumVgprs: 5
; ScratchSize: 0
; MemoryBound: 0
; FloatMode: 240
; IeeeMode: 1
; LDSByteSize: 0 bytes/workgroup (compile time only)
; SGPRBlocks: 2
; VGPRBlocks: 0
; NumSGPRsForWavesPerEU: 18
; NumVGPRsForWavesPerEU: 5
; Occupancy: 16
; WaveLimiterHint : 0
; COMPUTE_PGM_RSRC2:SCRATCH_EN: 0
; COMPUTE_PGM_RSRC2:USER_SGPR: 15
; COMPUTE_PGM_RSRC2:TRAP_HANDLER: 0
; COMPUTE_PGM_RSRC2:TGID_X_EN: 1
; COMPUTE_PGM_RSRC2:TGID_Y_EN: 0
; COMPUTE_PGM_RSRC2:TGID_Z_EN: 0
; COMPUTE_PGM_RSRC2:TIDIG_COMP_CNT: 0
	.section	.text._ZN7rocprim17ROCPRIM_304000_NS6detail18single_scan_kernelILb0ENS1_19wrapped_scan_configINS0_14default_configElEEPKlPlSt4plusIlEllEEvT1_mT4_T2_T3_,"axG",@progbits,_ZN7rocprim17ROCPRIM_304000_NS6detail18single_scan_kernelILb0ENS1_19wrapped_scan_configINS0_14default_configElEEPKlPlSt4plusIlEllEEvT1_mT4_T2_T3_,comdat
	.protected	_ZN7rocprim17ROCPRIM_304000_NS6detail18single_scan_kernelILb0ENS1_19wrapped_scan_configINS0_14default_configElEEPKlPlSt4plusIlEllEEvT1_mT4_T2_T3_ ; -- Begin function _ZN7rocprim17ROCPRIM_304000_NS6detail18single_scan_kernelILb0ENS1_19wrapped_scan_configINS0_14default_configElEEPKlPlSt4plusIlEllEEvT1_mT4_T2_T3_
	.globl	_ZN7rocprim17ROCPRIM_304000_NS6detail18single_scan_kernelILb0ENS1_19wrapped_scan_configINS0_14default_configElEEPKlPlSt4plusIlEllEEvT1_mT4_T2_T3_
	.p2align	8
	.type	_ZN7rocprim17ROCPRIM_304000_NS6detail18single_scan_kernelILb0ENS1_19wrapped_scan_configINS0_14default_configElEEPKlPlSt4plusIlEllEEvT1_mT4_T2_T3_,@function
_ZN7rocprim17ROCPRIM_304000_NS6detail18single_scan_kernelILb0ENS1_19wrapped_scan_configINS0_14default_configElEEPKlPlSt4plusIlEllEEvT1_mT4_T2_T3_: ; @_ZN7rocprim17ROCPRIM_304000_NS6detail18single_scan_kernelILb0ENS1_19wrapped_scan_configINS0_14default_configElEEPKlPlSt4plusIlEllEEvT1_mT4_T2_T3_
; %bb.0:
	s_load_b128 s[16:19], s[0:1], 0x0
	s_waitcnt lgkmcnt(0)
	s_load_b64 s[36:37], s[16:17], 0x0
	v_cmp_gt_u32_e32 vcc_lo, s18, v0
	s_waitcnt lgkmcnt(0)
	s_mov_b32 s38, s36
	s_mov_b32 s39, s37
	;; [unrolled: 1-line block ×30, first 2 shown]
	v_lshlrev_b32_e32 v55, 3, v0
	v_dual_mov_b32 v1, s36 :: v_dual_mov_b32 v4, s39
	v_dual_mov_b32 v2, s37 :: v_dual_mov_b32 v33, s36
	s_delay_alu instid0(VALU_DEP_3) | instskip(NEXT) | instid1(VALU_DEP_1)
	v_add_co_u32 v35, s2, s16, v55
	v_add_co_ci_u32_e64 v36, null, s17, 0, s2
	v_dual_mov_b32 v3, s38 :: v_dual_mov_b32 v6, s41
	v_dual_mov_b32 v5, s40 :: v_dual_mov_b32 v8, s43
	v_dual_mov_b32 v7, s42 :: v_dual_mov_b32 v10, s45
	v_dual_mov_b32 v9, s44 :: v_dual_mov_b32 v12, s47
	v_dual_mov_b32 v11, s46 :: v_dual_mov_b32 v14, s49
	v_dual_mov_b32 v13, s48 :: v_dual_mov_b32 v16, s51
	v_dual_mov_b32 v15, s50 :: v_dual_mov_b32 v18, s53
	v_dual_mov_b32 v17, s52 :: v_dual_mov_b32 v20, s55
	v_dual_mov_b32 v19, s54 :: v_dual_mov_b32 v22, s57
	v_dual_mov_b32 v21, s56 :: v_dual_mov_b32 v24, s59
	v_dual_mov_b32 v23, s58 :: v_dual_mov_b32 v26, s61
	v_dual_mov_b32 v25, s60 :: v_dual_mov_b32 v28, s63
	v_dual_mov_b32 v27, s62 :: v_dual_mov_b32 v30, s65
	v_dual_mov_b32 v29, s64 :: v_dual_mov_b32 v32, s67
	v_dual_mov_b32 v31, s66 :: v_dual_mov_b32 v34, s37
	s_and_saveexec_b32 s2, vcc_lo
	s_cbranch_execz .LBB40_2
; %bb.1:
	global_load_b64 v[33:34], v[35:36], off
	v_dual_mov_b32 v1, s36 :: v_dual_mov_b32 v2, s37
	v_dual_mov_b32 v3, s38 :: v_dual_mov_b32 v4, s39
	;; [unrolled: 1-line block ×16, first 2 shown]
.LBB40_2:
	s_or_b32 exec_lo, exec_lo, s2
	v_or_b32_e32 v1, 0x100, v0
	s_delay_alu instid0(VALU_DEP_1) | instskip(NEXT) | instid1(VALU_DEP_1)
	v_cmp_gt_u32_e64 s2, s18, v1
	s_and_saveexec_b32 s3, s2
	s_cbranch_execz .LBB40_4
; %bb.3:
	global_load_b64 v[3:4], v[35:36], off offset:2048
.LBB40_4:
	s_or_b32 exec_lo, exec_lo, s3
	v_or_b32_e32 v2, 0x200, v0
	s_delay_alu instid0(VALU_DEP_1) | instskip(NEXT) | instid1(VALU_DEP_1)
	v_cmp_gt_u32_e64 s3, s18, v2
	s_and_saveexec_b32 s5, s3
	s_cbranch_execz .LBB40_6
; %bb.5:
	v_add_co_u32 v5, s4, 0x1000, v35
	s_delay_alu instid0(VALU_DEP_1)
	v_add_co_ci_u32_e64 v6, s4, 0, v36, s4
	global_load_b64 v[5:6], v[5:6], off
.LBB40_6:
	s_or_b32 exec_lo, exec_lo, s5
	v_or_b32_e32 v37, 0x300, v0
	s_delay_alu instid0(VALU_DEP_1) | instskip(NEXT) | instid1(VALU_DEP_1)
	v_cmp_gt_u32_e64 s4, s18, v37
	s_and_saveexec_b32 s6, s4
	s_cbranch_execz .LBB40_8
; %bb.7:
	v_add_co_u32 v7, s5, 0x1000, v35
	s_delay_alu instid0(VALU_DEP_1)
	v_add_co_ci_u32_e64 v8, s5, 0, v36, s5
	global_load_b64 v[7:8], v[7:8], off offset:2048
.LBB40_8:
	s_or_b32 exec_lo, exec_lo, s6
	v_or_b32_e32 v38, 0x400, v0
	s_delay_alu instid0(VALU_DEP_1) | instskip(NEXT) | instid1(VALU_DEP_1)
	v_cmp_gt_u32_e64 s5, s18, v38
	s_and_saveexec_b32 s7, s5
	s_cbranch_execz .LBB40_10
; %bb.9:
	v_add_co_u32 v9, s6, 0x2000, v35
	s_delay_alu instid0(VALU_DEP_1)
	v_add_co_ci_u32_e64 v10, s6, 0, v36, s6
	global_load_b64 v[9:10], v[9:10], off
.LBB40_10:
	s_or_b32 exec_lo, exec_lo, s7
	v_or_b32_e32 v39, 0x500, v0
	s_delay_alu instid0(VALU_DEP_1) | instskip(NEXT) | instid1(VALU_DEP_1)
	v_cmp_gt_u32_e64 s6, s18, v39
	s_and_saveexec_b32 s8, s6
	s_cbranch_execz .LBB40_12
; %bb.11:
	v_add_co_u32 v11, s7, 0x2000, v35
	s_delay_alu instid0(VALU_DEP_1)
	v_add_co_ci_u32_e64 v12, s7, 0, v36, s7
	global_load_b64 v[11:12], v[11:12], off offset:2048
.LBB40_12:
	;; [unrolled: 24-line block ×7, first 2 shown]
	s_or_b32 exec_lo, exec_lo, s18
	v_lshrrev_b32_e32 v1, 2, v1
	v_lshrrev_b32_e32 v2, 2, v2
	;; [unrolled: 1-line block ×5, first 2 shown]
	v_and_b32_e32 v1, 0x78, v1
	v_lshrrev_b32_e32 v38, 2, v39
	v_and_b32_e32 v2, 0xf8, v2
	v_and_b32_e32 v35, 56, v35
	s_mov_b32 s18, exec_lo
	v_add_nc_u32_e32 v57, v1, v55
	v_and_b32_e32 v1, 0xf8, v36
	v_add_nc_u32_e32 v58, v2, v55
	v_and_b32_e32 v2, 0x1f8, v38
	v_add_nc_u32_e32 v56, v35, v55
	s_waitcnt vmcnt(0)
	ds_store_b64 v56, v[33:34]
	ds_store_b64 v57, v[3:4] offset:2048
	v_add_nc_u32_e32 v59, v1, v55
	v_lshrrev_b32_e32 v1, 2, v40
	v_add_nc_u32_e32 v61, v2, v55
	v_lshrrev_b32_e32 v2, 2, v41
	v_lshrrev_b32_e32 v3, 2, v42
	;; [unrolled: 1-line block ×3, first 2 shown]
	v_and_b32_e32 v1, 0x1f8, v1
	v_and_b32_e32 v35, 0x1f8, v37
	ds_store_b64 v58, v[5:6] offset:4096
	v_and_b32_e32 v3, 0x3f8, v3
	v_and_b32_e32 v4, 0x3f8, v4
	v_add_nc_u32_e32 v62, v1, v55
	v_and_b32_e32 v1, 0x1f8, v2
	v_lshrrev_b32_e32 v2, 2, v44
	v_add_nc_u32_e32 v64, v3, v55
	v_lshrrev_b32_e32 v3, 2, v47
	v_add_nc_u32_e32 v65, v4, v55
	v_add_nc_u32_e32 v63, v1, v55
	v_and_b32_e32 v1, 0x3f8, v2
	v_lshrrev_b32_e32 v2, 2, v45
	v_and_b32_e32 v3, 0x3f8, v3
	v_lshrrev_b32_e32 v4, 2, v48
	v_add_nc_u32_e32 v60, v35, v55
	v_add_nc_u32_e32 v66, v1, v55
	v_and_b32_e32 v1, 0x3f8, v2
	v_lshrrev_b32_e32 v2, 2, v46
	v_add_nc_u32_e32 v69, v3, v55
	v_lshrrev_b32_e32 v3, 1, v0
	v_and_b32_e32 v4, 0x3f8, v4
	v_add_nc_u32_e32 v67, v1, v55
	v_and_b32_e32 v1, 0x3f8, v2
	v_lshrrev_b32_e32 v2, 2, v49
	ds_store_b64 v59, v[7:8] offset:6144
	ds_store_b64 v60, v[9:10] offset:8192
	v_add_nc_u32_e32 v70, v4, v55
	ds_store_b64 v61, v[11:12] offset:10240
	v_add_nc_u32_e32 v68, v1, v55
	v_and_b32_e32 v1, 0x3f8, v2
	v_lshlrev_b32_e32 v2, 4, v0
	ds_store_b64 v62, v[13:14] offset:12288
	ds_store_b64 v63, v[15:16] offset:14336
	ds_store_b64 v64, v[17:18] offset:16384
	ds_store_b64 v65, v[19:20] offset:18432
	v_add_nc_u32_e32 v71, v1, v55
	v_add_lshl_u32 v72, v3, v2, 3
	ds_store_b64 v66, v[21:22] offset:20480
	ds_store_b64 v67, v[23:24] offset:22528
	;; [unrolled: 1-line block ×6, first 2 shown]
	s_waitcnt lgkmcnt(0)
	s_barrier
	buffer_gl0_inv
	ds_load_2addr_b64 v[1:4], v72 offset1:1
	ds_load_2addr_b64 v[5:8], v72 offset0:2 offset1:3
	ds_load_2addr_b64 v[9:12], v72 offset0:4 offset1:5
	;; [unrolled: 1-line block ×6, first 2 shown]
	s_waitcnt lgkmcnt(6)
	v_add_co_u32 v13, s17, v3, v1
	s_delay_alu instid0(VALU_DEP_1) | instskip(SKIP_1) | instid1(VALU_DEP_2)
	v_add_co_ci_u32_e64 v14, s17, v4, v2, s17
	s_waitcnt lgkmcnt(5)
	v_add_co_u32 v13, s17, v13, v5
	s_delay_alu instid0(VALU_DEP_1) | instskip(NEXT) | instid1(VALU_DEP_2)
	v_add_co_ci_u32_e64 v14, s17, v14, v6, s17
	v_add_co_u32 v13, s17, v13, v7
	s_delay_alu instid0(VALU_DEP_1) | instskip(SKIP_1) | instid1(VALU_DEP_2)
	v_add_co_ci_u32_e64 v14, s17, v14, v8, s17
	s_waitcnt lgkmcnt(4)
	v_add_co_u32 v13, s17, v13, v9
	s_delay_alu instid0(VALU_DEP_1) | instskip(NEXT) | instid1(VALU_DEP_2)
	v_add_co_ci_u32_e64 v14, s17, v14, v10, s17
	v_add_co_u32 v13, s17, v13, v11
	s_delay_alu instid0(VALU_DEP_1) | instskip(SKIP_1) | instid1(VALU_DEP_2)
	v_add_co_ci_u32_e64 v14, s17, v14, v12, s17
	s_waitcnt lgkmcnt(3)
	v_add_co_u32 v13, s17, v13, v21
	s_delay_alu instid0(VALU_DEP_1) | instskip(NEXT) | instid1(VALU_DEP_2)
	v_add_co_ci_u32_e64 v14, s17, v14, v22, s17
	v_add_co_u32 v13, s17, v13, v23
	s_delay_alu instid0(VALU_DEP_1) | instskip(SKIP_1) | instid1(VALU_DEP_2)
	v_add_co_ci_u32_e64 v14, s17, v14, v24, s17
	s_waitcnt lgkmcnt(2)
	v_add_co_u32 v13, s17, v13, v25
	s_delay_alu instid0(VALU_DEP_1) | instskip(NEXT) | instid1(VALU_DEP_2)
	v_add_co_ci_u32_e64 v14, s17, v14, v26, s17
	v_add_co_u32 v33, s17, v13, v27
	s_delay_alu instid0(VALU_DEP_1) | instskip(SKIP_3) | instid1(VALU_DEP_1)
	v_add_co_ci_u32_e64 v34, s17, v14, v28, s17
	ds_load_2addr_b64 v[13:16], v72 offset0:14 offset1:15
	s_waitcnt lgkmcnt(2)
	v_add_co_u32 v33, s17, v33, v29
	v_add_co_ci_u32_e64 v34, s17, v34, v30, s17
	s_waitcnt lgkmcnt(0)
	s_delay_alu instid0(VALU_DEP_2) | instskip(NEXT) | instid1(VALU_DEP_1)
	v_add_co_u32 v33, s17, v33, v31
	v_add_co_ci_u32_e64 v34, s17, v34, v32, s17
	s_barrier
	s_delay_alu instid0(VALU_DEP_2) | instskip(NEXT) | instid1(VALU_DEP_1)
	v_add_co_u32 v33, s17, v33, v17
	v_add_co_ci_u32_e64 v34, s17, v34, v18, s17
	buffer_gl0_inv
	v_add_co_u32 v33, s17, v33, v19
	s_delay_alu instid0(VALU_DEP_1) | instskip(NEXT) | instid1(VALU_DEP_2)
	v_add_co_ci_u32_e64 v34, s17, v34, v20, s17
	v_add_co_u32 v33, s17, v33, v13
	s_delay_alu instid0(VALU_DEP_1) | instskip(NEXT) | instid1(VALU_DEP_2)
	v_add_co_ci_u32_e64 v34, s17, v34, v14, s17
	v_add_co_u32 v49, s17, v33, v15
	s_delay_alu instid0(VALU_DEP_1)
	v_add_co_ci_u32_e64 v50, s17, v34, v16, s17
	ds_store_b64 v56, v[49:50]
	s_waitcnt lgkmcnt(0)
	s_barrier
	buffer_gl0_inv
	v_cmpx_gt_u32_e32 32, v0
	s_cbranch_execz .LBB40_42
; %bb.33:
	v_lshlrev_b32_e32 v33, 1, v0
	v_mbcnt_lo_u32_b32 v74, -1, 0
	s_mov_b32 s19, exec_lo
	s_delay_alu instid0(VALU_DEP_2) | instskip(NEXT) | instid1(VALU_DEP_2)
	v_and_b32_e32 v33, 0x1f8, v33
	v_and_b32_e32 v75, 15, v74
	s_delay_alu instid0(VALU_DEP_2)
	v_lshl_or_b32 v73, v0, 6, v33
	ds_load_2addr_b64 v[33:36], v73 offset1:1
	ds_load_2addr_b64 v[37:40], v73 offset0:2 offset1:3
	ds_load_2addr_b64 v[41:44], v73 offset0:4 offset1:5
	;; [unrolled: 1-line block ×3, first 2 shown]
	s_waitcnt lgkmcnt(3)
	v_add_co_u32 v51, s17, v35, v33
	s_delay_alu instid0(VALU_DEP_1) | instskip(SKIP_1) | instid1(VALU_DEP_2)
	v_add_co_ci_u32_e64 v52, s17, v36, v34, s17
	s_waitcnt lgkmcnt(2)
	v_add_co_u32 v51, s17, v51, v37
	s_delay_alu instid0(VALU_DEP_1) | instskip(NEXT) | instid1(VALU_DEP_2)
	v_add_co_ci_u32_e64 v52, s17, v52, v38, s17
	v_add_co_u32 v51, s17, v51, v39
	s_delay_alu instid0(VALU_DEP_1) | instskip(SKIP_1) | instid1(VALU_DEP_2)
	v_add_co_ci_u32_e64 v52, s17, v52, v40, s17
	s_waitcnt lgkmcnt(1)
	v_add_co_u32 v51, s17, v51, v41
	s_delay_alu instid0(VALU_DEP_1) | instskip(NEXT) | instid1(VALU_DEP_2)
	v_add_co_ci_u32_e64 v52, s17, v52, v42, s17
	;; [unrolled: 7-line block ×3, first 2 shown]
	v_add_co_u32 v51, s17, v51, v47
	s_delay_alu instid0(VALU_DEP_1) | instskip(NEXT) | instid1(VALU_DEP_2)
	v_add_co_ci_u32_e64 v52, s17, v52, v48, s17
	v_mov_b32_dpp v77, v51 row_shr:1 row_mask:0xf bank_mask:0xf
	s_delay_alu instid0(VALU_DEP_2)
	v_mov_b32_e32 v54, v52
	v_mov_b32_dpp v76, v52 row_shr:1 row_mask:0xf bank_mask:0xf
	v_mov_b32_e32 v53, v51
	v_cmpx_ne_u32_e32 0, v75
; %bb.34:
	v_add_co_u32 v51, s17, v51, v77
	s_delay_alu instid0(VALU_DEP_1) | instskip(NEXT) | instid1(VALU_DEP_2)
	v_add_co_ci_u32_e64 v52, s17, 0, v52, s17
	v_add_co_u32 v53, s17, 0, v51
	s_delay_alu instid0(VALU_DEP_1) | instskip(NEXT) | instid1(VALU_DEP_1)
	v_add_co_ci_u32_e64 v54, s17, v76, v52, s17
	v_mov_b32_e32 v52, v54
; %bb.35:
	s_or_b32 exec_lo, exec_lo, s19
	v_mov_b32_dpp v77, v51 row_shr:2 row_mask:0xf bank_mask:0xf
	s_delay_alu instid0(VALU_DEP_2)
	v_mov_b32_dpp v76, v52 row_shr:2 row_mask:0xf bank_mask:0xf
	s_mov_b32 s19, exec_lo
	v_cmpx_lt_u32_e32 1, v75
; %bb.36:
	s_delay_alu instid0(VALU_DEP_3) | instskip(NEXT) | instid1(VALU_DEP_1)
	v_add_co_u32 v51, s17, v53, v77
	v_add_co_ci_u32_e64 v52, s17, 0, v54, s17
	s_delay_alu instid0(VALU_DEP_2) | instskip(NEXT) | instid1(VALU_DEP_1)
	v_add_co_u32 v53, s17, 0, v51
	v_add_co_ci_u32_e64 v54, s17, v76, v52, s17
	s_delay_alu instid0(VALU_DEP_1)
	v_mov_b32_e32 v52, v54
; %bb.37:
	s_or_b32 exec_lo, exec_lo, s19
	v_mov_b32_dpp v77, v51 row_shr:4 row_mask:0xf bank_mask:0xf
	s_delay_alu instid0(VALU_DEP_2)
	v_mov_b32_dpp v76, v52 row_shr:4 row_mask:0xf bank_mask:0xf
	s_mov_b32 s19, exec_lo
	v_cmpx_lt_u32_e32 3, v75
; %bb.38:
	s_delay_alu instid0(VALU_DEP_3) | instskip(NEXT) | instid1(VALU_DEP_1)
	v_add_co_u32 v51, s17, v53, v77
	v_add_co_ci_u32_e64 v52, s17, 0, v54, s17
	s_delay_alu instid0(VALU_DEP_2) | instskip(NEXT) | instid1(VALU_DEP_1)
	v_add_co_u32 v53, s17, 0, v51
	v_add_co_ci_u32_e64 v54, s17, v76, v52, s17
	s_delay_alu instid0(VALU_DEP_1)
	;; [unrolled: 16-line block ×3, first 2 shown]
	v_mov_b32_e32 v52, v54
; %bb.41:
	s_or_b32 exec_lo, exec_lo, s19
	ds_swizzle_b32 v75, v51 offset:swizzle(BROADCAST,32,15)
	ds_swizzle_b32 v76, v52 offset:swizzle(BROADCAST,32,15)
	v_add_nc_u32_e32 v77, -1, v74
	v_and_b32_e32 v78, 16, v74
	s_delay_alu instid0(VALU_DEP_2) | instskip(NEXT) | instid1(VALU_DEP_1)
	v_cmp_gt_i32_e64 s17, 0, v77
	v_cndmask_b32_e64 v74, v77, v74, s17
	s_delay_alu instid0(VALU_DEP_1) | instskip(SKIP_2) | instid1(VALU_DEP_1)
	v_lshlrev_b32_e32 v74, 2, v74
	s_waitcnt lgkmcnt(1)
	v_add_co_u32 v53, s17, v53, v75
	v_add_co_ci_u32_e64 v54, s17, 0, v54, s17
	v_cmp_eq_u32_e64 s17, 0, v78
	s_delay_alu instid0(VALU_DEP_1) | instskip(SKIP_1) | instid1(VALU_DEP_3)
	v_cndmask_b32_e64 v51, v53, v51, s17
	s_waitcnt lgkmcnt(0)
	v_add_nc_u32_e32 v53, v76, v54
	ds_bpermute_b32 v51, v74, v51
	v_cndmask_b32_e64 v52, v53, v52, s17
	ds_bpermute_b32 v52, v74, v52
	s_waitcnt lgkmcnt(1)
	v_add_co_u32 v33, s17, v33, v51
	s_delay_alu instid0(VALU_DEP_1) | instskip(NEXT) | instid1(VALU_DEP_2)
	v_add_co_ci_u32_e64 v34, s17, 0, v34, s17
	v_add_co_u32 v33, s17, v33, 0
	s_waitcnt lgkmcnt(0)
	s_delay_alu instid0(VALU_DEP_2) | instskip(SKIP_1) | instid1(VALU_DEP_1)
	v_add_co_ci_u32_e64 v34, s17, v34, v52, s17
	v_cmp_eq_u32_e64 s17, 0, v0
	v_cndmask_b32_e64 v33, v33, v49, s17
	s_delay_alu instid0(VALU_DEP_3) | instskip(NEXT) | instid1(VALU_DEP_2)
	v_cndmask_b32_e64 v34, v34, v50, s17
	v_add_co_u32 v35, s17, v33, v35
	s_delay_alu instid0(VALU_DEP_1) | instskip(NEXT) | instid1(VALU_DEP_2)
	v_add_co_ci_u32_e64 v36, s17, v34, v36, s17
	v_add_co_u32 v37, s17, v35, v37
	s_delay_alu instid0(VALU_DEP_1) | instskip(NEXT) | instid1(VALU_DEP_2)
	v_add_co_ci_u32_e64 v38, s17, v36, v38, s17
	;; [unrolled: 3-line block ×6, first 2 shown]
	v_add_co_u32 v47, s17, v45, v47
	s_delay_alu instid0(VALU_DEP_1)
	v_add_co_ci_u32_e64 v48, s17, v46, v48, s17
	ds_store_2addr_b64 v73, v[33:34], v[35:36] offset1:1
	ds_store_2addr_b64 v73, v[37:38], v[39:40] offset0:2 offset1:3
	ds_store_2addr_b64 v73, v[41:42], v[43:44] offset0:4 offset1:5
	;; [unrolled: 1-line block ×3, first 2 shown]
.LBB40_42:
	s_or_b32 exec_lo, exec_lo, s18
	v_mov_b32_e32 v33, 0
	v_mov_b32_e32 v34, 0
	s_mov_b32 s18, exec_lo
	s_waitcnt lgkmcnt(0)
	s_barrier
	buffer_gl0_inv
	v_cmpx_ne_u32_e32 0, v0
	s_cbranch_execz .LBB40_44
; %bb.43:
	v_add_nc_u32_e32 v0, -1, v0
	s_delay_alu instid0(VALU_DEP_1) | instskip(NEXT) | instid1(VALU_DEP_1)
	v_lshrrev_b32_e32 v33, 5, v0
	v_add_lshl_u32 v0, v33, v0, 3
	ds_load_b64 v[33:34], v0
.LBB40_44:
	s_or_b32 exec_lo, exec_lo, s18
	s_waitcnt lgkmcnt(0)
	v_add_co_u32 v0, s17, v33, v1
	s_delay_alu instid0(VALU_DEP_1) | instskip(SKIP_1) | instid1(VALU_DEP_2)
	v_add_co_ci_u32_e64 v1, s17, v34, v2, s17
	s_load_b64 s[18:19], s[0:1], 0x18
	v_add_co_u32 v2, s17, v0, v3
	s_delay_alu instid0(VALU_DEP_1) | instskip(SKIP_1) | instid1(VALU_DEP_2)
	v_add_co_ci_u32_e64 v3, s17, v1, v4, s17
	s_waitcnt lgkmcnt(0)
	v_add_co_u32 v4, s17, v2, v5
	s_delay_alu instid0(VALU_DEP_1) | instskip(SKIP_1) | instid1(VALU_DEP_2)
	v_add_co_ci_u32_e64 v5, s17, v3, v6, s17
	s_barrier
	v_add_co_u32 v6, s17, v4, v7
	s_delay_alu instid0(VALU_DEP_1) | instskip(SKIP_2) | instid1(VALU_DEP_1)
	v_add_co_ci_u32_e64 v7, s17, v5, v8, s17
	buffer_gl0_inv
	v_add_co_u32 v8, s17, v6, v9
	v_add_co_ci_u32_e64 v9, s17, v7, v10, s17
	ds_store_2addr_b64 v72, v[0:1], v[2:3] offset1:1
	ds_store_2addr_b64 v72, v[4:5], v[6:7] offset0:2 offset1:3
	v_add_co_u32 v10, s17, v8, v11
	s_delay_alu instid0(VALU_DEP_1) | instskip(NEXT) | instid1(VALU_DEP_2)
	v_add_co_ci_u32_e64 v11, s17, v9, v12, s17
	v_add_co_u32 v21, s17, v10, v21
	s_delay_alu instid0(VALU_DEP_1) | instskip(NEXT) | instid1(VALU_DEP_2)
	v_add_co_ci_u32_e64 v22, s17, v11, v22, s17
	;; [unrolled: 3-line block ×10, first 2 shown]
	v_add_co_u32 v0, s0, v12, v15
	s_delay_alu instid0(VALU_DEP_1)
	v_add_co_ci_u32_e64 v1, s0, v13, v16, s0
	ds_store_2addr_b64 v72, v[8:9], v[10:11] offset0:4 offset1:5
	ds_store_2addr_b64 v72, v[21:22], v[23:24] offset0:6 offset1:7
	;; [unrolled: 1-line block ×6, first 2 shown]
	s_waitcnt lgkmcnt(0)
	s_barrier
	buffer_gl0_inv
	ds_load_b64 v[30:31], v57 offset:2048
	ds_load_b64 v[28:29], v58 offset:4096
	;; [unrolled: 1-line block ×15, first 2 shown]
	v_add_co_u32 v2, s0, s18, v55
	s_delay_alu instid0(VALU_DEP_1)
	v_add_co_ci_u32_e64 v3, null, s19, 0, s0
	s_and_saveexec_b32 s0, vcc_lo
	s_cbranch_execnz .LBB40_61
; %bb.45:
	s_or_b32 exec_lo, exec_lo, s0
	s_and_saveexec_b32 s0, s2
	s_cbranch_execnz .LBB40_62
.LBB40_46:
	s_or_b32 exec_lo, exec_lo, s0
	s_and_saveexec_b32 s0, s3
	s_cbranch_execnz .LBB40_63
.LBB40_47:
	s_or_b32 exec_lo, exec_lo, s0
	s_and_saveexec_b32 s0, s4
	s_cbranch_execnz .LBB40_64
.LBB40_48:
	s_or_b32 exec_lo, exec_lo, s0
	s_and_saveexec_b32 s0, s5
	s_cbranch_execnz .LBB40_65
.LBB40_49:
	s_or_b32 exec_lo, exec_lo, s0
	s_and_saveexec_b32 s0, s6
	s_cbranch_execnz .LBB40_66
.LBB40_50:
	s_or_b32 exec_lo, exec_lo, s0
	s_and_saveexec_b32 s0, s7
	s_cbranch_execnz .LBB40_67
.LBB40_51:
	s_or_b32 exec_lo, exec_lo, s0
	s_and_saveexec_b32 s0, s8
	s_cbranch_execnz .LBB40_68
.LBB40_52:
	s_or_b32 exec_lo, exec_lo, s0
	s_and_saveexec_b32 s0, s9
	s_cbranch_execnz .LBB40_69
.LBB40_53:
	s_or_b32 exec_lo, exec_lo, s0
	s_and_saveexec_b32 s0, s10
	s_cbranch_execnz .LBB40_70
.LBB40_54:
	s_or_b32 exec_lo, exec_lo, s0
	s_and_saveexec_b32 s0, s11
	s_cbranch_execnz .LBB40_71
.LBB40_55:
	s_or_b32 exec_lo, exec_lo, s0
	s_and_saveexec_b32 s0, s12
	s_cbranch_execnz .LBB40_72
.LBB40_56:
	s_or_b32 exec_lo, exec_lo, s0
	s_and_saveexec_b32 s0, s13
	s_cbranch_execnz .LBB40_73
.LBB40_57:
	s_or_b32 exec_lo, exec_lo, s0
	s_and_saveexec_b32 s0, s14
	s_cbranch_execnz .LBB40_74
.LBB40_58:
	s_or_b32 exec_lo, exec_lo, s0
	s_and_saveexec_b32 s0, s15
	s_cbranch_execnz .LBB40_75
.LBB40_59:
	s_or_b32 exec_lo, exec_lo, s0
	s_and_saveexec_b32 s0, s16
	s_cbranch_execnz .LBB40_76
.LBB40_60:
	s_nop 0
	s_sendmsg sendmsg(MSG_DEALLOC_VGPRS)
	s_endpgm
.LBB40_61:
	ds_load_b64 v[32:33], v56
	s_waitcnt lgkmcnt(0)
	global_store_b64 v[2:3], v[32:33], off
	s_or_b32 exec_lo, exec_lo, s0
	s_and_saveexec_b32 s0, s2
	s_cbranch_execz .LBB40_46
.LBB40_62:
	s_waitcnt lgkmcnt(14)
	global_store_b64 v[2:3], v[30:31], off offset:2048
	s_or_b32 exec_lo, exec_lo, s0
	s_and_saveexec_b32 s0, s3
	s_cbranch_execz .LBB40_47
.LBB40_63:
	s_waitcnt lgkmcnt(14)
	v_add_co_u32 v30, vcc_lo, 0x1000, v2
	v_add_co_ci_u32_e32 v31, vcc_lo, 0, v3, vcc_lo
	s_waitcnt lgkmcnt(13)
	global_store_b64 v[30:31], v[28:29], off
	s_or_b32 exec_lo, exec_lo, s0
	s_and_saveexec_b32 s0, s4
	s_cbranch_execz .LBB40_48
.LBB40_64:
	s_waitcnt lgkmcnt(13)
	v_add_co_u32 v28, vcc_lo, 0x1000, v2
	v_add_co_ci_u32_e32 v29, vcc_lo, 0, v3, vcc_lo
	s_waitcnt lgkmcnt(12)
	global_store_b64 v[28:29], v[26:27], off offset:2048
	s_or_b32 exec_lo, exec_lo, s0
	s_and_saveexec_b32 s0, s5
	s_cbranch_execz .LBB40_49
.LBB40_65:
	s_waitcnt lgkmcnt(12)
	v_add_co_u32 v26, vcc_lo, 0x2000, v2
	v_add_co_ci_u32_e32 v27, vcc_lo, 0, v3, vcc_lo
	s_waitcnt lgkmcnt(11)
	global_store_b64 v[26:27], v[24:25], off
	s_or_b32 exec_lo, exec_lo, s0
	s_and_saveexec_b32 s0, s6
	s_cbranch_execz .LBB40_50
.LBB40_66:
	s_waitcnt lgkmcnt(11)
	v_add_co_u32 v24, vcc_lo, 0x2000, v2
	v_add_co_ci_u32_e32 v25, vcc_lo, 0, v3, vcc_lo
	s_waitcnt lgkmcnt(10)
	global_store_b64 v[24:25], v[22:23], off offset:2048
	s_or_b32 exec_lo, exec_lo, s0
	s_and_saveexec_b32 s0, s7
	s_cbranch_execz .LBB40_51
.LBB40_67:
	s_waitcnt lgkmcnt(10)
	v_add_co_u32 v22, vcc_lo, 0x3000, v2
	v_add_co_ci_u32_e32 v23, vcc_lo, 0, v3, vcc_lo
	s_waitcnt lgkmcnt(9)
	global_store_b64 v[22:23], v[20:21], off
	s_or_b32 exec_lo, exec_lo, s0
	s_and_saveexec_b32 s0, s8
	s_cbranch_execz .LBB40_52
.LBB40_68:
	s_waitcnt lgkmcnt(9)
	v_add_co_u32 v20, vcc_lo, 0x3000, v2
	v_add_co_ci_u32_e32 v21, vcc_lo, 0, v3, vcc_lo
	s_waitcnt lgkmcnt(8)
	global_store_b64 v[20:21], v[18:19], off offset:2048
	s_or_b32 exec_lo, exec_lo, s0
	s_and_saveexec_b32 s0, s9
	s_cbranch_execz .LBB40_53
.LBB40_69:
	s_waitcnt lgkmcnt(8)
	v_add_co_u32 v18, vcc_lo, 0x4000, v2
	v_add_co_ci_u32_e32 v19, vcc_lo, 0, v3, vcc_lo
	s_waitcnt lgkmcnt(7)
	global_store_b64 v[18:19], v[16:17], off
	s_or_b32 exec_lo, exec_lo, s0
	s_and_saveexec_b32 s0, s10
	s_cbranch_execz .LBB40_54
.LBB40_70:
	s_waitcnt lgkmcnt(7)
	v_add_co_u32 v16, vcc_lo, 0x4000, v2
	v_add_co_ci_u32_e32 v17, vcc_lo, 0, v3, vcc_lo
	s_waitcnt lgkmcnt(6)
	global_store_b64 v[16:17], v[14:15], off offset:2048
	s_or_b32 exec_lo, exec_lo, s0
	s_and_saveexec_b32 s0, s11
	s_cbranch_execz .LBB40_55
.LBB40_71:
	s_waitcnt lgkmcnt(6)
	v_add_co_u32 v14, vcc_lo, 0x5000, v2
	v_add_co_ci_u32_e32 v15, vcc_lo, 0, v3, vcc_lo
	s_waitcnt lgkmcnt(5)
	global_store_b64 v[14:15], v[12:13], off
	s_or_b32 exec_lo, exec_lo, s0
	s_and_saveexec_b32 s0, s12
	s_cbranch_execz .LBB40_56
.LBB40_72:
	s_waitcnt lgkmcnt(5)
	v_add_co_u32 v12, vcc_lo, 0x5000, v2
	v_add_co_ci_u32_e32 v13, vcc_lo, 0, v3, vcc_lo
	s_waitcnt lgkmcnt(4)
	global_store_b64 v[12:13], v[10:11], off offset:2048
	s_or_b32 exec_lo, exec_lo, s0
	s_and_saveexec_b32 s0, s13
	s_cbranch_execz .LBB40_57
.LBB40_73:
	s_waitcnt lgkmcnt(4)
	v_add_co_u32 v10, vcc_lo, 0x6000, v2
	v_add_co_ci_u32_e32 v11, vcc_lo, 0, v3, vcc_lo
	s_waitcnt lgkmcnt(3)
	global_store_b64 v[10:11], v[8:9], off
	s_or_b32 exec_lo, exec_lo, s0
	s_and_saveexec_b32 s0, s14
	s_cbranch_execz .LBB40_58
.LBB40_74:
	s_waitcnt lgkmcnt(3)
	v_add_co_u32 v8, vcc_lo, 0x6000, v2
	v_add_co_ci_u32_e32 v9, vcc_lo, 0, v3, vcc_lo
	s_waitcnt lgkmcnt(2)
	global_store_b64 v[8:9], v[6:7], off offset:2048
	s_or_b32 exec_lo, exec_lo, s0
	s_and_saveexec_b32 s0, s15
	s_cbranch_execz .LBB40_59
.LBB40_75:
	s_waitcnt lgkmcnt(2)
	v_add_co_u32 v6, vcc_lo, 0x7000, v2
	v_add_co_ci_u32_e32 v7, vcc_lo, 0, v3, vcc_lo
	s_waitcnt lgkmcnt(1)
	global_store_b64 v[6:7], v[4:5], off
	s_or_b32 exec_lo, exec_lo, s0
	s_and_saveexec_b32 s0, s16
	s_cbranch_execz .LBB40_60
.LBB40_76:
	v_add_co_u32 v2, vcc_lo, 0x7000, v2
	v_add_co_ci_u32_e32 v3, vcc_lo, 0, v3, vcc_lo
	s_waitcnt lgkmcnt(0)
	global_store_b64 v[2:3], v[0:1], off offset:2048
	s_nop 0
	s_sendmsg sendmsg(MSG_DEALLOC_VGPRS)
	s_endpgm
	.section	.rodata,"a",@progbits
	.p2align	6, 0x0
	.amdhsa_kernel _ZN7rocprim17ROCPRIM_304000_NS6detail18single_scan_kernelILb0ENS1_19wrapped_scan_configINS0_14default_configElEEPKlPlSt4plusIlEllEEvT1_mT4_T2_T3_
		.amdhsa_group_segment_fixed_size 33792
		.amdhsa_private_segment_fixed_size 0
		.amdhsa_kernarg_size 36
		.amdhsa_user_sgpr_count 15
		.amdhsa_user_sgpr_dispatch_ptr 0
		.amdhsa_user_sgpr_queue_ptr 0
		.amdhsa_user_sgpr_kernarg_segment_ptr 1
		.amdhsa_user_sgpr_dispatch_id 0
		.amdhsa_user_sgpr_private_segment_size 0
		.amdhsa_wavefront_size32 1
		.amdhsa_uses_dynamic_stack 0
		.amdhsa_enable_private_segment 0
		.amdhsa_system_sgpr_workgroup_id_x 1
		.amdhsa_system_sgpr_workgroup_id_y 0
		.amdhsa_system_sgpr_workgroup_id_z 0
		.amdhsa_system_sgpr_workgroup_info 0
		.amdhsa_system_vgpr_workitem_id 0
		.amdhsa_next_free_vgpr 79
		.amdhsa_next_free_sgpr 68
		.amdhsa_reserve_vcc 1
		.amdhsa_float_round_mode_32 0
		.amdhsa_float_round_mode_16_64 0
		.amdhsa_float_denorm_mode_32 3
		.amdhsa_float_denorm_mode_16_64 3
		.amdhsa_dx10_clamp 1
		.amdhsa_ieee_mode 1
		.amdhsa_fp16_overflow 0
		.amdhsa_workgroup_processor_mode 1
		.amdhsa_memory_ordered 1
		.amdhsa_forward_progress 0
		.amdhsa_shared_vgpr_count 0
		.amdhsa_exception_fp_ieee_invalid_op 0
		.amdhsa_exception_fp_denorm_src 0
		.amdhsa_exception_fp_ieee_div_zero 0
		.amdhsa_exception_fp_ieee_overflow 0
		.amdhsa_exception_fp_ieee_underflow 0
		.amdhsa_exception_fp_ieee_inexact 0
		.amdhsa_exception_int_div_zero 0
	.end_amdhsa_kernel
	.section	.text._ZN7rocprim17ROCPRIM_304000_NS6detail18single_scan_kernelILb0ENS1_19wrapped_scan_configINS0_14default_configElEEPKlPlSt4plusIlEllEEvT1_mT4_T2_T3_,"axG",@progbits,_ZN7rocprim17ROCPRIM_304000_NS6detail18single_scan_kernelILb0ENS1_19wrapped_scan_configINS0_14default_configElEEPKlPlSt4plusIlEllEEvT1_mT4_T2_T3_,comdat
.Lfunc_end40:
	.size	_ZN7rocprim17ROCPRIM_304000_NS6detail18single_scan_kernelILb0ENS1_19wrapped_scan_configINS0_14default_configElEEPKlPlSt4plusIlEllEEvT1_mT4_T2_T3_, .Lfunc_end40-_ZN7rocprim17ROCPRIM_304000_NS6detail18single_scan_kernelILb0ENS1_19wrapped_scan_configINS0_14default_configElEEPKlPlSt4plusIlEllEEvT1_mT4_T2_T3_
                                        ; -- End function
	.section	.AMDGPU.csdata,"",@progbits
; Kernel info:
; codeLenInByte = 4672
; NumSgprs: 70
; NumVgprs: 79
; ScratchSize: 0
; MemoryBound: 1
; FloatMode: 240
; IeeeMode: 1
; LDSByteSize: 33792 bytes/workgroup (compile time only)
; SGPRBlocks: 8
; VGPRBlocks: 9
; NumSGPRsForWavesPerEU: 70
; NumVGPRsForWavesPerEU: 79
; Occupancy: 6
; WaveLimiterHint : 0
; COMPUTE_PGM_RSRC2:SCRATCH_EN: 0
; COMPUTE_PGM_RSRC2:USER_SGPR: 15
; COMPUTE_PGM_RSRC2:TRAP_HANDLER: 0
; COMPUTE_PGM_RSRC2:TGID_X_EN: 1
; COMPUTE_PGM_RSRC2:TGID_Y_EN: 0
; COMPUTE_PGM_RSRC2:TGID_Z_EN: 0
; COMPUTE_PGM_RSRC2:TIDIG_COMP_CNT: 0
	.section	.text._ZN2at6native32tensor_kernel_scan_innermost_dimIlSt4plusIlEEEvPT_PKS4_jjjS4_T0_,"axG",@progbits,_ZN2at6native32tensor_kernel_scan_innermost_dimIlSt4plusIlEEEvPT_PKS4_jjjS4_T0_,comdat
	.protected	_ZN2at6native32tensor_kernel_scan_innermost_dimIlSt4plusIlEEEvPT_PKS4_jjjS4_T0_ ; -- Begin function _ZN2at6native32tensor_kernel_scan_innermost_dimIlSt4plusIlEEEvPT_PKS4_jjjS4_T0_
	.globl	_ZN2at6native32tensor_kernel_scan_innermost_dimIlSt4plusIlEEEvPT_PKS4_jjjS4_T0_
	.p2align	8
	.type	_ZN2at6native32tensor_kernel_scan_innermost_dimIlSt4plusIlEEEvPT_PKS4_jjjS4_T0_,@function
_ZN2at6native32tensor_kernel_scan_innermost_dimIlSt4plusIlEEEvPT_PKS4_jjjS4_T0_: ; @_ZN2at6native32tensor_kernel_scan_innermost_dimIlSt4plusIlEEEvPT_PKS4_jjjS4_T0_
; %bb.0:
	s_clause 0x1
	s_load_b256 s[16:23], s[0:1], 0x0
	s_load_b64 s[6:7], s[0:1], 0x20
	v_bfe_u32 v12, v0, 10, 10
	s_waitcnt lgkmcnt(0)
	s_lshl_b32 s5, 2, s22
	s_mul_hi_u32 s2, s20, s21
	s_delay_alu instid0(VALU_DEP_1) | instskip(SKIP_3) | instid1(VALU_DEP_1)
	v_mul_lo_u32 v1, s5, v12
	s_mov_b32 s8, s20
	s_cmp_lg_u32 s2, 0
	s_mov_b32 s2, -1
	v_lshl_add_u32 v13, v1, 3, 0
	s_cbranch_scc1 .LBB41_26
; %bb.1:
	s_load_b32 s4, s[0:1], 0x3c
	s_add_u32 s2, s0, 48
	s_addc_u32 s3, s1, 0
	s_waitcnt lgkmcnt(0)
	s_lshr_b32 s4, s4, 16
	s_delay_alu instid0(SALU_CYCLE_1) | instskip(NEXT) | instid1(SALU_CYCLE_1)
	s_mul_i32 s9, s15, s4
	s_cmp_ge_u32 s9, s20
	s_cbranch_scc1 .LBB41_25
; %bb.2:
	s_load_b32 s12, s[2:3], 0x0
	v_dual_mov_b32 v2, 0 :: v_dual_and_b32 v11, 0x3ff, v0
	v_add_nc_u32_e32 v14, -8, v13
	s_lshl_b32 s10, 1, s22
	s_cmp_lg_u32 s21, 0
	s_delay_alu instid0(VALU_DEP_2)
	v_lshl_add_u32 v15, v11, 3, v13
	v_cmp_eq_u32_e64 s2, 0, v11
	v_lshl_add_u32 v16, s5, 3, v14
	s_cselect_b32 s11, -1, 0
	s_add_i32 s13, s22, 1
	v_lshl_add_u32 v17, s10, 3, v15
	s_waitcnt lgkmcnt(0)
	s_mul_i32 s12, s12, s4
	s_branch .LBB41_4
.LBB41_3:                               ;   in Loop: Header=BB41_4 Depth=1
	s_add_i32 s9, s9, s12
	s_delay_alu instid0(SALU_CYCLE_1)
	s_cmp_ge_u32 s9, s20
	s_cbranch_scc1 .LBB41_25
.LBB41_4:                               ; =>This Loop Header: Depth=1
                                        ;     Child Loop BB41_7 Depth 2
                                        ;       Child Loop BB41_16 Depth 3
	s_and_not1_b32 vcc_lo, exec_lo, s11
	s_cbranch_vccnz .LBB41_3
; %bb.5:                                ;   in Loop: Header=BB41_4 Depth=1
	v_add_nc_u32_e32 v5, s9, v12
	s_mov_b32 s14, 0
	s_delay_alu instid0(VALU_DEP_1) | instskip(SKIP_3) | instid1(VALU_DEP_4)
	v_mul_lo_u32 v1, v5, s21
	v_cmp_gt_u32_e32 vcc_lo, s20, v5
	v_cmp_le_u32_e64 s3, s20, v5
	v_dual_mov_b32 v5, s6 :: v_dual_mov_b32 v6, s7
	v_lshlrev_b64 v[3:4], 3, v[1:2]
	s_delay_alu instid0(VALU_DEP_1) | instskip(NEXT) | instid1(VALU_DEP_1)
	v_add_co_u32 v18, s4, s18, v3
	v_add_co_ci_u32_e64 v19, s4, s19, v4, s4
	v_add_co_u32 v20, s4, s16, v3
	s_delay_alu instid0(VALU_DEP_1)
	v_add_co_ci_u32_e64 v21, s4, s17, v4, s4
	s_branch .LBB41_7
.LBB41_6:                               ;   in Loop: Header=BB41_7 Depth=2
	s_or_b32 exec_lo, exec_lo, s23
	ds_load_b64 v[5:6], v16
	s_add_i32 s14, s14, s5
	s_waitcnt lgkmcnt(0)
	s_waitcnt_vscnt null, 0x0
	s_cmp_ge_u32 s14, s21
	s_barrier
	buffer_gl0_inv
	s_cbranch_scc1 .LBB41_3
.LBB41_7:                               ;   Parent Loop BB41_4 Depth=1
                                        ; =>  This Loop Header: Depth=2
                                        ;       Child Loop BB41_16 Depth 3
	v_add_nc_u32_e32 v1, s14, v11
	s_delay_alu instid0(VALU_DEP_1)
	v_add_nc_u32_e32 v3, s10, v1
	s_and_saveexec_b32 s23, vcc_lo
	s_cbranch_execz .LBB41_14
; %bb.8:                                ;   in Loop: Header=BB41_7 Depth=2
	v_dual_mov_b32 v8, s7 :: v_dual_mov_b32 v7, s6
	s_mov_b32 s24, exec_lo
	v_cmpx_gt_u32_e64 s21, v1
	s_cbranch_execz .LBB41_10
; %bb.9:                                ;   in Loop: Header=BB41_7 Depth=2
	v_lshlrev_b64 v[7:8], 3, v[1:2]
	s_delay_alu instid0(VALU_DEP_1) | instskip(NEXT) | instid1(VALU_DEP_1)
	v_add_co_u32 v7, s4, v18, v7
	v_add_co_ci_u32_e64 v8, s4, v19, v8, s4
	global_load_b64 v[7:8], v[7:8], off
.LBB41_10:                              ;   in Loop: Header=BB41_7 Depth=2
	s_or_b32 exec_lo, exec_lo, s24
	v_dual_mov_b32 v10, s7 :: v_dual_mov_b32 v9, s6
	s_mov_b32 s24, exec_lo
	s_waitcnt vmcnt(0)
	ds_store_b64 v15, v[7:8]
	v_cmpx_gt_u32_e64 s21, v3
	s_cbranch_execz .LBB41_12
; %bb.11:                               ;   in Loop: Header=BB41_7 Depth=2
	v_mov_b32_e32 v4, v2
	s_delay_alu instid0(VALU_DEP_1) | instskip(NEXT) | instid1(VALU_DEP_1)
	v_lshlrev_b64 v[7:8], 3, v[3:4]
	v_add_co_u32 v7, s4, v18, v7
	s_delay_alu instid0(VALU_DEP_1)
	v_add_co_ci_u32_e64 v8, s4, v19, v8, s4
	global_load_b64 v[9:10], v[7:8], off
.LBB41_12:                              ;   in Loop: Header=BB41_7 Depth=2
	s_or_b32 exec_lo, exec_lo, s24
	s_waitcnt vmcnt(0)
	ds_store_b64 v17, v[9:10]
	s_and_b32 exec_lo, exec_lo, s2
	s_cbranch_execz .LBB41_14
; %bb.13:                               ;   in Loop: Header=BB41_7 Depth=2
	ds_load_b64 v[7:8], v13
	s_waitcnt lgkmcnt(0)
	v_add_co_u32 v4, s4, v7, v5
	s_delay_alu instid0(VALU_DEP_1)
	v_add_co_ci_u32_e64 v5, s4, v8, v6, s4
	ds_store_b64 v13, v[4:5]
.LBB41_14:                              ;   in Loop: Header=BB41_7 Depth=2
	s_or_b32 exec_lo, exec_lo, s23
	v_mov_b32_e32 v4, 0
	s_mov_b32 s23, 0
	s_waitcnt lgkmcnt(0)
	s_barrier
	buffer_gl0_inv
	s_set_inst_prefetch_distance 0x1
	s_branch .LBB41_16
	.p2align	6
.LBB41_15:                              ;   in Loop: Header=BB41_16 Depth=3
	s_or_b32 exec_lo, exec_lo, s24
	s_delay_alu instid0(VALU_DEP_1) | instskip(SKIP_4) | instid1(SALU_CYCLE_1)
	v_cmp_eq_u32_e64 s4, s13, v4
	s_waitcnt lgkmcnt(0)
	s_barrier
	buffer_gl0_inv
	s_or_b32 s23, s4, s23
	s_and_not1_b32 exec_lo, exec_lo, s23
	s_cbranch_execz .LBB41_20
.LBB41_16:                              ;   Parent Loop BB41_4 Depth=1
                                        ;     Parent Loop BB41_7 Depth=2
                                        ; =>    This Inner Loop Header: Depth=3
	v_add_nc_u32_e32 v5, 1, v4
	s_and_saveexec_b32 s4, s3
	s_delay_alu instid0(SALU_CYCLE_1)
	s_xor_b32 s4, exec_lo, s4
; %bb.17:                               ;   in Loop: Header=BB41_16 Depth=3
	v_add_nc_u32_e32 v4, 1, v4
                                        ; implicit-def: $vgpr5
; %bb.18:                               ;   in Loop: Header=BB41_16 Depth=3
	s_and_not1_saveexec_b32 s24, s4
	s_cbranch_execz .LBB41_15
; %bb.19:                               ;   in Loop: Header=BB41_16 Depth=3
	s_delay_alu instid0(VALU_DEP_1) | instskip(SKIP_2) | instid1(VALU_DEP_2)
	v_lshlrev_b32_e64 v6, v4, 1
	v_lshrrev_b32_e32 v7, v4, v11
	v_bfm_b32 v4, v4, 0
	v_lshl_or_b32 v6, v7, v5, v6
	s_delay_alu instid0(VALU_DEP_2) | instskip(NEXT) | instid1(VALU_DEP_2)
	v_and_b32_e32 v4, v4, v11
	v_lshlrev_b32_e32 v6, 3, v6
	s_delay_alu instid0(VALU_DEP_2) | instskip(NEXT) | instid1(VALU_DEP_1)
	v_lshlrev_b32_e32 v4, 3, v4
	v_add3_u32 v10, v13, v6, v4
	v_add_nc_u32_e32 v4, v14, v6
	ds_load_b64 v[6:7], v10
	ds_load_b64 v[8:9], v4
	v_mov_b32_e32 v4, v5
	s_waitcnt lgkmcnt(0)
	v_add_co_u32 v6, s4, v8, v6
	s_delay_alu instid0(VALU_DEP_1)
	v_add_co_ci_u32_e64 v7, s4, v9, v7, s4
	ds_store_b64 v10, v[6:7]
	s_branch .LBB41_15
.LBB41_20:                              ;   in Loop: Header=BB41_7 Depth=2
	s_set_inst_prefetch_distance 0x2
	s_or_b32 exec_lo, exec_lo, s23
	s_and_saveexec_b32 s23, vcc_lo
	s_cbranch_execz .LBB41_6
; %bb.21:                               ;   in Loop: Header=BB41_7 Depth=2
	s_mov_b32 s24, exec_lo
	v_cmpx_gt_u32_e64 s21, v1
	s_cbranch_execz .LBB41_23
; %bb.22:                               ;   in Loop: Header=BB41_7 Depth=2
	ds_load_b64 v[4:5], v15
	v_lshlrev_b64 v[6:7], 3, v[1:2]
	s_delay_alu instid0(VALU_DEP_1) | instskip(NEXT) | instid1(VALU_DEP_1)
	v_add_co_u32 v6, s4, v20, v6
	v_add_co_ci_u32_e64 v7, s4, v21, v7, s4
	s_waitcnt lgkmcnt(0)
	global_store_b64 v[6:7], v[4:5], off
.LBB41_23:                              ;   in Loop: Header=BB41_7 Depth=2
	s_or_b32 exec_lo, exec_lo, s24
	v_cmp_gt_u32_e64 s4, s21, v3
	s_delay_alu instid0(VALU_DEP_1)
	s_and_b32 exec_lo, exec_lo, s4
	s_cbranch_execz .LBB41_6
; %bb.24:                               ;   in Loop: Header=BB41_7 Depth=2
	ds_load_b64 v[5:6], v17
	v_mov_b32_e32 v4, v2
	s_delay_alu instid0(VALU_DEP_1) | instskip(NEXT) | instid1(VALU_DEP_1)
	v_lshlrev_b64 v[3:4], 3, v[3:4]
	v_add_co_u32 v3, s4, v20, v3
	s_delay_alu instid0(VALU_DEP_1)
	v_add_co_ci_u32_e64 v4, s4, v21, v4, s4
	s_waitcnt lgkmcnt(0)
	global_store_b64 v[3:4], v[5:6], off
	s_branch .LBB41_6
.LBB41_25:
	s_mov_b32 s2, 0
.LBB41_26:
	s_delay_alu instid0(SALU_CYCLE_1)
	s_and_not1_b32 vcc_lo, exec_lo, s2
	s_cbranch_vccnz .LBB41_53
; %bb.27:
	s_load_b32 s2, s[0:1], 0x3c
	s_add_u32 s0, s0, 48
	s_addc_u32 s1, s1, 0
	s_mov_b32 s9, 0
	s_waitcnt lgkmcnt(0)
	s_lshr_b32 s2, s2, 16
	s_delay_alu instid0(SALU_CYCLE_1) | instskip(SKIP_1) | instid1(SALU_CYCLE_1)
	s_mul_hi_u32 s5, s2, s15
	s_mul_i32 s4, s2, s15
	v_cmp_ge_u64_e64 s3, s[4:5], s[8:9]
	s_delay_alu instid0(VALU_DEP_1)
	s_and_b32 vcc_lo, exec_lo, s3
	s_cbranch_vccnz .LBB41_53
; %bb.28:
	s_load_b32 s1, s[0:1], 0x0
	v_dual_mov_b32 v1, 0 :: v_dual_and_b32 v0, 0x3ff, v0
	s_lshl_b32 s10, 1, s22
	s_and_b32 s2, 0xffff, s2
	s_ashr_i32 s11, s10, 31
	s_cmp_lg_u32 s21, 0
	v_lshl_add_u32 v14, v0, 3, v13
	s_cselect_b32 s3, -1, 0
	s_lshl_b64 s[14:15], s[10:11], 1
	v_cmp_eq_u32_e64 s0, 0, v0
	s_lshl_b32 s13, s14, 3
	v_lshl_add_u32 v16, s10, 3, v14
	v_add3_u32 v15, v13, s13, -8
	s_mov_b32 s12, s21
	s_mov_b32 s13, s9
	s_add_i32 s22, s22, 1
	s_waitcnt lgkmcnt(0)
	s_mul_i32 s23, s1, s2
	s_branch .LBB41_30
.LBB41_29:                              ;   in Loop: Header=BB41_30 Depth=1
	s_add_u32 s4, s4, s23
	s_addc_u32 s5, s5, 0
	s_delay_alu instid0(SALU_CYCLE_1) | instskip(NEXT) | instid1(VALU_DEP_1)
	v_cmp_ge_u64_e64 s1, s[4:5], s[8:9]
	s_and_b32 vcc_lo, exec_lo, s1
	s_cbranch_vccnz .LBB41_53
.LBB41_30:                              ; =>This Loop Header: Depth=1
                                        ;     Child Loop BB41_33 Depth 2
                                        ;       Child Loop BB41_43 Depth 3
	s_and_not1_b32 vcc_lo, exec_lo, s3
	s_cbranch_vccnz .LBB41_29
; %bb.31:                               ;   in Loop: Header=BB41_30 Depth=1
	v_add_co_u32 v2, s1, s4, v12
	s_delay_alu instid0(VALU_DEP_1) | instskip(SKIP_1) | instid1(VALU_DEP_2)
	v_add_co_ci_u32_e64 v3, null, s5, 0, s1
	s_mov_b64 s[20:21], 0
	v_mad_u64_u32 v[4:5], null, v2, s12, 0
	s_delay_alu instid0(VALU_DEP_2) | instskip(SKIP_1) | instid1(VALU_DEP_3)
	v_cmp_gt_u64_e64 s1, s[8:9], v[2:3]
	v_cmp_le_u64_e64 s2, s[8:9], v[2:3]
	v_mad_u64_u32 v[6:7], null, v3, s12, v[5:6]
	s_delay_alu instid0(VALU_DEP_1) | instskip(SKIP_1) | instid1(VALU_DEP_2)
	v_dual_mov_b32 v5, v6 :: v_dual_mov_b32 v6, s6
	v_mov_b32_e32 v7, s7
	v_lshlrev_b64 v[4:5], 3, v[4:5]
	s_delay_alu instid0(VALU_DEP_1) | instskip(NEXT) | instid1(VALU_DEP_2)
	v_add_co_u32 v17, vcc_lo, s18, v4
	v_add_co_ci_u32_e32 v18, vcc_lo, s19, v5, vcc_lo
	v_add_co_u32 v19, vcc_lo, s16, v4
	v_add_co_ci_u32_e32 v20, vcc_lo, s17, v5, vcc_lo
	s_branch .LBB41_33
.LBB41_32:                              ;   in Loop: Header=BB41_33 Depth=2
	s_or_b32 exec_lo, exec_lo, s24
	ds_load_b64 v[6:7], v15
	s_add_u32 s20, s20, s14
	s_addc_u32 s21, s21, s15
	s_waitcnt lgkmcnt(0)
	s_waitcnt_vscnt null, 0x0
	v_cmp_ge_u64_e64 s24, s[20:21], s[12:13]
	s_barrier
	buffer_gl0_inv
	s_and_b32 vcc_lo, exec_lo, s24
	s_cbranch_vccnz .LBB41_29
.LBB41_33:                              ;   Parent Loop BB41_30 Depth=1
                                        ; =>  This Loop Header: Depth=2
                                        ;       Child Loop BB41_43 Depth 3
	v_add_co_u32 v4, s24, s20, v0
	s_delay_alu instid0(VALU_DEP_1) | instskip(NEXT) | instid1(VALU_DEP_2)
	v_add_co_ci_u32_e64 v5, null, s21, 0, s24
	v_add_co_u32 v2, vcc_lo, v4, s10
	s_delay_alu instid0(VALU_DEP_2)
	v_add_co_ci_u32_e32 v3, vcc_lo, s11, v5, vcc_lo
	s_and_saveexec_b32 s24, s1
	s_cbranch_execz .LBB41_40
; %bb.34:                               ;   in Loop: Header=BB41_33 Depth=2
	v_dual_mov_b32 v9, s7 :: v_dual_mov_b32 v8, s6
	s_mov_b32 s25, exec_lo
	v_cmpx_gt_u64_e64 s[12:13], v[4:5]
	s_cbranch_execz .LBB41_36
; %bb.35:                               ;   in Loop: Header=BB41_33 Depth=2
	v_lshlrev_b64 v[8:9], 3, v[4:5]
	s_delay_alu instid0(VALU_DEP_1) | instskip(NEXT) | instid1(VALU_DEP_2)
	v_add_co_u32 v8, vcc_lo, v17, v8
	v_add_co_ci_u32_e32 v9, vcc_lo, v18, v9, vcc_lo
	global_load_b64 v[8:9], v[8:9], off
.LBB41_36:                              ;   in Loop: Header=BB41_33 Depth=2
	s_or_b32 exec_lo, exec_lo, s25
	v_dual_mov_b32 v11, s7 :: v_dual_mov_b32 v10, s6
	s_mov_b32 s25, exec_lo
	s_waitcnt vmcnt(0)
	ds_store_b64 v14, v[8:9]
	v_cmpx_gt_u64_e64 s[12:13], v[2:3]
	s_cbranch_execz .LBB41_38
; %bb.37:                               ;   in Loop: Header=BB41_33 Depth=2
	v_lshlrev_b64 v[8:9], 3, v[2:3]
	s_delay_alu instid0(VALU_DEP_1) | instskip(NEXT) | instid1(VALU_DEP_2)
	v_add_co_u32 v8, vcc_lo, v17, v8
	v_add_co_ci_u32_e32 v9, vcc_lo, v18, v9, vcc_lo
	global_load_b64 v[10:11], v[8:9], off
.LBB41_38:                              ;   in Loop: Header=BB41_33 Depth=2
	s_or_b32 exec_lo, exec_lo, s25
	s_waitcnt vmcnt(0)
	ds_store_b64 v16, v[10:11]
	s_and_b32 exec_lo, exec_lo, s0
	s_cbranch_execz .LBB41_40
; %bb.39:                               ;   in Loop: Header=BB41_33 Depth=2
	ds_load_b64 v[8:9], v13
	s_waitcnt lgkmcnt(0)
	v_add_co_u32 v6, vcc_lo, v8, v6
	v_add_co_ci_u32_e32 v7, vcc_lo, v9, v7, vcc_lo
	ds_store_b64 v13, v[6:7]
.LBB41_40:                              ;   in Loop: Header=BB41_33 Depth=2
	s_or_b32 exec_lo, exec_lo, s24
	v_mov_b32_e32 v10, 0
	s_mov_b32 s24, 0
	s_waitcnt lgkmcnt(0)
	s_barrier
	buffer_gl0_inv
	s_branch .LBB41_43
.LBB41_41:                              ;   in Loop: Header=BB41_43 Depth=3
	s_or_b32 exec_lo, exec_lo, s26
	v_lshrrev_b32_e32 v8, v10, v0
	s_delay_alu instid0(VALU_DEP_1) | instskip(NEXT) | instid1(VALU_DEP_1)
	v_lshl_or_b32 v6, v8, v9, v6
	v_lshl_add_u32 v6, v6, 3, v13
	s_delay_alu instid0(VALU_DEP_1)
	v_lshl_add_u32 v8, v7, 3, v6
	v_add_nc_u32_e32 v10, -8, v6
	ds_load_b64 v[6:7], v8
	ds_load_b64 v[10:11], v10
	s_waitcnt lgkmcnt(0)
	v_add_co_u32 v6, vcc_lo, v10, v6
	v_add_co_ci_u32_e32 v7, vcc_lo, v11, v7, vcc_lo
	ds_store_b64 v8, v[6:7]
.LBB41_42:                              ;   in Loop: Header=BB41_43 Depth=3
	s_or_b32 exec_lo, exec_lo, s25
	s_delay_alu instid0(VALU_DEP_1)
	v_cmp_eq_u32_e32 vcc_lo, s22, v9
	v_mov_b32_e32 v10, v9
	s_waitcnt lgkmcnt(0)
	s_barrier
	buffer_gl0_inv
	s_or_b32 s24, vcc_lo, s24
	s_delay_alu instid0(SALU_CYCLE_1)
	s_and_not1_b32 exec_lo, exec_lo, s24
	s_cbranch_execz .LBB41_48
.LBB41_43:                              ;   Parent Loop BB41_30 Depth=1
                                        ;     Parent Loop BB41_33 Depth=2
                                        ; =>    This Inner Loop Header: Depth=3
	v_add_nc_u32_e32 v9, 1, v10
	s_and_saveexec_b32 s25, s2
	s_delay_alu instid0(SALU_CYCLE_1)
	s_xor_b32 s25, exec_lo, s25
; %bb.44:                               ;   in Loop: Header=BB41_43 Depth=3
	v_add_nc_u32_e32 v9, 1, v10
                                        ; implicit-def: $vgpr10
; %bb.45:                               ;   in Loop: Header=BB41_43 Depth=3
	s_and_not1_saveexec_b32 s25, s25
	s_cbranch_execz .LBB41_42
; %bb.46:                               ;   in Loop: Header=BB41_43 Depth=3
	v_lshlrev_b32_e64 v6, v10, 1
	s_delay_alu instid0(VALU_DEP_1) | instskip(NEXT) | instid1(VALU_DEP_1)
	v_ashrrev_i32_e32 v7, 31, v6
	v_cmp_ge_u64_e32 vcc_lo, v[0:1], v[6:7]
	v_dual_mov_b32 v8, v1 :: v_dual_mov_b32 v7, v0
	s_and_saveexec_b32 s26, vcc_lo
	s_cbranch_execz .LBB41_41
; %bb.47:                               ;   in Loop: Header=BB41_43 Depth=3
	v_cvt_f32_u32_e32 v7, v6
	v_sub_nc_u32_e32 v8, 0, v6
	s_delay_alu instid0(VALU_DEP_2) | instskip(SKIP_2) | instid1(VALU_DEP_1)
	v_rcp_iflag_f32_e32 v7, v7
	s_waitcnt_depctr 0xfff
	v_mul_f32_e32 v7, 0x4f7ffffe, v7
	v_cvt_u32_f32_e32 v7, v7
	s_delay_alu instid0(VALU_DEP_1) | instskip(NEXT) | instid1(VALU_DEP_1)
	v_mul_lo_u32 v8, v8, v7
	v_mul_hi_u32 v8, v7, v8
	s_delay_alu instid0(VALU_DEP_1) | instskip(NEXT) | instid1(VALU_DEP_1)
	v_add_nc_u32_e32 v7, v7, v8
	v_mul_hi_u32 v7, v0, v7
	s_delay_alu instid0(VALU_DEP_1) | instskip(NEXT) | instid1(VALU_DEP_1)
	v_mul_lo_u32 v7, v7, v6
	v_sub_nc_u32_e32 v7, v0, v7
	s_delay_alu instid0(VALU_DEP_1) | instskip(SKIP_1) | instid1(VALU_DEP_2)
	v_sub_nc_u32_e32 v8, v7, v6
	v_cmp_ge_u32_e32 vcc_lo, v7, v6
	v_cndmask_b32_e32 v7, v7, v8, vcc_lo
	s_delay_alu instid0(VALU_DEP_1) | instskip(SKIP_1) | instid1(VALU_DEP_2)
	v_sub_nc_u32_e32 v8, v7, v6
	v_cmp_ge_u32_e32 vcc_lo, v7, v6
	v_cndmask_b32_e32 v7, v7, v8, vcc_lo
	s_branch .LBB41_41
.LBB41_48:                              ;   in Loop: Header=BB41_33 Depth=2
	s_or_b32 exec_lo, exec_lo, s24
	s_and_saveexec_b32 s24, s1
	s_cbranch_execz .LBB41_32
; %bb.49:                               ;   in Loop: Header=BB41_33 Depth=2
	s_mov_b32 s25, exec_lo
	v_cmpx_gt_u64_e64 s[12:13], v[4:5]
	s_cbranch_execz .LBB41_51
; %bb.50:                               ;   in Loop: Header=BB41_33 Depth=2
	ds_load_b64 v[6:7], v14
	v_lshlrev_b64 v[4:5], 3, v[4:5]
	s_delay_alu instid0(VALU_DEP_1) | instskip(NEXT) | instid1(VALU_DEP_2)
	v_add_co_u32 v4, vcc_lo, v19, v4
	v_add_co_ci_u32_e32 v5, vcc_lo, v20, v5, vcc_lo
	s_waitcnt lgkmcnt(0)
	global_store_b64 v[4:5], v[6:7], off
.LBB41_51:                              ;   in Loop: Header=BB41_33 Depth=2
	s_or_b32 exec_lo, exec_lo, s25
	v_cmp_gt_u64_e32 vcc_lo, s[12:13], v[2:3]
	s_and_b32 exec_lo, exec_lo, vcc_lo
	s_cbranch_execz .LBB41_32
; %bb.52:                               ;   in Loop: Header=BB41_33 Depth=2
	ds_load_b64 v[4:5], v16
	v_lshlrev_b64 v[2:3], 3, v[2:3]
	s_delay_alu instid0(VALU_DEP_1) | instskip(NEXT) | instid1(VALU_DEP_2)
	v_add_co_u32 v2, vcc_lo, v19, v2
	v_add_co_ci_u32_e32 v3, vcc_lo, v20, v3, vcc_lo
	s_waitcnt lgkmcnt(0)
	global_store_b64 v[2:3], v[4:5], off
	s_branch .LBB41_32
.LBB41_53:
	s_endpgm
	.section	.rodata,"a",@progbits
	.p2align	6, 0x0
	.amdhsa_kernel _ZN2at6native32tensor_kernel_scan_innermost_dimIlSt4plusIlEEEvPT_PKS4_jjjS4_T0_
		.amdhsa_group_segment_fixed_size 0
		.amdhsa_private_segment_fixed_size 0
		.amdhsa_kernarg_size 304
		.amdhsa_user_sgpr_count 15
		.amdhsa_user_sgpr_dispatch_ptr 0
		.amdhsa_user_sgpr_queue_ptr 0
		.amdhsa_user_sgpr_kernarg_segment_ptr 1
		.amdhsa_user_sgpr_dispatch_id 0
		.amdhsa_user_sgpr_private_segment_size 0
		.amdhsa_wavefront_size32 1
		.amdhsa_uses_dynamic_stack 0
		.amdhsa_enable_private_segment 0
		.amdhsa_system_sgpr_workgroup_id_x 1
		.amdhsa_system_sgpr_workgroup_id_y 0
		.amdhsa_system_sgpr_workgroup_id_z 0
		.amdhsa_system_sgpr_workgroup_info 0
		.amdhsa_system_vgpr_workitem_id 1
		.amdhsa_next_free_vgpr 22
		.amdhsa_next_free_sgpr 27
		.amdhsa_reserve_vcc 1
		.amdhsa_float_round_mode_32 0
		.amdhsa_float_round_mode_16_64 0
		.amdhsa_float_denorm_mode_32 3
		.amdhsa_float_denorm_mode_16_64 3
		.amdhsa_dx10_clamp 1
		.amdhsa_ieee_mode 1
		.amdhsa_fp16_overflow 0
		.amdhsa_workgroup_processor_mode 1
		.amdhsa_memory_ordered 1
		.amdhsa_forward_progress 0
		.amdhsa_shared_vgpr_count 0
		.amdhsa_exception_fp_ieee_invalid_op 0
		.amdhsa_exception_fp_denorm_src 0
		.amdhsa_exception_fp_ieee_div_zero 0
		.amdhsa_exception_fp_ieee_overflow 0
		.amdhsa_exception_fp_ieee_underflow 0
		.amdhsa_exception_fp_ieee_inexact 0
		.amdhsa_exception_int_div_zero 0
	.end_amdhsa_kernel
	.section	.text._ZN2at6native32tensor_kernel_scan_innermost_dimIlSt4plusIlEEEvPT_PKS4_jjjS4_T0_,"axG",@progbits,_ZN2at6native32tensor_kernel_scan_innermost_dimIlSt4plusIlEEEvPT_PKS4_jjjS4_T0_,comdat
.Lfunc_end41:
	.size	_ZN2at6native32tensor_kernel_scan_innermost_dimIlSt4plusIlEEEvPT_PKS4_jjjS4_T0_, .Lfunc_end41-_ZN2at6native32tensor_kernel_scan_innermost_dimIlSt4plusIlEEEvPT_PKS4_jjjS4_T0_
                                        ; -- End function
	.section	.AMDGPU.csdata,"",@progbits
; Kernel info:
; codeLenInByte = 2092
; NumSgprs: 29
; NumVgprs: 22
; ScratchSize: 0
; MemoryBound: 0
; FloatMode: 240
; IeeeMode: 1
; LDSByteSize: 0 bytes/workgroup (compile time only)
; SGPRBlocks: 3
; VGPRBlocks: 2
; NumSGPRsForWavesPerEU: 29
; NumVGPRsForWavesPerEU: 22
; Occupancy: 16
; WaveLimiterHint : 0
; COMPUTE_PGM_RSRC2:SCRATCH_EN: 0
; COMPUTE_PGM_RSRC2:USER_SGPR: 15
; COMPUTE_PGM_RSRC2:TRAP_HANDLER: 0
; COMPUTE_PGM_RSRC2:TGID_X_EN: 1
; COMPUTE_PGM_RSRC2:TGID_Y_EN: 0
; COMPUTE_PGM_RSRC2:TGID_Z_EN: 0
; COMPUTE_PGM_RSRC2:TIDIG_COMP_CNT: 1
	.section	.text._ZN2at6native28tensor_kernel_scan_outer_dimIljSt4plusIlEEEvPT_PKS4_jjjS4_T1_,"axG",@progbits,_ZN2at6native28tensor_kernel_scan_outer_dimIljSt4plusIlEEEvPT_PKS4_jjjS4_T1_,comdat
	.protected	_ZN2at6native28tensor_kernel_scan_outer_dimIljSt4plusIlEEEvPT_PKS4_jjjS4_T1_ ; -- Begin function _ZN2at6native28tensor_kernel_scan_outer_dimIljSt4plusIlEEEvPT_PKS4_jjjS4_T1_
	.globl	_ZN2at6native28tensor_kernel_scan_outer_dimIljSt4plusIlEEEvPT_PKS4_jjjS4_T1_
	.p2align	8
	.type	_ZN2at6native28tensor_kernel_scan_outer_dimIljSt4plusIlEEEvPT_PKS4_jjjS4_T1_,@function
_ZN2at6native28tensor_kernel_scan_outer_dimIljSt4plusIlEEEvPT_PKS4_jjjS4_T1_: ; @_ZN2at6native28tensor_kernel_scan_outer_dimIljSt4plusIlEEEvPT_PKS4_jjjS4_T1_
; %bb.0:
	s_load_b128 s[4:7], s[0:1], 0x10
	s_waitcnt lgkmcnt(0)
	s_cmp_ge_u32 s14, s4
	s_cbranch_scc1 .LBB42_9
; %bb.1:
	s_clause 0x3
	s_load_b32 s16, s[0:1], 0x3c
	s_load_b32 s7, s[0:1], 0x30
	s_load_b128 s[8:11], s[0:1], 0x0
	s_load_b64 s[2:3], s[0:1], 0x20
	s_add_u32 s12, s0, 48
	s_addc_u32 s13, s1, 0
	s_mul_i32 s0, s14, s6
	v_mov_b32_e32 v3, 0
	s_mul_i32 s1, s0, s5
	s_mov_b32 s17, 0
	s_waitcnt lgkmcnt(0)
	s_and_b32 s22, s16, 0xffff
	s_mov_b32 s16, s5
	v_mad_u64_u32 v[1:2], null, s15, s22, v[0:1]
	s_cmp_lg_u32 s6, 0
	s_mul_i32 s23, s7, s6
	s_cselect_b32 s15, -1, 0
	s_mul_i32 s23, s23, s5
	s_lshl_b64 s[18:19], s[16:17], 3
	s_mov_b32 s16, s1
	s_delay_alu instid0(VALU_DEP_1)
	v_cmp_gt_u32_e64 s0, s5, v1
	s_branch .LBB42_3
.LBB42_2:                               ;   in Loop: Header=BB42_3 Depth=1
	s_set_inst_prefetch_distance 0x2
	s_or_b32 exec_lo, exec_lo, s24
	s_add_i32 s14, s7, s14
	s_add_i32 s16, s16, s23
	s_cmp_ge_u32 s14, s4
	s_cbranch_scc1 .LBB42_9
.LBB42_3:                               ; =>This Loop Header: Depth=1
                                        ;     Child Loop BB42_6 Depth 2
                                        ;       Child Loop BB42_8 Depth 3
	s_delay_alu instid0(VALU_DEP_1)
	s_and_saveexec_b32 s24, s0
	s_cbranch_execz .LBB42_2
; %bb.4:                                ;   in Loop: Header=BB42_3 Depth=1
	s_load_b32 s25, s[12:13], 0x4
	v_mov_b32_e32 v2, v1
	s_lshl_b64 s[20:21], s[16:17], 3
	s_mov_b32 s26, 0
	s_waitcnt lgkmcnt(0)
	s_mul_i32 s25, s25, s22
	s_set_inst_prefetch_distance 0x1
	s_branch .LBB42_6
	.p2align	6
.LBB42_5:                               ;   in Loop: Header=BB42_6 Depth=2
	v_add_nc_u32_e32 v2, s25, v2
	s_delay_alu instid0(VALU_DEP_1) | instskip(SKIP_1) | instid1(SALU_CYCLE_1)
	v_cmp_le_u32_e32 vcc_lo, s5, v2
	s_or_b32 s26, vcc_lo, s26
	s_and_not1_b32 exec_lo, exec_lo, s26
	s_cbranch_execz .LBB42_2
.LBB42_6:                               ;   Parent Loop BB42_3 Depth=1
                                        ; =>  This Loop Header: Depth=2
                                        ;       Child Loop BB42_8 Depth 3
	s_and_not1_b32 vcc_lo, exec_lo, s15
	s_cbranch_vccnz .LBB42_5
; %bb.7:                                ;   in Loop: Header=BB42_6 Depth=2
	v_lshlrev_b64 v[4:5], 3, v[2:3]
	s_mov_b32 s27, s6
	s_delay_alu instid0(VALU_DEP_1) | instskip(NEXT) | instid1(VALU_DEP_2)
	v_add_co_u32 v0, vcc_lo, s20, v4
	v_add_co_ci_u32_e32 v6, vcc_lo, s21, v5, vcc_lo
	v_dual_mov_b32 v5, s3 :: v_dual_mov_b32 v4, s2
	.p2align	6
.LBB42_8:                               ;   Parent Loop BB42_3 Depth=1
                                        ;     Parent Loop BB42_6 Depth=2
                                        ; =>    This Inner Loop Header: Depth=3
	s_delay_alu instid0(VALU_DEP_3) | instskip(NEXT) | instid1(VALU_DEP_3)
	v_add_co_u32 v7, vcc_lo, s10, v0
	v_add_co_ci_u32_e32 v8, vcc_lo, s11, v6, vcc_lo
	v_add_co_u32 v9, vcc_lo, s8, v0
	v_add_co_ci_u32_e32 v10, vcc_lo, s9, v6, vcc_lo
	global_load_b64 v[7:8], v[7:8], off
	v_add_co_u32 v0, vcc_lo, v0, s18
	v_add_co_ci_u32_e32 v6, vcc_lo, s19, v6, vcc_lo
	s_add_i32 s27, s27, -1
	s_delay_alu instid0(SALU_CYCLE_1) | instskip(SKIP_2) | instid1(VALU_DEP_1)
	s_cmp_eq_u32 s27, 0
	s_waitcnt vmcnt(0)
	v_add_co_u32 v4, s1, v7, v4
	v_add_co_ci_u32_e64 v5, s1, v8, v5, s1
	global_store_b64 v[9:10], v[4:5], off
	s_cbranch_scc0 .LBB42_8
	s_branch .LBB42_5
.LBB42_9:
	s_nop 0
	s_sendmsg sendmsg(MSG_DEALLOC_VGPRS)
	s_endpgm
	.section	.rodata,"a",@progbits
	.p2align	6, 0x0
	.amdhsa_kernel _ZN2at6native28tensor_kernel_scan_outer_dimIljSt4plusIlEEEvPT_PKS4_jjjS4_T1_
		.amdhsa_group_segment_fixed_size 0
		.amdhsa_private_segment_fixed_size 0
		.amdhsa_kernarg_size 304
		.amdhsa_user_sgpr_count 14
		.amdhsa_user_sgpr_dispatch_ptr 0
		.amdhsa_user_sgpr_queue_ptr 0
		.amdhsa_user_sgpr_kernarg_segment_ptr 1
		.amdhsa_user_sgpr_dispatch_id 0
		.amdhsa_user_sgpr_private_segment_size 0
		.amdhsa_wavefront_size32 1
		.amdhsa_uses_dynamic_stack 0
		.amdhsa_enable_private_segment 0
		.amdhsa_system_sgpr_workgroup_id_x 1
		.amdhsa_system_sgpr_workgroup_id_y 1
		.amdhsa_system_sgpr_workgroup_id_z 0
		.amdhsa_system_sgpr_workgroup_info 0
		.amdhsa_system_vgpr_workitem_id 0
		.amdhsa_next_free_vgpr 11
		.amdhsa_next_free_sgpr 28
		.amdhsa_reserve_vcc 1
		.amdhsa_float_round_mode_32 0
		.amdhsa_float_round_mode_16_64 0
		.amdhsa_float_denorm_mode_32 3
		.amdhsa_float_denorm_mode_16_64 3
		.amdhsa_dx10_clamp 1
		.amdhsa_ieee_mode 1
		.amdhsa_fp16_overflow 0
		.amdhsa_workgroup_processor_mode 1
		.amdhsa_memory_ordered 1
		.amdhsa_forward_progress 0
		.amdhsa_shared_vgpr_count 0
		.amdhsa_exception_fp_ieee_invalid_op 0
		.amdhsa_exception_fp_denorm_src 0
		.amdhsa_exception_fp_ieee_div_zero 0
		.amdhsa_exception_fp_ieee_overflow 0
		.amdhsa_exception_fp_ieee_underflow 0
		.amdhsa_exception_fp_ieee_inexact 0
		.amdhsa_exception_int_div_zero 0
	.end_amdhsa_kernel
	.section	.text._ZN2at6native28tensor_kernel_scan_outer_dimIljSt4plusIlEEEvPT_PKS4_jjjS4_T1_,"axG",@progbits,_ZN2at6native28tensor_kernel_scan_outer_dimIljSt4plusIlEEEvPT_PKS4_jjjS4_T1_,comdat
.Lfunc_end42:
	.size	_ZN2at6native28tensor_kernel_scan_outer_dimIljSt4plusIlEEEvPT_PKS4_jjjS4_T1_, .Lfunc_end42-_ZN2at6native28tensor_kernel_scan_outer_dimIljSt4plusIlEEEvPT_PKS4_jjjS4_T1_
                                        ; -- End function
	.section	.AMDGPU.csdata,"",@progbits
; Kernel info:
; codeLenInByte = 392
; NumSgprs: 30
; NumVgprs: 11
; ScratchSize: 0
; MemoryBound: 0
; FloatMode: 240
; IeeeMode: 1
; LDSByteSize: 0 bytes/workgroup (compile time only)
; SGPRBlocks: 3
; VGPRBlocks: 1
; NumSGPRsForWavesPerEU: 30
; NumVGPRsForWavesPerEU: 11
; Occupancy: 16
; WaveLimiterHint : 0
; COMPUTE_PGM_RSRC2:SCRATCH_EN: 0
; COMPUTE_PGM_RSRC2:USER_SGPR: 14
; COMPUTE_PGM_RSRC2:TRAP_HANDLER: 0
; COMPUTE_PGM_RSRC2:TGID_X_EN: 1
; COMPUTE_PGM_RSRC2:TGID_Y_EN: 1
; COMPUTE_PGM_RSRC2:TGID_Z_EN: 0
; COMPUTE_PGM_RSRC2:TIDIG_COMP_CNT: 0
	.section	.text._ZN2at6native28tensor_kernel_scan_outer_dimIlmSt4plusIlEEEvPT_PKS4_jjjS4_T1_,"axG",@progbits,_ZN2at6native28tensor_kernel_scan_outer_dimIlmSt4plusIlEEEvPT_PKS4_jjjS4_T1_,comdat
	.protected	_ZN2at6native28tensor_kernel_scan_outer_dimIlmSt4plusIlEEEvPT_PKS4_jjjS4_T1_ ; -- Begin function _ZN2at6native28tensor_kernel_scan_outer_dimIlmSt4plusIlEEEvPT_PKS4_jjjS4_T1_
	.globl	_ZN2at6native28tensor_kernel_scan_outer_dimIlmSt4plusIlEEEvPT_PKS4_jjjS4_T1_
	.p2align	8
	.type	_ZN2at6native28tensor_kernel_scan_outer_dimIlmSt4plusIlEEEvPT_PKS4_jjjS4_T1_,@function
_ZN2at6native28tensor_kernel_scan_outer_dimIlmSt4plusIlEEEvPT_PKS4_jjjS4_T1_: ; @_ZN2at6native28tensor_kernel_scan_outer_dimIlmSt4plusIlEEEvPT_PKS4_jjjS4_T1_
; %bb.0:
	s_load_b128 s[4:7], s[0:1], 0x10
	s_waitcnt lgkmcnt(0)
	s_cmp_ge_u32 s14, s4
	s_cbranch_scc1 .LBB43_9
; %bb.1:
	s_clause 0x3
	s_load_b32 s16, s[0:1], 0x3c
	s_load_b32 s7, s[0:1], 0x30
	s_load_b128 s[8:11], s[0:1], 0x0
	s_load_b64 s[2:3], s[0:1], 0x20
	s_add_u32 s12, s0, 48
	s_addc_u32 s13, s1, 0
	v_mov_b32_e32 v3, 0
	s_mov_b32 s19, 0
	s_mul_hi_u32 s17, s6, s5
	s_mov_b32 s18, s5
	s_waitcnt lgkmcnt(0)
	s_and_b32 s20, s16, 0xffff
	s_cmp_lg_u32 s6, 0
	v_mad_u64_u32 v[1:2], null, s15, s20, v[0:1]
	s_mul_i32 s16, s6, s5
	s_cselect_b32 s15, -1, 0
	s_lshl_b64 s[16:17], s[16:17], 3
	s_lshl_b64 s[18:19], s[18:19], 3
	s_delay_alu instid0(VALU_DEP_1)
	v_cmp_gt_u32_e64 s0, s5, v1
	s_branch .LBB43_3
.LBB43_2:                               ;   in Loop: Header=BB43_3 Depth=1
	s_set_inst_prefetch_distance 0x2
	s_or_b32 exec_lo, exec_lo, s21
	s_add_i32 s14, s14, s7
	s_delay_alu instid0(SALU_CYCLE_1)
	s_cmp_ge_u32 s14, s4
	s_cbranch_scc1 .LBB43_9
.LBB43_3:                               ; =>This Loop Header: Depth=1
                                        ;     Child Loop BB43_6 Depth 2
                                        ;       Child Loop BB43_8 Depth 3
	s_delay_alu instid0(VALU_DEP_1)
	s_and_saveexec_b32 s21, s0
	s_cbranch_execz .LBB43_2
; %bb.4:                                ;   in Loop: Header=BB43_3 Depth=1
	s_load_b32 s24, s[12:13], 0x4
	v_mov_b32_e32 v2, v1
	s_mul_i32 s1, s17, s14
	s_mul_hi_u32 s23, s16, s14
	s_mul_i32 s22, s16, s14
	s_add_i32 s23, s23, s1
	s_mov_b32 s25, 0
	s_waitcnt lgkmcnt(0)
	s_mul_i32 s24, s24, s20
	s_set_inst_prefetch_distance 0x1
	s_branch .LBB43_6
	.p2align	6
.LBB43_5:                               ;   in Loop: Header=BB43_6 Depth=2
	v_add_nc_u32_e32 v2, s24, v2
	s_delay_alu instid0(VALU_DEP_1) | instskip(SKIP_1) | instid1(SALU_CYCLE_1)
	v_cmp_le_u32_e32 vcc_lo, s5, v2
	s_or_b32 s25, vcc_lo, s25
	s_and_not1_b32 exec_lo, exec_lo, s25
	s_cbranch_execz .LBB43_2
.LBB43_6:                               ;   Parent Loop BB43_3 Depth=1
                                        ; =>  This Loop Header: Depth=2
                                        ;       Child Loop BB43_8 Depth 3
	s_and_not1_b32 vcc_lo, exec_lo, s15
	s_cbranch_vccnz .LBB43_5
; %bb.7:                                ;   in Loop: Header=BB43_6 Depth=2
	v_lshlrev_b64 v[4:5], 3, v[2:3]
	s_mov_b32 s26, s6
	s_delay_alu instid0(VALU_DEP_1) | instskip(NEXT) | instid1(VALU_DEP_2)
	v_add_co_u32 v0, vcc_lo, s22, v4
	v_add_co_ci_u32_e32 v6, vcc_lo, s23, v5, vcc_lo
	v_dual_mov_b32 v5, s3 :: v_dual_mov_b32 v4, s2
	.p2align	6
.LBB43_8:                               ;   Parent Loop BB43_3 Depth=1
                                        ;     Parent Loop BB43_6 Depth=2
                                        ; =>    This Inner Loop Header: Depth=3
	s_delay_alu instid0(VALU_DEP_3) | instskip(NEXT) | instid1(VALU_DEP_3)
	v_add_co_u32 v7, vcc_lo, s10, v0
	v_add_co_ci_u32_e32 v8, vcc_lo, s11, v6, vcc_lo
	v_add_co_u32 v9, vcc_lo, s8, v0
	v_add_co_ci_u32_e32 v10, vcc_lo, s9, v6, vcc_lo
	global_load_b64 v[7:8], v[7:8], off
	v_add_co_u32 v0, vcc_lo, v0, s18
	v_add_co_ci_u32_e32 v6, vcc_lo, s19, v6, vcc_lo
	s_add_i32 s26, s26, -1
	s_delay_alu instid0(SALU_CYCLE_1) | instskip(SKIP_2) | instid1(VALU_DEP_1)
	s_cmp_eq_u32 s26, 0
	s_waitcnt vmcnt(0)
	v_add_co_u32 v4, s1, v7, v4
	v_add_co_ci_u32_e64 v5, s1, v8, v5, s1
	global_store_b64 v[9:10], v[4:5], off
	s_cbranch_scc0 .LBB43_8
	s_branch .LBB43_5
.LBB43_9:
	s_nop 0
	s_sendmsg sendmsg(MSG_DEALLOC_VGPRS)
	s_endpgm
	.section	.rodata,"a",@progbits
	.p2align	6, 0x0
	.amdhsa_kernel _ZN2at6native28tensor_kernel_scan_outer_dimIlmSt4plusIlEEEvPT_PKS4_jjjS4_T1_
		.amdhsa_group_segment_fixed_size 0
		.amdhsa_private_segment_fixed_size 0
		.amdhsa_kernarg_size 304
		.amdhsa_user_sgpr_count 14
		.amdhsa_user_sgpr_dispatch_ptr 0
		.amdhsa_user_sgpr_queue_ptr 0
		.amdhsa_user_sgpr_kernarg_segment_ptr 1
		.amdhsa_user_sgpr_dispatch_id 0
		.amdhsa_user_sgpr_private_segment_size 0
		.amdhsa_wavefront_size32 1
		.amdhsa_uses_dynamic_stack 0
		.amdhsa_enable_private_segment 0
		.amdhsa_system_sgpr_workgroup_id_x 1
		.amdhsa_system_sgpr_workgroup_id_y 1
		.amdhsa_system_sgpr_workgroup_id_z 0
		.amdhsa_system_sgpr_workgroup_info 0
		.amdhsa_system_vgpr_workitem_id 0
		.amdhsa_next_free_vgpr 11
		.amdhsa_next_free_sgpr 27
		.amdhsa_reserve_vcc 1
		.amdhsa_float_round_mode_32 0
		.amdhsa_float_round_mode_16_64 0
		.amdhsa_float_denorm_mode_32 3
		.amdhsa_float_denorm_mode_16_64 3
		.amdhsa_dx10_clamp 1
		.amdhsa_ieee_mode 1
		.amdhsa_fp16_overflow 0
		.amdhsa_workgroup_processor_mode 1
		.amdhsa_memory_ordered 1
		.amdhsa_forward_progress 0
		.amdhsa_shared_vgpr_count 0
		.amdhsa_exception_fp_ieee_invalid_op 0
		.amdhsa_exception_fp_denorm_src 0
		.amdhsa_exception_fp_ieee_div_zero 0
		.amdhsa_exception_fp_ieee_overflow 0
		.amdhsa_exception_fp_ieee_underflow 0
		.amdhsa_exception_fp_ieee_inexact 0
		.amdhsa_exception_int_div_zero 0
	.end_amdhsa_kernel
	.section	.text._ZN2at6native28tensor_kernel_scan_outer_dimIlmSt4plusIlEEEvPT_PKS4_jjjS4_T1_,"axG",@progbits,_ZN2at6native28tensor_kernel_scan_outer_dimIlmSt4plusIlEEEvPT_PKS4_jjjS4_T1_,comdat
.Lfunc_end43:
	.size	_ZN2at6native28tensor_kernel_scan_outer_dimIlmSt4plusIlEEEvPT_PKS4_jjjS4_T1_, .Lfunc_end43-_ZN2at6native28tensor_kernel_scan_outer_dimIlmSt4plusIlEEEvPT_PKS4_jjjS4_T1_
                                        ; -- End function
	.section	.AMDGPU.csdata,"",@progbits
; Kernel info:
; codeLenInByte = 396
; NumSgprs: 29
; NumVgprs: 11
; ScratchSize: 0
; MemoryBound: 0
; FloatMode: 240
; IeeeMode: 1
; LDSByteSize: 0 bytes/workgroup (compile time only)
; SGPRBlocks: 3
; VGPRBlocks: 1
; NumSGPRsForWavesPerEU: 29
; NumVGPRsForWavesPerEU: 11
; Occupancy: 16
; WaveLimiterHint : 0
; COMPUTE_PGM_RSRC2:SCRATCH_EN: 0
; COMPUTE_PGM_RSRC2:USER_SGPR: 14
; COMPUTE_PGM_RSRC2:TRAP_HANDLER: 0
; COMPUTE_PGM_RSRC2:TGID_X_EN: 1
; COMPUTE_PGM_RSRC2:TGID_Y_EN: 1
; COMPUTE_PGM_RSRC2:TGID_Z_EN: 0
; COMPUTE_PGM_RSRC2:TIDIG_COMP_CNT: 0
	.section	.text._ZN2at4cuda3cub15calc_block_sumsILi512ELi16ELb0EssEEvPKT2_PT3_li,"axG",@progbits,_ZN2at4cuda3cub15calc_block_sumsILi512ELi16ELb0EssEEvPKT2_PT3_li,comdat
	.protected	_ZN2at4cuda3cub15calc_block_sumsILi512ELi16ELb0EssEEvPKT2_PT3_li ; -- Begin function _ZN2at4cuda3cub15calc_block_sumsILi512ELi16ELb0EssEEvPKT2_PT3_li
	.globl	_ZN2at4cuda3cub15calc_block_sumsILi512ELi16ELb0EssEEvPKT2_PT3_li
	.p2align	8
	.type	_ZN2at4cuda3cub15calc_block_sumsILi512ELi16ELb0EssEEvPKT2_PT3_li,@function
_ZN2at4cuda3cub15calc_block_sumsILi512ELi16ELb0EssEEvPKT2_PT3_li: ; @_ZN2at4cuda3cub15calc_block_sumsILi512ELi16ELb0EssEEvPKT2_PT3_li
; %bb.0:
	s_clause 0x1
	s_load_b32 s18, s[0:1], 0x18
	s_load_b64 s[4:5], s[0:1], 0x10
	s_waitcnt lgkmcnt(0)
	s_lshl_b32 s3, s18, 13
	s_delay_alu instid0(SALU_CYCLE_1)
	s_ashr_i32 s6, s3, 31
	s_mul_hi_u32 s8, s3, s15
	s_mul_i32 s7, s6, s15
	s_mul_i32 s6, s3, s15
	s_add_i32 s7, s8, s7
	s_sub_u32 s16, s4, s6
	s_subb_u32 s17, s5, s7
	s_delay_alu instid0(SALU_CYCLE_1) | instskip(NEXT) | instid1(VALU_DEP_1)
	v_cmp_lt_i64_e64 s3, s[16:17], 1
	s_and_b32 vcc_lo, exec_lo, s3
	s_cbranch_vccnz .LBB44_54
; %bb.1:
	s_mov_b32 s2, s15
	s_load_b128 s[12:15], s[0:1], 0x0
	s_cmp_gt_i32 s18, 0
	s_mov_b32 s3, 0
	s_cbranch_scc1 .LBB44_3
; %bb.2:
	s_mov_b32 s0, 0
	s_mov_b32 s1, s3
	v_mov_b32_e32 v21, s0
	s_and_not1_b32 vcc_lo, exec_lo, s1
	s_mov_b32 s19, s3
	s_cbranch_vccz .LBB44_4
	s_branch .LBB44_52
.LBB44_3:
                                        ; implicit-def: $sgpr0
	v_mov_b32_e32 v21, s0
	s_mov_b32 s19, s3
.LBB44_4:
	v_lshrrev_b32_e32 v1, 4, v0
	s_mul_i32 s0, s2, s18
	v_dual_mov_b32 v2, 0 :: v_dual_add_nc_u32 v13, 0x200, v0
	s_lshl_b32 s1, s0, 13
	s_delay_alu instid0(VALU_DEP_2)
	v_and_b32_e32 v29, 62, v1
	v_lshlrev_b32_e32 v1, 1, v0
	s_sub_i32 s1, s4, s1
	s_lshl_b64 s[4:5], s[6:7], 1
	v_or_b32_e32 v14, 0x400, v0
	s_waitcnt lgkmcnt(0)
	s_add_u32 s4, s12, s4
	s_addc_u32 s5, s13, s5
	v_add_co_u32 v11, s4, s4, v1
	v_add_nc_u32_e32 v15, 0x600, v0
	v_or_b32_e32 v16, 0x800, v0
	v_add_nc_u32_e32 v17, 0xa00, v0
	v_or_b32_e32 v18, 0xc00, v0
	;; [unrolled: 2-line block ×3, first 2 shown]
	v_dual_mov_b32 v21, 0 :: v_dual_add_nc_u32 v22, 0x1200, v0
	v_or_b32_e32 v23, 0x1400, v0
	v_add_nc_u32_e32 v24, 0x1600, v0
	v_or_b32_e32 v25, 0x1800, v0
	v_add_nc_u32_e32 v26, 0x1a00, v0
	;; [unrolled: 2-line block ×3, first 2 shown]
	v_cmp_gt_u32_e64 s0, 32, v0
	v_add_co_ci_u32_e64 v12, null, s5, 0, s4
	v_mbcnt_lo_u32_b32 v30, -1, 0
	s_mov_b32 s4, 0
	s_mov_b32 s19, -1
	s_mov_b32 s12, 0
	s_branch .LBB44_6
.LBB44_5:                               ;   in Loop: Header=BB44_6 Depth=1
	s_add_u32 s16, s16, 0xffffe000
	s_addc_u32 s17, s17, -1
	s_add_i32 s12, s12, 1
	v_add_co_u32 v11, vcc_lo, 0x4000, v11
	s_cmp_lt_i32 s12, s18
	v_add_co_ci_u32_e32 v12, vcc_lo, 0, v12, vcc_lo
	s_cselect_b32 s19, -1, 0
	s_addk_i32 s1, 0xe000
	s_cmp_eq_u32 s18, s12
	s_cselect_b32 s5, -1, 0
	s_barrier
	buffer_gl0_inv
	s_and_not1_b32 vcc_lo, exec_lo, s5
	s_cbranch_vccz .LBB44_52
.LBB44_6:                               ; =>This Inner Loop Header: Depth=1
	v_cmp_gt_i64_e64 s5, 0x2000, s[16:17]
                                        ; implicit-def: $vgpr1
	s_delay_alu instid0(VALU_DEP_1)
	s_and_b32 vcc_lo, exec_lo, s5
	s_mov_b32 s5, -1
	s_cbranch_vccnz .LBB44_9
; %bb.7:                                ;   in Loop: Header=BB44_6 Depth=1
	s_and_b32 vcc_lo, exec_lo, s5
	s_cbranch_vccnz .LBB44_31
.LBB44_8:                               ;   in Loop: Header=BB44_6 Depth=1
	v_cmp_gt_i64_e64 s5, 0x2001, s[16:17]
	s_delay_alu instid0(VALU_DEP_2) | instskip(NEXT) | instid1(VALU_DEP_2)
	v_add_nc_u16 v21, v1, v21
	s_and_b32 vcc_lo, exec_lo, s5
	s_cbranch_vccz .LBB44_5
	s_branch .LBB44_36
.LBB44_9:                               ;   in Loop: Header=BB44_6 Depth=1
	s_mov_b32 s5, s4
	s_mov_b32 s6, s4
	;; [unrolled: 1-line block ×7, first 2 shown]
	v_dual_mov_b32 v3, s4 :: v_dual_mov_b32 v4, s5
	v_dual_mov_b32 v5, s6 :: v_dual_mov_b32 v6, s7
	;; [unrolled: 1-line block ×4, first 2 shown]
	s_mov_b32 s5, exec_lo
	v_cmpx_gt_u32_e64 s1, v0
	s_cbranch_execnz .LBB44_37
; %bb.10:                               ;   in Loop: Header=BB44_6 Depth=1
	s_or_b32 exec_lo, exec_lo, s5
	s_delay_alu instid0(SALU_CYCLE_1)
	s_mov_b32 s5, exec_lo
	v_cmpx_gt_u32_e64 s1, v13
	s_cbranch_execnz .LBB44_38
.LBB44_11:                              ;   in Loop: Header=BB44_6 Depth=1
	s_or_b32 exec_lo, exec_lo, s5
	s_delay_alu instid0(SALU_CYCLE_1)
	s_mov_b32 s5, exec_lo
	v_cmpx_gt_u32_e64 s1, v14
	s_cbranch_execnz .LBB44_39
.LBB44_12:                              ;   in Loop: Header=BB44_6 Depth=1
	s_or_b32 exec_lo, exec_lo, s5
	s_delay_alu instid0(SALU_CYCLE_1)
	s_mov_b32 s5, exec_lo
	v_cmpx_gt_u32_e64 s1, v15
	s_cbranch_execnz .LBB44_40
.LBB44_13:                              ;   in Loop: Header=BB44_6 Depth=1
	s_or_b32 exec_lo, exec_lo, s5
	s_delay_alu instid0(SALU_CYCLE_1)
	s_mov_b32 s5, exec_lo
	v_cmpx_gt_u32_e64 s1, v16
	s_cbranch_execnz .LBB44_41
.LBB44_14:                              ;   in Loop: Header=BB44_6 Depth=1
	s_or_b32 exec_lo, exec_lo, s5
	s_delay_alu instid0(SALU_CYCLE_1)
	s_mov_b32 s5, exec_lo
	v_cmpx_gt_u32_e64 s1, v17
	s_cbranch_execnz .LBB44_42
.LBB44_15:                              ;   in Loop: Header=BB44_6 Depth=1
	s_or_b32 exec_lo, exec_lo, s5
	s_delay_alu instid0(SALU_CYCLE_1)
	s_mov_b32 s5, exec_lo
	v_cmpx_gt_u32_e64 s1, v18
	s_cbranch_execnz .LBB44_43
.LBB44_16:                              ;   in Loop: Header=BB44_6 Depth=1
	s_or_b32 exec_lo, exec_lo, s5
	s_delay_alu instid0(SALU_CYCLE_1)
	s_mov_b32 s5, exec_lo
	v_cmpx_gt_u32_e64 s1, v19
	s_cbranch_execnz .LBB44_44
.LBB44_17:                              ;   in Loop: Header=BB44_6 Depth=1
	s_or_b32 exec_lo, exec_lo, s5
	s_delay_alu instid0(SALU_CYCLE_1)
	s_mov_b32 s5, exec_lo
	v_cmpx_gt_u32_e64 s1, v20
	s_cbranch_execnz .LBB44_45
.LBB44_18:                              ;   in Loop: Header=BB44_6 Depth=1
	s_or_b32 exec_lo, exec_lo, s5
	s_delay_alu instid0(SALU_CYCLE_1)
	s_mov_b32 s5, exec_lo
	v_cmpx_gt_u32_e64 s1, v22
	s_cbranch_execnz .LBB44_46
.LBB44_19:                              ;   in Loop: Header=BB44_6 Depth=1
	s_or_b32 exec_lo, exec_lo, s5
	s_delay_alu instid0(SALU_CYCLE_1)
	s_mov_b32 s5, exec_lo
	v_cmpx_gt_u32_e64 s1, v23
	s_cbranch_execnz .LBB44_47
.LBB44_20:                              ;   in Loop: Header=BB44_6 Depth=1
	s_or_b32 exec_lo, exec_lo, s5
	s_delay_alu instid0(SALU_CYCLE_1)
	s_mov_b32 s5, exec_lo
	v_cmpx_gt_u32_e64 s1, v24
	s_cbranch_execnz .LBB44_48
.LBB44_21:                              ;   in Loop: Header=BB44_6 Depth=1
	s_or_b32 exec_lo, exec_lo, s5
	s_delay_alu instid0(SALU_CYCLE_1)
	s_mov_b32 s5, exec_lo
	v_cmpx_gt_u32_e64 s1, v25
	s_cbranch_execnz .LBB44_49
.LBB44_22:                              ;   in Loop: Header=BB44_6 Depth=1
	s_or_b32 exec_lo, exec_lo, s5
	s_delay_alu instid0(SALU_CYCLE_1)
	s_mov_b32 s5, exec_lo
	v_cmpx_gt_u32_e64 s1, v26
	s_cbranch_execnz .LBB44_50
.LBB44_23:                              ;   in Loop: Header=BB44_6 Depth=1
	s_or_b32 exec_lo, exec_lo, s5
	s_delay_alu instid0(SALU_CYCLE_1)
	s_mov_b32 s5, exec_lo
	v_cmpx_gt_u32_e64 s1, v27
	s_cbranch_execnz .LBB44_51
.LBB44_24:                              ;   in Loop: Header=BB44_6 Depth=1
	s_or_b32 exec_lo, exec_lo, s5
	s_delay_alu instid0(SALU_CYCLE_1)
	s_mov_b32 s5, exec_lo
	v_cmpx_gt_u32_e64 s1, v28
	s_cbranch_execz .LBB44_26
.LBB44_25:                              ;   in Loop: Header=BB44_6 Depth=1
	v_add_co_u32 v31, vcc_lo, 0x3000, v11
	v_add_co_ci_u32_e32 v32, vcc_lo, 0, v12, vcc_lo
	global_load_d16_hi_b16 v10, v[31:32], off offset:3072
.LBB44_26:                              ;   in Loop: Header=BB44_6 Depth=1
	s_or_b32 exec_lo, exec_lo, s5
	s_waitcnt vmcnt(0)
	v_lshrrev_b32_e32 v1, 16, v3
	s_mov_b32 s5, exec_lo
	s_barrier
	buffer_gl0_inv
	v_add_nc_u16 v1, v1, v3
	v_lshrrev_b32_e32 v3, 16, v4
	s_delay_alu instid0(VALU_DEP_2) | instskip(NEXT) | instid1(VALU_DEP_1)
	v_add_nc_u16 v1, v1, v4
	v_add_nc_u16 v1, v1, v3
	v_lshrrev_b32_e32 v3, 16, v5
	s_delay_alu instid0(VALU_DEP_2) | instskip(NEXT) | instid1(VALU_DEP_1)
	v_add_nc_u16 v1, v1, v5
	;; [unrolled: 4-line block ×7, first 2 shown]
	v_add_nc_u16 v1, v1, v3
	s_delay_alu instid0(VALU_DEP_1) | instskip(NEXT) | instid1(VALU_DEP_1)
	v_and_b32_e32 v3, 0xffff, v1
	v_mov_b32_dpp v3, v3 quad_perm:[1,0,3,2] row_mask:0xf bank_mask:0xf
	s_delay_alu instid0(VALU_DEP_1) | instskip(NEXT) | instid1(VALU_DEP_1)
	v_add_nc_u16 v1, v1, v3
	v_and_b32_e32 v3, 0xffff, v1
	s_delay_alu instid0(VALU_DEP_1) | instskip(NEXT) | instid1(VALU_DEP_1)
	v_mov_b32_dpp v3, v3 quad_perm:[2,3,0,1] row_mask:0xf bank_mask:0xf
	v_add_nc_u16 v1, v1, v3
	s_delay_alu instid0(VALU_DEP_1) | instskip(NEXT) | instid1(VALU_DEP_1)
	v_and_b32_e32 v3, 0xffff, v1
	v_mov_b32_dpp v3, v3 row_ror:4 row_mask:0xf bank_mask:0xf
	s_delay_alu instid0(VALU_DEP_1) | instskip(NEXT) | instid1(VALU_DEP_1)
	v_add_nc_u16 v1, v1, v3
	v_and_b32_e32 v3, 0xffff, v1
	s_delay_alu instid0(VALU_DEP_1) | instskip(NEXT) | instid1(VALU_DEP_1)
	v_mov_b32_dpp v3, v3 row_ror:8 row_mask:0xf bank_mask:0xf
	v_add_nc_u16 v1, v1, v3
	s_delay_alu instid0(VALU_DEP_1) | instskip(SKIP_3) | instid1(VALU_DEP_1)
	v_and_b32_e32 v3, 0xffff, v1
	ds_swizzle_b32 v3, v3 offset:swizzle(BROADCAST,32,15)
	s_waitcnt lgkmcnt(0)
	v_add_nc_u16 v1, v1, v3
	v_and_b32_e32 v1, 0xffff, v1
	ds_bpermute_b32 v1, v2, v1 offset:124
	v_cmpx_eq_u32_e32 0, v30
	s_cbranch_execz .LBB44_28
; %bb.27:                               ;   in Loop: Header=BB44_6 Depth=1
	s_waitcnt lgkmcnt(0)
	ds_store_b16 v29, v1
.LBB44_28:                              ;   in Loop: Header=BB44_6 Depth=1
	s_or_b32 exec_lo, exec_lo, s5
	s_waitcnt lgkmcnt(0)
	s_barrier
	buffer_gl0_inv
	s_and_saveexec_b32 s5, s0
	s_cbranch_execz .LBB44_30
; %bb.29:                               ;   in Loop: Header=BB44_6 Depth=1
	v_and_b32_e32 v1, 15, v30
	s_delay_alu instid0(VALU_DEP_1) | instskip(SKIP_4) | instid1(VALU_DEP_2)
	v_lshlrev_b32_e32 v3, 1, v1
	v_cmp_ne_u32_e32 vcc_lo, 15, v1
	ds_load_u16 v3, v3
	v_add_co_ci_u32_e32 v4, vcc_lo, 0, v30, vcc_lo
	v_cmp_gt_u32_e32 vcc_lo, 14, v1
	v_lshlrev_b32_e32 v4, 2, v4
	s_waitcnt lgkmcnt(0)
	v_and_b32_e32 v5, 0xffff, v3
	ds_bpermute_b32 v4, v4, v5
	v_cndmask_b32_e64 v5, 0, 1, vcc_lo
	v_cmp_gt_u32_e32 vcc_lo, 12, v1
	s_delay_alu instid0(VALU_DEP_2) | instskip(SKIP_2) | instid1(VALU_DEP_2)
	v_lshlrev_b32_e32 v5, 1, v5
	s_waitcnt lgkmcnt(0)
	v_add_nc_u16 v3, v3, v4
	v_add_lshl_u32 v4, v5, v30, 2
	s_delay_alu instid0(VALU_DEP_2) | instskip(SKIP_3) | instid1(VALU_DEP_2)
	v_and_b32_e32 v5, 0xffff, v3
	ds_bpermute_b32 v4, v4, v5
	v_cndmask_b32_e64 v5, 0, 1, vcc_lo
	v_cmp_gt_u32_e32 vcc_lo, 8, v1
	v_lshlrev_b32_e32 v5, 2, v5
	v_cndmask_b32_e64 v1, 0, 1, vcc_lo
	s_delay_alu instid0(VALU_DEP_1) | instskip(NEXT) | instid1(VALU_DEP_1)
	v_lshlrev_b32_e32 v1, 3, v1
	v_add_lshl_u32 v1, v1, v30, 2
	s_waitcnt lgkmcnt(0)
	v_add_nc_u16 v3, v3, v4
	v_add_lshl_u32 v4, v5, v30, 2
	s_delay_alu instid0(VALU_DEP_2) | instskip(SKIP_3) | instid1(VALU_DEP_1)
	v_and_b32_e32 v5, 0xffff, v3
	ds_bpermute_b32 v4, v4, v5
	s_waitcnt lgkmcnt(0)
	v_add_nc_u16 v3, v3, v4
	v_and_b32_e32 v4, 0xffff, v3
	ds_bpermute_b32 v1, v1, v4
	s_waitcnt lgkmcnt(0)
	v_add_nc_u16 v1, v3, v1
.LBB44_30:                              ;   in Loop: Header=BB44_6 Depth=1
	s_or_b32 exec_lo, exec_lo, s5
	s_branch .LBB44_8
.LBB44_31:                              ;   in Loop: Header=BB44_6 Depth=1
	s_clause 0x3
	global_load_u16 v1, v[11:12], off
	global_load_u16 v7, v[11:12], off offset:1024
	global_load_u16 v8, v[11:12], off offset:2048
	;; [unrolled: 1-line block ×3, first 2 shown]
	v_add_co_u32 v3, vcc_lo, v11, 0x2000
	v_add_co_ci_u32_e32 v4, vcc_lo, 0, v12, vcc_lo
	v_add_co_u32 v5, vcc_lo, 0x1000, v11
	v_add_co_ci_u32_e32 v6, vcc_lo, 0, v12, vcc_lo
	s_clause 0x3
	global_load_u16 v10, v[3:4], off offset:-4096
	global_load_u16 v31, v[5:6], off offset:1024
	global_load_u16 v32, v[5:6], off offset:2048
	;; [unrolled: 1-line block ×3, first 2 shown]
	v_add_co_u32 v5, vcc_lo, 0x2000, v11
	v_add_co_ci_u32_e32 v6, vcc_lo, 0, v12, vcc_lo
	s_clause 0x2
	global_load_u16 v34, v[3:4], off
	global_load_u16 v35, v[5:6], off offset:1024
	global_load_u16 v36, v[5:6], off offset:2048
	v_add_co_u32 v3, vcc_lo, 0x3000, v11
	v_add_co_ci_u32_e32 v4, vcc_lo, 0, v12, vcc_lo
	s_clause 0x4
	global_load_u16 v5, v[5:6], off offset:3072
	global_load_u16 v6, v[3:4], off
	global_load_u16 v37, v[3:4], off offset:1024
	global_load_u16 v38, v[3:4], off offset:2048
	;; [unrolled: 1-line block ×3, first 2 shown]
	s_mov_b32 s5, exec_lo
	s_waitcnt vmcnt(0)
	s_barrier
	buffer_gl0_inv
	v_add_nc_u16 v1, v7, v1
	s_delay_alu instid0(VALU_DEP_1) | instskip(NEXT) | instid1(VALU_DEP_1)
	v_add_nc_u16 v1, v1, v8
	v_add_nc_u16 v1, v1, v9
	s_delay_alu instid0(VALU_DEP_1) | instskip(NEXT) | instid1(VALU_DEP_1)
	v_add_nc_u16 v1, v1, v10
	;; [unrolled: 3-line block ×7, first 2 shown]
	v_add_nc_u16 v1, v1, v3
	s_delay_alu instid0(VALU_DEP_1) | instskip(NEXT) | instid1(VALU_DEP_1)
	v_and_b32_e32 v3, 0xffff, v1
	v_mov_b32_dpp v3, v3 quad_perm:[1,0,3,2] row_mask:0xf bank_mask:0xf
	s_delay_alu instid0(VALU_DEP_1) | instskip(NEXT) | instid1(VALU_DEP_1)
	v_add_nc_u16 v1, v1, v3
	v_and_b32_e32 v3, 0xffff, v1
	s_delay_alu instid0(VALU_DEP_1) | instskip(NEXT) | instid1(VALU_DEP_1)
	v_mov_b32_dpp v3, v3 quad_perm:[2,3,0,1] row_mask:0xf bank_mask:0xf
	v_add_nc_u16 v1, v1, v3
	s_delay_alu instid0(VALU_DEP_1) | instskip(NEXT) | instid1(VALU_DEP_1)
	v_and_b32_e32 v3, 0xffff, v1
	v_mov_b32_dpp v3, v3 row_ror:4 row_mask:0xf bank_mask:0xf
	s_delay_alu instid0(VALU_DEP_1) | instskip(NEXT) | instid1(VALU_DEP_1)
	v_add_nc_u16 v1, v1, v3
	v_and_b32_e32 v3, 0xffff, v1
	s_delay_alu instid0(VALU_DEP_1) | instskip(NEXT) | instid1(VALU_DEP_1)
	v_mov_b32_dpp v3, v3 row_ror:8 row_mask:0xf bank_mask:0xf
	v_add_nc_u16 v1, v1, v3
	s_delay_alu instid0(VALU_DEP_1) | instskip(SKIP_3) | instid1(VALU_DEP_1)
	v_and_b32_e32 v3, 0xffff, v1
	ds_swizzle_b32 v3, v3 offset:swizzle(BROADCAST,32,15)
	s_waitcnt lgkmcnt(0)
	v_add_nc_u16 v1, v1, v3
	v_and_b32_e32 v1, 0xffff, v1
	ds_bpermute_b32 v1, v2, v1 offset:124
	v_cmpx_eq_u32_e32 0, v30
	s_cbranch_execz .LBB44_33
; %bb.32:                               ;   in Loop: Header=BB44_6 Depth=1
	s_waitcnt lgkmcnt(0)
	ds_store_b16 v29, v1
.LBB44_33:                              ;   in Loop: Header=BB44_6 Depth=1
	s_or_b32 exec_lo, exec_lo, s5
	s_waitcnt lgkmcnt(0)
	s_barrier
	buffer_gl0_inv
	s_and_saveexec_b32 s5, s0
	s_cbranch_execz .LBB44_35
; %bb.34:                               ;   in Loop: Header=BB44_6 Depth=1
	v_and_b32_e32 v1, 15, v30
	s_delay_alu instid0(VALU_DEP_1) | instskip(SKIP_4) | instid1(VALU_DEP_2)
	v_lshlrev_b32_e32 v3, 1, v1
	v_cmp_ne_u32_e32 vcc_lo, 15, v1
	ds_load_u16 v3, v3
	v_add_co_ci_u32_e32 v4, vcc_lo, 0, v30, vcc_lo
	v_cmp_gt_u32_e32 vcc_lo, 14, v1
	v_lshlrev_b32_e32 v4, 2, v4
	s_waitcnt lgkmcnt(0)
	v_and_b32_e32 v5, 0xffff, v3
	ds_bpermute_b32 v4, v4, v5
	v_cndmask_b32_e64 v5, 0, 1, vcc_lo
	v_cmp_gt_u32_e32 vcc_lo, 12, v1
	s_delay_alu instid0(VALU_DEP_2) | instskip(SKIP_2) | instid1(VALU_DEP_2)
	v_lshlrev_b32_e32 v5, 1, v5
	s_waitcnt lgkmcnt(0)
	v_add_nc_u16 v3, v3, v4
	v_add_lshl_u32 v4, v5, v30, 2
	s_delay_alu instid0(VALU_DEP_2) | instskip(SKIP_3) | instid1(VALU_DEP_2)
	v_and_b32_e32 v5, 0xffff, v3
	ds_bpermute_b32 v4, v4, v5
	v_cndmask_b32_e64 v5, 0, 1, vcc_lo
	v_cmp_gt_u32_e32 vcc_lo, 8, v1
	v_lshlrev_b32_e32 v5, 2, v5
	v_cndmask_b32_e64 v1, 0, 1, vcc_lo
	s_delay_alu instid0(VALU_DEP_1) | instskip(NEXT) | instid1(VALU_DEP_1)
	v_lshlrev_b32_e32 v1, 3, v1
	v_add_lshl_u32 v1, v1, v30, 2
	s_waitcnt lgkmcnt(0)
	v_add_nc_u16 v3, v3, v4
	v_add_lshl_u32 v4, v5, v30, 2
	s_delay_alu instid0(VALU_DEP_2) | instskip(SKIP_3) | instid1(VALU_DEP_1)
	v_and_b32_e32 v5, 0xffff, v3
	ds_bpermute_b32 v4, v4, v5
	s_waitcnt lgkmcnt(0)
	v_add_nc_u16 v3, v3, v4
	v_and_b32_e32 v4, 0xffff, v3
	ds_bpermute_b32 v1, v1, v4
	s_waitcnt lgkmcnt(0)
	v_add_nc_u16 v1, v3, v1
.LBB44_35:                              ;   in Loop: Header=BB44_6 Depth=1
	s_or_b32 exec_lo, exec_lo, s5
	v_cmp_gt_i64_e64 s5, 0x2001, s[16:17]
	s_delay_alu instid0(VALU_DEP_2) | instskip(NEXT) | instid1(VALU_DEP_2)
	v_add_nc_u16 v21, v1, v21
	s_and_b32 vcc_lo, exec_lo, s5
	s_cbranch_vccz .LBB44_5
.LBB44_36:
                                        ; implicit-def: $sgpr12
                                        ; implicit-def: $sgpr16_sgpr17
                                        ; implicit-def: $sgpr1
                                        ; implicit-def: $vgpr11_vgpr12
	s_branch .LBB44_52
.LBB44_37:                              ;   in Loop: Header=BB44_6 Depth=1
	v_dual_mov_b32 v1, 0 :: v_dual_mov_b32 v4, v2
	v_mov_b32_e32 v8, v2
	v_mov_b32_e32 v3, v2
	;; [unrolled: 1-line block ×3, first 2 shown]
	global_load_d16_b16 v1, v[11:12], off
	v_mov_b32_e32 v6, v2
	v_mov_b32_e32 v7, v2
	s_waitcnt vmcnt(0)
	v_mov_b32_e32 v10, v8
	s_delay_alu instid0(VALU_DEP_2)
	v_dual_mov_b32 v9, v7 :: v_dual_mov_b32 v8, v6
	v_mov_b32_e32 v7, v5
	v_mov_b32_e32 v6, v4
	;; [unrolled: 1-line block ×5, first 2 shown]
	s_or_b32 exec_lo, exec_lo, s5
	s_delay_alu instid0(SALU_CYCLE_1)
	s_mov_b32 s5, exec_lo
	v_cmpx_gt_u32_e64 s1, v13
	s_cbranch_execz .LBB44_11
.LBB44_38:                              ;   in Loop: Header=BB44_6 Depth=1
	global_load_d16_hi_b16 v3, v[11:12], off offset:1024
	s_or_b32 exec_lo, exec_lo, s5
	s_delay_alu instid0(SALU_CYCLE_1)
	s_mov_b32 s5, exec_lo
	v_cmpx_gt_u32_e64 s1, v14
	s_cbranch_execz .LBB44_12
.LBB44_39:                              ;   in Loop: Header=BB44_6 Depth=1
	global_load_d16_b16 v4, v[11:12], off offset:2048
	s_or_b32 exec_lo, exec_lo, s5
	s_delay_alu instid0(SALU_CYCLE_1)
	s_mov_b32 s5, exec_lo
	v_cmpx_gt_u32_e64 s1, v15
	s_cbranch_execz .LBB44_13
.LBB44_40:                              ;   in Loop: Header=BB44_6 Depth=1
	global_load_d16_hi_b16 v4, v[11:12], off offset:3072
	s_or_b32 exec_lo, exec_lo, s5
	s_delay_alu instid0(SALU_CYCLE_1)
	s_mov_b32 s5, exec_lo
	v_cmpx_gt_u32_e64 s1, v16
	s_cbranch_execz .LBB44_14
.LBB44_41:                              ;   in Loop: Header=BB44_6 Depth=1
	v_add_co_u32 v31, vcc_lo, 0x1000, v11
	v_add_co_ci_u32_e32 v32, vcc_lo, 0, v12, vcc_lo
	global_load_d16_b16 v5, v[31:32], off
	s_or_b32 exec_lo, exec_lo, s5
	s_delay_alu instid0(SALU_CYCLE_1)
	s_mov_b32 s5, exec_lo
	v_cmpx_gt_u32_e64 s1, v17
	s_cbranch_execz .LBB44_15
.LBB44_42:                              ;   in Loop: Header=BB44_6 Depth=1
	v_add_co_u32 v31, vcc_lo, 0x1000, v11
	v_add_co_ci_u32_e32 v32, vcc_lo, 0, v12, vcc_lo
	global_load_d16_hi_b16 v5, v[31:32], off offset:1024
	s_or_b32 exec_lo, exec_lo, s5
	s_delay_alu instid0(SALU_CYCLE_1)
	s_mov_b32 s5, exec_lo
	v_cmpx_gt_u32_e64 s1, v18
	s_cbranch_execz .LBB44_16
.LBB44_43:                              ;   in Loop: Header=BB44_6 Depth=1
	v_add_co_u32 v31, vcc_lo, 0x1000, v11
	v_add_co_ci_u32_e32 v32, vcc_lo, 0, v12, vcc_lo
	global_load_d16_b16 v6, v[31:32], off offset:2048
	s_or_b32 exec_lo, exec_lo, s5
	s_delay_alu instid0(SALU_CYCLE_1)
	s_mov_b32 s5, exec_lo
	v_cmpx_gt_u32_e64 s1, v19
	s_cbranch_execz .LBB44_17
.LBB44_44:                              ;   in Loop: Header=BB44_6 Depth=1
	v_add_co_u32 v31, vcc_lo, 0x1000, v11
	v_add_co_ci_u32_e32 v32, vcc_lo, 0, v12, vcc_lo
	global_load_d16_hi_b16 v6, v[31:32], off offset:3072
	s_or_b32 exec_lo, exec_lo, s5
	s_delay_alu instid0(SALU_CYCLE_1)
	s_mov_b32 s5, exec_lo
	v_cmpx_gt_u32_e64 s1, v20
	s_cbranch_execz .LBB44_18
.LBB44_45:                              ;   in Loop: Header=BB44_6 Depth=1
	v_add_co_u32 v31, vcc_lo, 0x2000, v11
	v_add_co_ci_u32_e32 v32, vcc_lo, 0, v12, vcc_lo
	global_load_d16_b16 v7, v[31:32], off
	s_or_b32 exec_lo, exec_lo, s5
	s_delay_alu instid0(SALU_CYCLE_1)
	s_mov_b32 s5, exec_lo
	v_cmpx_gt_u32_e64 s1, v22
	s_cbranch_execz .LBB44_19
.LBB44_46:                              ;   in Loop: Header=BB44_6 Depth=1
	v_add_co_u32 v31, vcc_lo, 0x2000, v11
	v_add_co_ci_u32_e32 v32, vcc_lo, 0, v12, vcc_lo
	global_load_d16_hi_b16 v7, v[31:32], off offset:1024
	s_or_b32 exec_lo, exec_lo, s5
	s_delay_alu instid0(SALU_CYCLE_1)
	s_mov_b32 s5, exec_lo
	v_cmpx_gt_u32_e64 s1, v23
	s_cbranch_execz .LBB44_20
.LBB44_47:                              ;   in Loop: Header=BB44_6 Depth=1
	v_add_co_u32 v31, vcc_lo, 0x2000, v11
	v_add_co_ci_u32_e32 v32, vcc_lo, 0, v12, vcc_lo
	global_load_d16_b16 v8, v[31:32], off offset:2048
	s_or_b32 exec_lo, exec_lo, s5
	s_delay_alu instid0(SALU_CYCLE_1)
	s_mov_b32 s5, exec_lo
	v_cmpx_gt_u32_e64 s1, v24
	s_cbranch_execz .LBB44_21
.LBB44_48:                              ;   in Loop: Header=BB44_6 Depth=1
	v_add_co_u32 v31, vcc_lo, 0x2000, v11
	v_add_co_ci_u32_e32 v32, vcc_lo, 0, v12, vcc_lo
	global_load_d16_hi_b16 v8, v[31:32], off offset:3072
	s_or_b32 exec_lo, exec_lo, s5
	s_delay_alu instid0(SALU_CYCLE_1)
	s_mov_b32 s5, exec_lo
	v_cmpx_gt_u32_e64 s1, v25
	s_cbranch_execz .LBB44_22
.LBB44_49:                              ;   in Loop: Header=BB44_6 Depth=1
	v_add_co_u32 v31, vcc_lo, 0x3000, v11
	v_add_co_ci_u32_e32 v32, vcc_lo, 0, v12, vcc_lo
	global_load_d16_b16 v9, v[31:32], off
	s_or_b32 exec_lo, exec_lo, s5
	s_delay_alu instid0(SALU_CYCLE_1)
	s_mov_b32 s5, exec_lo
	v_cmpx_gt_u32_e64 s1, v26
	s_cbranch_execz .LBB44_23
.LBB44_50:                              ;   in Loop: Header=BB44_6 Depth=1
	v_add_co_u32 v31, vcc_lo, 0x3000, v11
	v_add_co_ci_u32_e32 v32, vcc_lo, 0, v12, vcc_lo
	global_load_d16_hi_b16 v9, v[31:32], off offset:1024
	s_or_b32 exec_lo, exec_lo, s5
	s_delay_alu instid0(SALU_CYCLE_1)
	s_mov_b32 s5, exec_lo
	v_cmpx_gt_u32_e64 s1, v27
	s_cbranch_execz .LBB44_24
.LBB44_51:                              ;   in Loop: Header=BB44_6 Depth=1
	v_add_co_u32 v31, vcc_lo, 0x3000, v11
	v_add_co_ci_u32_e32 v32, vcc_lo, 0, v12, vcc_lo
	global_load_d16_b16 v10, v[31:32], off offset:2048
	s_or_b32 exec_lo, exec_lo, s5
	s_delay_alu instid0(SALU_CYCLE_1)
	s_mov_b32 s5, exec_lo
	v_cmpx_gt_u32_e64 s1, v28
	s_cbranch_execnz .LBB44_25
	s_branch .LBB44_26
.LBB44_52:
	v_cmp_eq_u32_e32 vcc_lo, 0, v0
	s_xor_b32 s0, s19, -1
	s_delay_alu instid0(SALU_CYCLE_1) | instskip(NEXT) | instid1(SALU_CYCLE_1)
	s_and_b32 s0, vcc_lo, s0
	s_and_saveexec_b32 s1, s0
	s_cbranch_execz .LBB44_54
; %bb.53:
	s_lshl_b64 s[0:1], s[2:3], 1
	v_mov_b32_e32 v0, 0
	s_waitcnt lgkmcnt(0)
	s_add_u32 s0, s14, s0
	s_addc_u32 s1, s15, s1
	global_store_b16 v0, v21, s[0:1]
.LBB44_54:
	s_nop 0
	s_sendmsg sendmsg(MSG_DEALLOC_VGPRS)
	s_endpgm
	.section	.rodata,"a",@progbits
	.p2align	6, 0x0
	.amdhsa_kernel _ZN2at4cuda3cub15calc_block_sumsILi512ELi16ELb0EssEEvPKT2_PT3_li
		.amdhsa_group_segment_fixed_size 32
		.amdhsa_private_segment_fixed_size 0
		.amdhsa_kernarg_size 28
		.amdhsa_user_sgpr_count 15
		.amdhsa_user_sgpr_dispatch_ptr 0
		.amdhsa_user_sgpr_queue_ptr 0
		.amdhsa_user_sgpr_kernarg_segment_ptr 1
		.amdhsa_user_sgpr_dispatch_id 0
		.amdhsa_user_sgpr_private_segment_size 0
		.amdhsa_wavefront_size32 1
		.amdhsa_uses_dynamic_stack 0
		.amdhsa_enable_private_segment 0
		.amdhsa_system_sgpr_workgroup_id_x 1
		.amdhsa_system_sgpr_workgroup_id_y 0
		.amdhsa_system_sgpr_workgroup_id_z 0
		.amdhsa_system_sgpr_workgroup_info 0
		.amdhsa_system_vgpr_workitem_id 0
		.amdhsa_next_free_vgpr 39
		.amdhsa_next_free_sgpr 20
		.amdhsa_reserve_vcc 1
		.amdhsa_float_round_mode_32 0
		.amdhsa_float_round_mode_16_64 0
		.amdhsa_float_denorm_mode_32 3
		.amdhsa_float_denorm_mode_16_64 3
		.amdhsa_dx10_clamp 1
		.amdhsa_ieee_mode 1
		.amdhsa_fp16_overflow 0
		.amdhsa_workgroup_processor_mode 1
		.amdhsa_memory_ordered 1
		.amdhsa_forward_progress 0
		.amdhsa_shared_vgpr_count 0
		.amdhsa_exception_fp_ieee_invalid_op 0
		.amdhsa_exception_fp_denorm_src 0
		.amdhsa_exception_fp_ieee_div_zero 0
		.amdhsa_exception_fp_ieee_overflow 0
		.amdhsa_exception_fp_ieee_underflow 0
		.amdhsa_exception_fp_ieee_inexact 0
		.amdhsa_exception_int_div_zero 0
	.end_amdhsa_kernel
	.section	.text._ZN2at4cuda3cub15calc_block_sumsILi512ELi16ELb0EssEEvPKT2_PT3_li,"axG",@progbits,_ZN2at4cuda3cub15calc_block_sumsILi512ELi16ELb0EssEEvPKT2_PT3_li,comdat
.Lfunc_end44:
	.size	_ZN2at4cuda3cub15calc_block_sumsILi512ELi16ELb0EssEEvPKT2_PT3_li, .Lfunc_end44-_ZN2at4cuda3cub15calc_block_sumsILi512ELi16ELb0EssEEvPKT2_PT3_li
                                        ; -- End function
	.section	.AMDGPU.csdata,"",@progbits
; Kernel info:
; codeLenInByte = 3288
; NumSgprs: 22
; NumVgprs: 39
; ScratchSize: 0
; MemoryBound: 0
; FloatMode: 240
; IeeeMode: 1
; LDSByteSize: 32 bytes/workgroup (compile time only)
; SGPRBlocks: 2
; VGPRBlocks: 4
; NumSGPRsForWavesPerEU: 22
; NumVGPRsForWavesPerEU: 39
; Occupancy: 16
; WaveLimiterHint : 1
; COMPUTE_PGM_RSRC2:SCRATCH_EN: 0
; COMPUTE_PGM_RSRC2:USER_SGPR: 15
; COMPUTE_PGM_RSRC2:TRAP_HANDLER: 0
; COMPUTE_PGM_RSRC2:TGID_X_EN: 1
; COMPUTE_PGM_RSRC2:TGID_Y_EN: 0
; COMPUTE_PGM_RSRC2:TGID_Z_EN: 0
; COMPUTE_PGM_RSRC2:TIDIG_COMP_CNT: 0
	.section	.text._ZN2at4cuda3cub17final_scan_kernelILi512ELi16EsEEvPKT1_PS3_S6_li,"axG",@progbits,_ZN2at4cuda3cub17final_scan_kernelILi512ELi16EsEEvPKT1_PS3_S6_li,comdat
	.protected	_ZN2at4cuda3cub17final_scan_kernelILi512ELi16EsEEvPKT1_PS3_S6_li ; -- Begin function _ZN2at4cuda3cub17final_scan_kernelILi512ELi16EsEEvPKT1_PS3_S6_li
	.globl	_ZN2at4cuda3cub17final_scan_kernelILi512ELi16EsEEvPKT1_PS3_S6_li
	.p2align	8
	.type	_ZN2at4cuda3cub17final_scan_kernelILi512ELi16EsEEvPKT1_PS3_S6_li,@function
_ZN2at4cuda3cub17final_scan_kernelILi512ELi16EsEEvPKT1_PS3_S6_li: ; @_ZN2at4cuda3cub17final_scan_kernelILi512ELi16EsEEvPKT1_PS3_S6_li
; %bb.0:
	s_clause 0x1
	s_load_b32 s26, s[0:1], 0x20
	s_load_b256 s[16:23], s[0:1], 0x0
	s_waitcnt lgkmcnt(0)
	s_lshl_b32 s2, s26, 13
	s_delay_alu instid0(SALU_CYCLE_1)
	s_ashr_i32 s3, s2, 31
	s_mul_hi_u32 s4, s2, s15
	s_mul_i32 s3, s3, s15
	s_mul_i32 s12, s2, s15
	s_add_i32 s13, s4, s3
	s_sub_u32 s24, s22, s12
	s_subb_u32 s25, s23, s13
	s_delay_alu instid0(SALU_CYCLE_1) | instskip(NEXT) | instid1(VALU_DEP_1)
	v_cmp_lt_i64_e64 s2, s[24:25], 1
	s_and_b32 vcc_lo, exec_lo, s2
	s_cbranch_vccnz .LBB45_98
; %bb.1:
	v_dual_mov_b32 v3, 0 :: v_dual_lshlrev_b32 v16, 1, v0
	s_mov_b32 s2, exec_lo
	v_cmpx_gt_u32_e64 s15, v0
	s_cbranch_execz .LBB45_3
; %bb.2:
	global_load_u16 v3, v16, s[20:21]
.LBB45_3:
	s_or_b32 exec_lo, exec_lo, s2
	s_load_b32 s0, s[0:1], 0x34
	s_waitcnt lgkmcnt(0)
	s_and_b32 s1, s0, 0xffff
	s_mov_b32 s0, exec_lo
	v_add_nc_u32_e32 v1, s1, v0
	s_delay_alu instid0(VALU_DEP_1)
	v_cmpx_gt_u32_e64 s15, v1
	s_cbranch_execz .LBB45_7
; %bb.4:
	v_mov_b32_e32 v2, 0
	s_mov_b32 s2, 0
.LBB45_5:                               ; =>This Inner Loop Header: Depth=1
	s_delay_alu instid0(VALU_DEP_1) | instskip(SKIP_1) | instid1(VALU_DEP_2)
	v_lshlrev_b64 v[4:5], 1, v[1:2]
	v_add_nc_u32_e32 v1, s1, v1
	v_add_co_u32 v4, vcc_lo, s20, v4
	s_delay_alu instid0(VALU_DEP_3) | instskip(NEXT) | instid1(VALU_DEP_3)
	v_add_co_ci_u32_e32 v5, vcc_lo, s21, v5, vcc_lo
	v_cmp_le_u32_e32 vcc_lo, s15, v1
	global_load_u16 v4, v[4:5], off
	s_or_b32 s2, vcc_lo, s2
	s_waitcnt vmcnt(0)
	v_add_nc_u16 v3, v4, v3
	s_and_not1_b32 exec_lo, exec_lo, s2
	s_cbranch_execnz .LBB45_5
; %bb.6:
	s_or_b32 exec_lo, exec_lo, s2
.LBB45_7:
	s_delay_alu instid0(SALU_CYCLE_1) | instskip(SKIP_2) | instid1(VALU_DEP_1)
	s_or_b32 exec_lo, exec_lo, s0
	s_waitcnt vmcnt(0)
	v_and_b32_e32 v1, 0xffff, v3
	v_mov_b32_dpp v1, v1 quad_perm:[1,0,3,2] row_mask:0xf bank_mask:0xf
	s_delay_alu instid0(VALU_DEP_1) | instskip(NEXT) | instid1(VALU_DEP_1)
	v_add_nc_u16 v1, v3, v1
	v_and_b32_e32 v2, 0xffff, v1
	s_delay_alu instid0(VALU_DEP_1) | instskip(NEXT) | instid1(VALU_DEP_1)
	v_mov_b32_dpp v2, v2 quad_perm:[2,3,0,1] row_mask:0xf bank_mask:0xf
	v_add_nc_u16 v1, v1, v2
	s_delay_alu instid0(VALU_DEP_1) | instskip(NEXT) | instid1(VALU_DEP_1)
	v_and_b32_e32 v2, 0xffff, v1
	v_mov_b32_dpp v2, v2 row_ror:4 row_mask:0xf bank_mask:0xf
	s_delay_alu instid0(VALU_DEP_1) | instskip(NEXT) | instid1(VALU_DEP_1)
	v_add_nc_u16 v1, v1, v2
	v_and_b32_e32 v2, 0xffff, v1
	s_delay_alu instid0(VALU_DEP_1) | instskip(NEXT) | instid1(VALU_DEP_1)
	v_mov_b32_dpp v2, v2 row_ror:8 row_mask:0xf bank_mask:0xf
	v_add_nc_u16 v1, v1, v2
	s_delay_alu instid0(VALU_DEP_1) | instskip(SKIP_3) | instid1(VALU_DEP_1)
	v_and_b32_e32 v2, 0xffff, v1
	ds_swizzle_b32 v2, v2 offset:swizzle(BROADCAST,32,15)
	s_waitcnt lgkmcnt(0)
	v_add_nc_u16 v1, v1, v2
	v_dual_mov_b32 v2, 0 :: v_dual_and_b32 v1, 0xffff, v1
	ds_bpermute_b32 v17, v2, v1 offset:124
	v_mbcnt_lo_u32_b32 v1, -1, 0
	s_delay_alu instid0(VALU_DEP_1) | instskip(NEXT) | instid1(VALU_DEP_1)
	v_cmp_eq_u32_e64 s0, 0, v1
	s_and_saveexec_b32 s1, s0
	s_cbranch_execz .LBB45_9
; %bb.8:
	v_lshrrev_b32_e32 v2, 4, v0
	s_delay_alu instid0(VALU_DEP_1)
	v_and_b32_e32 v2, 62, v2
	s_waitcnt lgkmcnt(0)
	ds_store_b16 v2, v17
.LBB45_9:
	s_or_b32 exec_lo, exec_lo, s1
	v_cmp_lt_u32_e64 s1, 31, v0
	v_cmp_gt_u32_e64 s2, 32, v0
	v_and_b32_e32 v2, 15, v1
	s_waitcnt lgkmcnt(0)
	s_barrier
	buffer_gl0_inv
	s_and_saveexec_b32 s3, s2
	s_cbranch_execz .LBB45_11
; %bb.10:
	v_lshlrev_b32_e32 v3, 1, v2
	v_cmp_ne_u32_e32 vcc_lo, 15, v2
	ds_load_u16 v3, v3
	v_add_co_ci_u32_e32 v4, vcc_lo, 0, v1, vcc_lo
	v_cmp_gt_u32_e32 vcc_lo, 14, v2
	s_delay_alu instid0(VALU_DEP_2)
	v_lshlrev_b32_e32 v4, 2, v4
	s_waitcnt lgkmcnt(0)
	v_and_b32_e32 v5, 0xffff, v3
	ds_bpermute_b32 v4, v4, v5
	v_cndmask_b32_e64 v5, 0, 1, vcc_lo
	v_cmp_gt_u32_e32 vcc_lo, 12, v2
	s_delay_alu instid0(VALU_DEP_2) | instskip(SKIP_2) | instid1(VALU_DEP_2)
	v_lshlrev_b32_e32 v5, 1, v5
	s_waitcnt lgkmcnt(0)
	v_add_nc_u16 v3, v3, v4
	v_add_lshl_u32 v4, v5, v1, 2
	s_delay_alu instid0(VALU_DEP_2) | instskip(SKIP_3) | instid1(VALU_DEP_2)
	v_and_b32_e32 v5, 0xffff, v3
	ds_bpermute_b32 v4, v4, v5
	v_cndmask_b32_e64 v5, 0, 1, vcc_lo
	v_cmp_gt_u32_e32 vcc_lo, 8, v2
	v_lshlrev_b32_e32 v5, 2, v5
	s_waitcnt lgkmcnt(0)
	v_add_nc_u16 v3, v3, v4
	s_delay_alu instid0(VALU_DEP_2) | instskip(NEXT) | instid1(VALU_DEP_2)
	v_add_lshl_u32 v4, v5, v1, 2
	v_and_b32_e32 v5, 0xffff, v3
	ds_bpermute_b32 v4, v4, v5
	v_cndmask_b32_e64 v5, 0, 1, vcc_lo
	s_waitcnt lgkmcnt(0)
	v_add_nc_u16 v3, v3, v4
	s_delay_alu instid0(VALU_DEP_2) | instskip(NEXT) | instid1(VALU_DEP_2)
	v_lshlrev_b32_e32 v4, 3, v5
	v_and_b32_e32 v5, 0xffff, v3
	s_delay_alu instid0(VALU_DEP_2)
	v_add_lshl_u32 v4, v4, v1, 2
	ds_bpermute_b32 v4, v4, v5
	s_waitcnt lgkmcnt(0)
	v_add_nc_u16 v17, v3, v4
.LBB45_11:
	s_or_b32 exec_lo, exec_lo, s3
	s_cmp_lt_i32 s26, 1
	s_barrier
	buffer_gl0_inv
	s_cbranch_scc1 .LBB45_98
; %bb.12:
	v_lshlrev_b32_e32 v3, 4, v0
	v_cmp_eq_u32_e64 s3, 0, v2
	v_cmp_lt_u32_e64 s4, 1, v2
	v_cmp_lt_u32_e64 s5, 3, v2
	;; [unrolled: 1-line block ×3, first 2 shown]
	v_and_b32_e32 v3, 0x3e00, v3
	s_lshl_b64 s[12:13], s[12:13], 1
	v_cmp_gt_u32_e64 s9, 16, v0
	v_cmp_eq_u32_e64 s10, 0, v0
	s_mul_i32 s15, s15, s26
	v_or_b32_e32 v18, v1, v3
	v_lshrrev_b32_e32 v3, 5, v3
	v_lshlrev_b32_e32 v54, 1, v1
	s_delay_alu instid0(VALU_DEP_3)
	v_or_b32_e32 v19, 32, v18
	v_or_b32_e32 v20, 64, v18
	;; [unrolled: 1-line block ×4, first 2 shown]
	v_add_lshl_u32 v34, v3, v18, 1
	v_add_lshl_u32 v35, v3, v19, 1
	v_lshrrev_b32_e32 v3, 5, v20
	v_lshrrev_b32_e32 v5, 5, v23
	;; [unrolled: 1-line block ×3, first 2 shown]
	v_or_b32_e32 v22, 0x80, v18
	v_or_b32_e32 v26, 0x100, v18
	;; [unrolled: 1-line block ×3, first 2 shown]
	v_and_b32_e32 v5, 0x1f4, v5
	v_add_lshl_u32 v36, v3, v20, 1
	v_and_b32_e32 v3, 0x1f6, v7
	v_or_b32_e32 v28, 0x140, v18
	v_lshrrev_b32_e32 v6, 5, v22
	v_add_lshl_u32 v39, v5, v23, 1
	v_lshrrev_b32_e32 v5, 5, v29
	v_add_lshl_u32 v41, v3, v25, 1
	v_lshrrev_b32_e32 v3, 5, v26
	v_or_b32_e32 v30, 0x180, v18
	v_or_b32_e32 v33, 0x1e0, v18
	v_add_lshl_u32 v38, v6, v22, 1
	v_lshrrev_b32_e32 v6, 5, v28
	v_add_lshl_u32 v42, v3, v26, 1
	v_and_b32_e32 v3, 0x1fa, v5
	v_or_b32_e32 v21, 0x60, v18
	v_and_b32_e32 v7, 0x3e0, v0
	v_add_lshl_u32 v44, v6, v28, 1
	v_lshrrev_b32_e32 v6, 5, v30
	v_add_lshl_u32 v45, v3, v29, 1
	v_lshrrev_b32_e32 v3, 5, v33
	v_lshrrev_b32_e32 v4, 5, v21
	v_or_b32_e32 v27, 0x120, v18
	v_add_lshl_u32 v46, v6, v30, 1
	v_add_nc_u32_e32 v6, -1, v1
	v_and_b32_e32 v3, 0x1fe, v3
	v_or_b32_e32 v31, 0x1a0, v18
	v_or_b32_e32 v24, 0xc0, v18
	;; [unrolled: 1-line block ×3, first 2 shown]
	v_cmp_gt_i32_e32 vcc_lo, 0, v6
	v_and_b32_e32 v4, 0x1f2, v4
	v_add_lshl_u32 v49, v3, v33, 1
	v_min_u32_e32 v3, 0x1e0, v7
	v_lshrrev_b32_e32 v5, 5, v31
	v_lshrrev_b32_e32 v8, 5, v24
	;; [unrolled: 1-line block ×3, first 2 shown]
	s_delay_alu instid0(VALU_DEP_4)
	v_or_b32_e32 v2, 31, v3
	v_cndmask_b32_e32 v3, v6, v1, vcc_lo
	v_add_lshl_u32 v37, v4, v21, 1
	v_lshrrev_b32_e32 v4, 5, v27
	v_and_b32_e32 v5, 0x1fc, v5
	v_add_lshl_u32 v40, v8, v24, 1
	v_cmp_eq_u32_e64 s8, v2, v0
	v_lshlrev_b32_e32 v53, 2, v3
	v_and_b32_e32 v4, 0x1f8, v4
	v_add_lshl_u32 v47, v5, v31, 1
	v_lshrrev_b32_e32 v5, 5, v0
	v_add_lshl_u32 v48, v9, v32, 1
	s_delay_alu instid0(VALU_DEP_4) | instskip(SKIP_1) | instid1(VALU_DEP_4)
	v_add_lshl_u32 v43, v4, v27, 1
	v_or_b32_e32 v4, v1, v7
	v_lshlrev_b32_e32 v2, 10, v5
	v_lshlrev_b32_e32 v51, 1, v5
	s_delay_alu instid0(VALU_DEP_3) | instskip(SKIP_1) | instid1(VALU_DEP_4)
	v_lshrrev_b16 v8, 1, v4
	v_lshlrev_b32_e32 v4, 4, v4
	v_add_co_u32 v0, s11, s12, v2
	s_delay_alu instid0(VALU_DEP_1) | instskip(NEXT) | instid1(VALU_DEP_4)
	v_add_co_ci_u32_e64 v2, null, s13, 0, s11
	v_and_b32_e32 v8, 0x1fe, v8
	s_delay_alu instid0(VALU_DEP_3) | instskip(SKIP_2) | instid1(VALU_DEP_3)
	v_add_co_u32 v3, vcc_lo, v0, s18
	v_add_nc_u32_e32 v52, -2, v51
	s_lshl_b32 s11, s15, 13
	v_add_lshl_u32 v50, v8, v4, 1
	v_dual_mov_b32 v1, 0 :: v_dual_and_b32 v4, 16, v1
	s_mov_b32 s12, 0
	s_sub_i32 s20, s22, s11
	s_delay_alu instid0(VALU_DEP_1) | instskip(SKIP_2) | instid1(VALU_DEP_2)
	v_cmp_eq_u32_e64 s7, 0, v4
	v_add_co_ci_u32_e32 v4, vcc_lo, s19, v2, vcc_lo
	v_add_co_u32 v10, vcc_lo, 0x3c0, v3
	v_add_co_ci_u32_e32 v11, vcc_lo, 0, v4, vcc_lo
	v_add_co_u32 v12, vcc_lo, s16, v0
	v_add_co_ci_u32_e32 v13, vcc_lo, s17, v2, vcc_lo
	s_branch .LBB45_14
.LBB45_13:                              ;   in Loop: Header=BB45_14 Depth=1
	v_add_co_u32 v10, vcc_lo, 0x4000, v10
	v_add_co_ci_u32_e32 v11, vcc_lo, 0, v11, vcc_lo
	s_add_u32 s24, s24, 0xffffe000
	v_add_co_u32 v12, vcc_lo, 0x4000, v12
	s_addc_u32 s25, s25, -1
	s_add_i32 s26, s26, -1
	v_add_co_ci_u32_e32 v13, vcc_lo, 0, v13, vcc_lo
	s_addk_i32 s20, 0xe000
	s_cmp_eq_u32 s26, 0
	s_waitcnt lgkmcnt(0)
	s_waitcnt_vscnt null, 0x0
	s_cselect_b32 s11, -1, 0
	s_barrier
	buffer_gl0_inv
	s_and_not1_b32 vcc_lo, exec_lo, s11
	s_cbranch_vccz .LBB45_98
.LBB45_14:                              ; =>This Inner Loop Header: Depth=1
	v_cmp_lt_i64_e64 s11, 0x1fff, s[24:25]
	v_cmp_gt_i64_e64 s21, 0x2000, s[24:25]
	s_mov_b32 s13, -1
	s_delay_alu instid0(VALU_DEP_2)
	s_and_b32 vcc_lo, exec_lo, s11
	v_cmp_gt_u32_e64 s11, s20, v18
	s_cbranch_vccnz .LBB45_33
; %bb.15:                               ;   in Loop: Header=BB45_14 Depth=1
	s_mov_b32 s13, s12
	s_mov_b32 s14, s12
	;; [unrolled: 1-line block ×7, first 2 shown]
	v_add_co_u32 v14, vcc_lo, v12, v54
	v_dual_mov_b32 v2, s12 :: v_dual_mov_b32 v3, s13
	v_add_co_ci_u32_e32 v15, vcc_lo, 0, v13, vcc_lo
	v_dual_mov_b32 v4, s14 :: v_dual_mov_b32 v5, s15
	v_dual_mov_b32 v6, s16 :: v_dual_mov_b32 v7, s17
	;; [unrolled: 1-line block ×3, first 2 shown]
	s_and_saveexec_b32 s13, s11
	s_cbranch_execnz .LBB45_83
; %bb.16:                               ;   in Loop: Header=BB45_14 Depth=1
	s_or_b32 exec_lo, exec_lo, s13
	s_delay_alu instid0(SALU_CYCLE_1)
	s_mov_b32 s11, exec_lo
	v_cmpx_gt_u32_e64 s20, v19
	s_cbranch_execnz .LBB45_84
.LBB45_17:                              ;   in Loop: Header=BB45_14 Depth=1
	s_or_b32 exec_lo, exec_lo, s11
	s_delay_alu instid0(SALU_CYCLE_1)
	s_mov_b32 s11, exec_lo
	v_cmpx_gt_u32_e64 s20, v20
	s_cbranch_execnz .LBB45_85
.LBB45_18:                              ;   in Loop: Header=BB45_14 Depth=1
	s_or_b32 exec_lo, exec_lo, s11
	s_delay_alu instid0(SALU_CYCLE_1)
	s_mov_b32 s11, exec_lo
	v_cmpx_gt_u32_e64 s20, v21
	s_cbranch_execnz .LBB45_86
.LBB45_19:                              ;   in Loop: Header=BB45_14 Depth=1
	s_or_b32 exec_lo, exec_lo, s11
	s_delay_alu instid0(SALU_CYCLE_1)
	s_mov_b32 s11, exec_lo
	v_cmpx_gt_u32_e64 s20, v22
	s_cbranch_execnz .LBB45_87
.LBB45_20:                              ;   in Loop: Header=BB45_14 Depth=1
	s_or_b32 exec_lo, exec_lo, s11
	s_delay_alu instid0(SALU_CYCLE_1)
	s_mov_b32 s11, exec_lo
	v_cmpx_gt_u32_e64 s20, v23
	s_cbranch_execnz .LBB45_88
.LBB45_21:                              ;   in Loop: Header=BB45_14 Depth=1
	s_or_b32 exec_lo, exec_lo, s11
	s_delay_alu instid0(SALU_CYCLE_1)
	s_mov_b32 s11, exec_lo
	v_cmpx_gt_u32_e64 s20, v24
	s_cbranch_execnz .LBB45_89
.LBB45_22:                              ;   in Loop: Header=BB45_14 Depth=1
	s_or_b32 exec_lo, exec_lo, s11
	s_delay_alu instid0(SALU_CYCLE_1)
	s_mov_b32 s11, exec_lo
	v_cmpx_gt_u32_e64 s20, v25
	s_cbranch_execnz .LBB45_90
.LBB45_23:                              ;   in Loop: Header=BB45_14 Depth=1
	s_or_b32 exec_lo, exec_lo, s11
	s_delay_alu instid0(SALU_CYCLE_1)
	s_mov_b32 s11, exec_lo
	v_cmpx_gt_u32_e64 s20, v26
	s_cbranch_execnz .LBB45_91
.LBB45_24:                              ;   in Loop: Header=BB45_14 Depth=1
	s_or_b32 exec_lo, exec_lo, s11
	s_delay_alu instid0(SALU_CYCLE_1)
	s_mov_b32 s11, exec_lo
	v_cmpx_gt_u32_e64 s20, v27
	s_cbranch_execnz .LBB45_92
.LBB45_25:                              ;   in Loop: Header=BB45_14 Depth=1
	s_or_b32 exec_lo, exec_lo, s11
	s_delay_alu instid0(SALU_CYCLE_1)
	s_mov_b32 s11, exec_lo
	v_cmpx_gt_u32_e64 s20, v28
	s_cbranch_execnz .LBB45_93
.LBB45_26:                              ;   in Loop: Header=BB45_14 Depth=1
	s_or_b32 exec_lo, exec_lo, s11
	s_delay_alu instid0(SALU_CYCLE_1)
	s_mov_b32 s11, exec_lo
	v_cmpx_gt_u32_e64 s20, v29
	s_cbranch_execnz .LBB45_94
.LBB45_27:                              ;   in Loop: Header=BB45_14 Depth=1
	s_or_b32 exec_lo, exec_lo, s11
	s_delay_alu instid0(SALU_CYCLE_1)
	s_mov_b32 s11, exec_lo
	v_cmpx_gt_u32_e64 s20, v30
	s_cbranch_execnz .LBB45_95
.LBB45_28:                              ;   in Loop: Header=BB45_14 Depth=1
	s_or_b32 exec_lo, exec_lo, s11
	s_delay_alu instid0(SALU_CYCLE_1)
	s_mov_b32 s11, exec_lo
	v_cmpx_gt_u32_e64 s20, v31
	s_cbranch_execnz .LBB45_96
.LBB45_29:                              ;   in Loop: Header=BB45_14 Depth=1
	s_or_b32 exec_lo, exec_lo, s11
	s_delay_alu instid0(SALU_CYCLE_1)
	s_mov_b32 s11, exec_lo
	v_cmpx_gt_u32_e64 s20, v32
	s_cbranch_execnz .LBB45_97
.LBB45_30:                              ;   in Loop: Header=BB45_14 Depth=1
	s_or_b32 exec_lo, exec_lo, s11
	s_delay_alu instid0(SALU_CYCLE_1)
	s_mov_b32 s11, exec_lo
	v_cmpx_gt_u32_e64 s20, v33
	s_cbranch_execz .LBB45_32
.LBB45_31:                              ;   in Loop: Header=BB45_14 Depth=1
	global_load_d16_hi_b16 v9, v[14:15], off offset:960
.LBB45_32:                              ;   in Loop: Header=BB45_14 Depth=1
	s_or_b32 exec_lo, exec_lo, s11
	s_mov_b32 s13, 0
	s_waitcnt vmcnt(0)
	ds_store_b16 v34, v2
	ds_store_b16_d16_hi v35, v2
	ds_store_b16 v36, v3
	ds_store_b16_d16_hi v37, v3
	;; [unrolled: 2-line block ×8, first 2 shown]
	; wave barrier
.LBB45_33:                              ;   in Loop: Header=BB45_14 Depth=1
	s_and_b32 vcc_lo, exec_lo, s13
	s_cbranch_vccz .LBB45_35
; %bb.34:                               ;   in Loop: Header=BB45_14 Depth=1
	v_add_co_u32 v2, vcc_lo, v12, v54
	v_add_co_ci_u32_e32 v3, vcc_lo, 0, v13, vcc_lo
	s_waitcnt lgkmcnt(0)
	s_clause 0xf
	global_load_u16 v0, v[2:3], off
	global_load_u16 v4, v[2:3], off offset:64
	global_load_u16 v5, v[2:3], off offset:128
	;; [unrolled: 1-line block ×15, first 2 shown]
	s_waitcnt vmcnt(15)
	ds_store_b16 v34, v0
	s_waitcnt vmcnt(14)
	ds_store_b16 v35, v4
	;; [unrolled: 2-line block ×16, first 2 shown]
	; wave barrier
.LBB45_35:                              ;   in Loop: Header=BB45_14 Depth=1
	ds_load_b128 v[6:9], v50
	ds_load_b128 v[2:5], v50 offset:16
	s_waitcnt lgkmcnt(0)
	s_waitcnt_vscnt null, 0x0
	s_barrier
	buffer_gl0_inv
	v_lshrrev_b32_e32 v0, 16, v6
	v_lshrrev_b32_e32 v15, 16, v7
	;; [unrolled: 1-line block ×5, first 2 shown]
	v_add_nc_u16 v14, v0, v6
	v_lshrrev_b32_e32 v58, 16, v3
	v_lshrrev_b32_e32 v59, 16, v4
	s_delay_alu instid0(VALU_DEP_3) | instskip(NEXT) | instid1(VALU_DEP_1)
	v_add_nc_u16 v14, v14, v7
	v_add_nc_u16 v14, v14, v15
	s_delay_alu instid0(VALU_DEP_1) | instskip(NEXT) | instid1(VALU_DEP_1)
	v_add_nc_u16 v14, v14, v8
	v_add_nc_u16 v14, v14, v55
	s_delay_alu instid0(VALU_DEP_1) | instskip(NEXT) | instid1(VALU_DEP_1)
	;; [unrolled: 3-line block ×5, first 2 shown]
	v_add_nc_u16 v14, v14, v4
	v_add_nc_u16 v60, v14, v59
	v_lshrrev_b32_e32 v14, 16, v5
	s_delay_alu instid0(VALU_DEP_2) | instskip(NEXT) | instid1(VALU_DEP_1)
	v_add_nc_u16 v60, v60, v5
	v_add_nc_u16 v60, v60, v14
	s_delay_alu instid0(VALU_DEP_1) | instskip(NEXT) | instid1(VALU_DEP_1)
	v_and_b32_e32 v61, 0xffff, v60
	v_mov_b32_dpp v61, v61 row_shr:1 row_mask:0xf bank_mask:0xf
	s_delay_alu instid0(VALU_DEP_1) | instskip(NEXT) | instid1(VALU_DEP_1)
	v_cndmask_b32_e64 v61, v61, 0, s3
	v_add_nc_u16 v60, v60, v61
	s_delay_alu instid0(VALU_DEP_1) | instskip(NEXT) | instid1(VALU_DEP_1)
	v_and_b32_e32 v61, 0xffff, v60
	v_mov_b32_dpp v61, v61 row_shr:2 row_mask:0xf bank_mask:0xf
	s_delay_alu instid0(VALU_DEP_1) | instskip(NEXT) | instid1(VALU_DEP_1)
	v_cndmask_b32_e64 v61, 0, v61, s4
	;; [unrolled: 6-line block ×4, first 2 shown]
	v_add_nc_u16 v60, v60, v61
	s_delay_alu instid0(VALU_DEP_1) | instskip(SKIP_3) | instid1(VALU_DEP_1)
	v_and_b32_e32 v61, 0xffff, v60
	ds_swizzle_b32 v61, v61 offset:swizzle(BROADCAST,32,15)
	s_waitcnt lgkmcnt(0)
	v_cndmask_b32_e64 v61, v61, 0, s7
	v_add_nc_u16 v60, v60, v61
	s_and_saveexec_b32 s11, s8
	s_cbranch_execz .LBB45_37
; %bb.36:                               ;   in Loop: Header=BB45_14 Depth=1
	ds_store_b16 v51, v60
.LBB45_37:                              ;   in Loop: Header=BB45_14 Depth=1
	s_or_b32 exec_lo, exec_lo, s11
	s_waitcnt lgkmcnt(0)
	s_barrier
	buffer_gl0_inv
	s_and_saveexec_b32 s11, s9
	s_cbranch_execz .LBB45_39
; %bb.38:                               ;   in Loop: Header=BB45_14 Depth=1
	ds_load_u16 v61, v16
	s_waitcnt lgkmcnt(0)
	v_and_b32_e32 v62, 0xffff, v61
	s_delay_alu instid0(VALU_DEP_1) | instskip(NEXT) | instid1(VALU_DEP_1)
	v_mov_b32_dpp v62, v62 row_shr:1 row_mask:0xf bank_mask:0xf
	v_cndmask_b32_e64 v62, v62, 0, s3
	s_delay_alu instid0(VALU_DEP_1) | instskip(NEXT) | instid1(VALU_DEP_1)
	v_add_nc_u16 v61, v62, v61
	v_and_b32_e32 v62, 0xffff, v61
	s_delay_alu instid0(VALU_DEP_1) | instskip(NEXT) | instid1(VALU_DEP_1)
	v_mov_b32_dpp v62, v62 row_shr:2 row_mask:0xf bank_mask:0xf
	v_cndmask_b32_e64 v62, 0, v62, s4
	s_delay_alu instid0(VALU_DEP_1) | instskip(NEXT) | instid1(VALU_DEP_1)
	v_add_nc_u16 v61, v61, v62
	;; [unrolled: 6-line block ×3, first 2 shown]
	v_and_b32_e32 v62, 0xffff, v61
	s_delay_alu instid0(VALU_DEP_1) | instskip(NEXT) | instid1(VALU_DEP_1)
	v_mov_b32_dpp v62, v62 row_shr:8 row_mask:0xf bank_mask:0xf
	v_cndmask_b32_e64 v62, 0, v62, s6
	s_delay_alu instid0(VALU_DEP_1)
	v_add_nc_u16 v61, v61, v62
	ds_store_b16 v16, v61
.LBB45_39:                              ;   in Loop: Header=BB45_14 Depth=1
	s_or_b32 exec_lo, exec_lo, s11
	s_waitcnt lgkmcnt(0)
	s_barrier
	buffer_gl0_inv
                                        ; implicit-def: $vgpr61
	s_and_saveexec_b32 s11, s1
	s_cbranch_execz .LBB45_41
; %bb.40:                               ;   in Loop: Header=BB45_14 Depth=1
	ds_load_u16 v61, v52
	s_waitcnt lgkmcnt(0)
	v_add_nc_u16 v60, v61, v60
.LBB45_41:                              ;   in Loop: Header=BB45_14 Depth=1
	s_or_b32 exec_lo, exec_lo, s11
	s_delay_alu instid0(VALU_DEP_1)
	v_and_b32_e32 v60, 0xffff, v60
	ds_bpermute_b32 v60, v53, v60
	s_and_saveexec_b32 s11, s2
	s_cbranch_execz .LBB45_45
; %bb.42:                               ;   in Loop: Header=BB45_14 Depth=1
	ds_load_u16 v62, v1 offset:30
	s_and_saveexec_b32 s13, s10
	s_cbranch_execz .LBB45_44
; %bb.43:                               ;   in Loop: Header=BB45_14 Depth=1
	ds_store_b16 v1, v17 offset:30
.LBB45_44:                              ;   in Loop: Header=BB45_14 Depth=1
	s_or_b32 exec_lo, exec_lo, s13
	s_waitcnt lgkmcnt(0)
	v_add_nc_u16 v17, v62, v17
.LBB45_45:                              ;   in Loop: Header=BB45_14 Depth=1
	s_or_b32 exec_lo, exec_lo, s11
	s_waitcnt lgkmcnt(0)
	s_barrier
	buffer_gl0_inv
	ds_load_u16 v62, v1 offset:30
	v_cndmask_b32_e64 v60, v60, v61, s0
	s_and_b32 vcc_lo, exec_lo, s21
	s_waitcnt lgkmcnt(0)
	s_barrier
	buffer_gl0_inv
	v_cndmask_b32_e64 v60, v60, 0, s10
	s_delay_alu instid0(VALU_DEP_1) | instskip(NEXT) | instid1(VALU_DEP_1)
	v_add_nc_u16 v6, v60, v6
	v_add_nc_u16 v6, v6, v62
	s_delay_alu instid0(VALU_DEP_1) | instskip(NEXT) | instid1(VALU_DEP_1)
	v_add_nc_u16 v0, v6, v0
	v_add_nc_u16 v7, v0, v7
	;; [unrolled: 3-line block ×5, first 2 shown]
	v_perm_b32 v2, v0, v6, 0x5040100
	s_delay_alu instid0(VALU_DEP_2) | instskip(NEXT) | instid1(VALU_DEP_1)
	v_add_nc_u16 v57, v60, v57
	v_add_nc_u16 v61, v57, v3
	v_perm_b32 v3, v15, v7, 0x5040100
	v_perm_b32 v6, v57, v60, 0x5040100
	s_delay_alu instid0(VALU_DEP_3) | instskip(NEXT) | instid1(VALU_DEP_1)
	v_add_nc_u16 v58, v61, v58
	v_add_nc_u16 v62, v58, v4
	v_perm_b32 v4, v55, v8, 0x5040100
	v_perm_b32 v7, v58, v61, 0x5040100
	s_delay_alu instid0(VALU_DEP_3) | instskip(NEXT) | instid1(VALU_DEP_1)
	;; [unrolled: 5-line block ×3, first 2 shown]
	v_add_nc_u16 v0, v63, v14
	v_perm_b32 v9, v0, v63, 0x5040100
	s_cbranch_vccz .LBB45_66
; %bb.46:                               ;   in Loop: Header=BB45_14 Depth=1
	ds_store_b128 v50, v[2:5]
	ds_store_b128 v50, v[6:9] offset:16
	; wave barrier
	ds_load_u16 v69, v34
	ds_load_u16 v68, v35
	ds_load_u16 v67, v36
	ds_load_u16 v66, v37
	ds_load_u16 v65, v38
	ds_load_u16 v64, v39
	ds_load_u16 v63, v40
	ds_load_u16 v62, v41
	ds_load_u16 v61, v42
	ds_load_u16 v60, v43
	ds_load_u16 v59, v44
	ds_load_u16 v58, v45
	ds_load_u16 v57, v46
	ds_load_u16 v56, v47
	ds_load_u16 v55, v48
	ds_load_u16 v0, v49
	v_add_co_u32 v14, vcc_lo, v10, v54
	v_add_co_ci_u32_e32 v15, vcc_lo, 0, v11, vcc_lo
	s_mov_b32 s11, exec_lo
	v_cmpx_gt_u32_e64 s20, v18
	s_cbranch_execnz .LBB45_69
; %bb.47:                               ;   in Loop: Header=BB45_14 Depth=1
	s_or_b32 exec_lo, exec_lo, s11
	s_delay_alu instid0(SALU_CYCLE_1)
	s_mov_b32 s11, exec_lo
	v_cmpx_gt_u32_e64 s20, v19
	s_cbranch_execnz .LBB45_70
.LBB45_48:                              ;   in Loop: Header=BB45_14 Depth=1
	s_or_b32 exec_lo, exec_lo, s11
	s_delay_alu instid0(SALU_CYCLE_1)
	s_mov_b32 s11, exec_lo
	v_cmpx_gt_u32_e64 s20, v20
	s_cbranch_execnz .LBB45_71
.LBB45_49:                              ;   in Loop: Header=BB45_14 Depth=1
	s_or_b32 exec_lo, exec_lo, s11
	s_delay_alu instid0(SALU_CYCLE_1)
	s_mov_b32 s11, exec_lo
	v_cmpx_gt_u32_e64 s20, v21
	s_cbranch_execnz .LBB45_72
.LBB45_50:                              ;   in Loop: Header=BB45_14 Depth=1
	s_or_b32 exec_lo, exec_lo, s11
	s_delay_alu instid0(SALU_CYCLE_1)
	s_mov_b32 s11, exec_lo
	v_cmpx_gt_u32_e64 s20, v22
	s_cbranch_execnz .LBB45_73
.LBB45_51:                              ;   in Loop: Header=BB45_14 Depth=1
	s_or_b32 exec_lo, exec_lo, s11
	s_delay_alu instid0(SALU_CYCLE_1)
	s_mov_b32 s11, exec_lo
	v_cmpx_gt_u32_e64 s20, v23
	s_cbranch_execnz .LBB45_74
.LBB45_52:                              ;   in Loop: Header=BB45_14 Depth=1
	s_or_b32 exec_lo, exec_lo, s11
	s_delay_alu instid0(SALU_CYCLE_1)
	s_mov_b32 s11, exec_lo
	v_cmpx_gt_u32_e64 s20, v24
	s_cbranch_execnz .LBB45_75
.LBB45_53:                              ;   in Loop: Header=BB45_14 Depth=1
	s_or_b32 exec_lo, exec_lo, s11
	s_delay_alu instid0(SALU_CYCLE_1)
	s_mov_b32 s11, exec_lo
	v_cmpx_gt_u32_e64 s20, v25
	s_cbranch_execnz .LBB45_76
.LBB45_54:                              ;   in Loop: Header=BB45_14 Depth=1
	s_or_b32 exec_lo, exec_lo, s11
	s_delay_alu instid0(SALU_CYCLE_1)
	s_mov_b32 s11, exec_lo
	v_cmpx_gt_u32_e64 s20, v26
	s_cbranch_execnz .LBB45_77
.LBB45_55:                              ;   in Loop: Header=BB45_14 Depth=1
	s_or_b32 exec_lo, exec_lo, s11
	s_delay_alu instid0(SALU_CYCLE_1)
	s_mov_b32 s11, exec_lo
	v_cmpx_gt_u32_e64 s20, v27
	s_cbranch_execnz .LBB45_78
.LBB45_56:                              ;   in Loop: Header=BB45_14 Depth=1
	s_or_b32 exec_lo, exec_lo, s11
	s_delay_alu instid0(SALU_CYCLE_1)
	s_mov_b32 s11, exec_lo
	v_cmpx_gt_u32_e64 s20, v28
	s_cbranch_execnz .LBB45_79
.LBB45_57:                              ;   in Loop: Header=BB45_14 Depth=1
	s_or_b32 exec_lo, exec_lo, s11
	s_delay_alu instid0(SALU_CYCLE_1)
	s_mov_b32 s11, exec_lo
	v_cmpx_gt_u32_e64 s20, v29
	s_cbranch_execnz .LBB45_80
.LBB45_58:                              ;   in Loop: Header=BB45_14 Depth=1
	s_or_b32 exec_lo, exec_lo, s11
	s_delay_alu instid0(SALU_CYCLE_1)
	s_mov_b32 s11, exec_lo
	v_cmpx_gt_u32_e64 s20, v30
	s_cbranch_execnz .LBB45_81
.LBB45_59:                              ;   in Loop: Header=BB45_14 Depth=1
	s_or_b32 exec_lo, exec_lo, s11
	s_delay_alu instid0(SALU_CYCLE_1)
	s_mov_b32 s11, exec_lo
	v_cmpx_gt_u32_e64 s20, v31
	s_cbranch_execnz .LBB45_82
.LBB45_60:                              ;   in Loop: Header=BB45_14 Depth=1
	s_or_b32 exec_lo, exec_lo, s11
	s_delay_alu instid0(SALU_CYCLE_1)
	s_mov_b32 s11, exec_lo
	v_cmpx_gt_u32_e64 s20, v32
	s_cbranch_execz .LBB45_62
.LBB45_61:                              ;   in Loop: Header=BB45_14 Depth=1
	s_waitcnt lgkmcnt(1)
	global_store_b16 v[14:15], v55, off offset:-64
.LBB45_62:                              ;   in Loop: Header=BB45_14 Depth=1
	s_or_b32 exec_lo, exec_lo, s11
	v_cmp_gt_u32_e64 s11, s20, v33
	s_branch .LBB45_64
.LBB45_63:                              ;   in Loop: Header=BB45_14 Depth=1
	ds_store_b128 v50, v[2:5]
	ds_store_b128 v50, v[6:9] offset:16
	; wave barrier
	ds_load_u16 v4, v34
	ds_load_u16 v5, v35
	;; [unrolled: 1-line block ×8, first 2 shown]
	s_waitcnt lgkmcnt(11)
	ds_load_u16 v55, v42
	ds_load_u16 v56, v43
	ds_load_u16 v57, v44
	ds_load_u16 v58, v45
	ds_load_u16 v59, v46
	ds_load_u16 v60, v47
	ds_load_u16 v61, v48
	s_waitcnt lgkmcnt(17)
	ds_load_u16 v0, v49
	v_add_co_u32 v2, vcc_lo, v10, v54
	v_add_co_ci_u32_e32 v3, vcc_lo, 0, v11, vcc_lo
	s_or_b32 s11, s11, exec_lo
	s_waitcnt lgkmcnt(15)
	global_store_b16 v[2:3], v4, off offset:-960
	s_waitcnt lgkmcnt(14)
	global_store_b16 v[2:3], v5, off offset:-896
	s_waitcnt lgkmcnt(13)
	global_store_b16 v[2:3], v6, off offset:-832
	s_waitcnt lgkmcnt(12)
	global_store_b16 v[2:3], v7, off offset:-768
	s_waitcnt lgkmcnt(11)
	global_store_b16 v[2:3], v8, off offset:-704
	s_waitcnt lgkmcnt(10)
	global_store_b16 v[2:3], v9, off offset:-640
	s_waitcnt lgkmcnt(9)
	global_store_b16 v[2:3], v14, off offset:-576
	s_waitcnt lgkmcnt(8)
	global_store_b16 v[2:3], v15, off offset:-512
	s_waitcnt lgkmcnt(7)
	global_store_b16 v[2:3], v55, off offset:-448
	s_waitcnt lgkmcnt(6)
	global_store_b16 v[2:3], v56, off offset:-384
	s_waitcnt lgkmcnt(5)
	global_store_b16 v[2:3], v57, off offset:-320
	s_waitcnt lgkmcnt(4)
	global_store_b16 v[2:3], v58, off offset:-256
	s_waitcnt lgkmcnt(3)
	global_store_b16 v[2:3], v59, off offset:-192
	s_waitcnt lgkmcnt(2)
	global_store_b16 v[2:3], v60, off offset:-128
	s_waitcnt lgkmcnt(1)
	global_store_b16 v[2:3], v61, off offset:-64
.LBB45_64:                              ;   in Loop: Header=BB45_14 Depth=1
	s_delay_alu instid0(VALU_DEP_1)
	s_and_saveexec_b32 s13, s11
	s_cbranch_execnz .LBB45_67
; %bb.65:                               ;   in Loop: Header=BB45_14 Depth=1
	s_or_b32 exec_lo, exec_lo, s13
	v_cmp_gt_i64_e64 s11, 0x2001, s[24:25]
	s_delay_alu instid0(VALU_DEP_1)
	s_and_b32 vcc_lo, exec_lo, s11
	s_cbranch_vccz .LBB45_13
	s_branch .LBB45_68
.LBB45_66:                              ;   in Loop: Header=BB45_14 Depth=1
	s_mov_b32 s11, 0
                                        ; implicit-def: $vgpr0
	s_cbranch_execnz .LBB45_63
	s_branch .LBB45_64
.LBB45_67:                              ;   in Loop: Header=BB45_14 Depth=1
	v_add_co_u32 v2, vcc_lo, v10, v54
	v_add_co_ci_u32_e32 v3, vcc_lo, 0, v11, vcc_lo
	s_waitcnt lgkmcnt(0)
	global_store_b16 v[2:3], v0, off
	s_or_b32 exec_lo, exec_lo, s13
	v_cmp_gt_i64_e64 s11, 0x2001, s[24:25]
	s_delay_alu instid0(VALU_DEP_1)
	s_and_b32 vcc_lo, exec_lo, s11
	s_cbranch_vccz .LBB45_13
.LBB45_68:
                                        ; implicit-def: $vgpr17
                                        ; implicit-def: $sgpr24_sgpr25
                                        ; implicit-def: $sgpr26
                                        ; implicit-def: $vgpr10_vgpr11
                                        ; implicit-def: $vgpr12_vgpr13
                                        ; implicit-def: $sgpr20
	s_branch .LBB45_98
.LBB45_69:                              ;   in Loop: Header=BB45_14 Depth=1
	s_waitcnt lgkmcnt(15)
	global_store_b16 v[14:15], v69, off offset:-960
	s_or_b32 exec_lo, exec_lo, s11
	s_delay_alu instid0(SALU_CYCLE_1)
	s_mov_b32 s11, exec_lo
	v_cmpx_gt_u32_e64 s20, v19
	s_cbranch_execz .LBB45_48
.LBB45_70:                              ;   in Loop: Header=BB45_14 Depth=1
	s_waitcnt lgkmcnt(14)
	global_store_b16 v[14:15], v68, off offset:-896
	s_or_b32 exec_lo, exec_lo, s11
	s_delay_alu instid0(SALU_CYCLE_1)
	s_mov_b32 s11, exec_lo
	v_cmpx_gt_u32_e64 s20, v20
	s_cbranch_execz .LBB45_49
.LBB45_71:                              ;   in Loop: Header=BB45_14 Depth=1
	s_waitcnt lgkmcnt(13)
	global_store_b16 v[14:15], v67, off offset:-832
	s_or_b32 exec_lo, exec_lo, s11
	s_delay_alu instid0(SALU_CYCLE_1)
	s_mov_b32 s11, exec_lo
	v_cmpx_gt_u32_e64 s20, v21
	s_cbranch_execz .LBB45_50
.LBB45_72:                              ;   in Loop: Header=BB45_14 Depth=1
	s_waitcnt lgkmcnt(12)
	global_store_b16 v[14:15], v66, off offset:-768
	s_or_b32 exec_lo, exec_lo, s11
	s_delay_alu instid0(SALU_CYCLE_1)
	s_mov_b32 s11, exec_lo
	v_cmpx_gt_u32_e64 s20, v22
	s_cbranch_execz .LBB45_51
.LBB45_73:                              ;   in Loop: Header=BB45_14 Depth=1
	s_waitcnt lgkmcnt(11)
	global_store_b16 v[14:15], v65, off offset:-704
	s_or_b32 exec_lo, exec_lo, s11
	s_delay_alu instid0(SALU_CYCLE_1)
	s_mov_b32 s11, exec_lo
	v_cmpx_gt_u32_e64 s20, v23
	s_cbranch_execz .LBB45_52
.LBB45_74:                              ;   in Loop: Header=BB45_14 Depth=1
	s_waitcnt lgkmcnt(10)
	global_store_b16 v[14:15], v64, off offset:-640
	s_or_b32 exec_lo, exec_lo, s11
	s_delay_alu instid0(SALU_CYCLE_1)
	s_mov_b32 s11, exec_lo
	v_cmpx_gt_u32_e64 s20, v24
	s_cbranch_execz .LBB45_53
.LBB45_75:                              ;   in Loop: Header=BB45_14 Depth=1
	s_waitcnt lgkmcnt(9)
	global_store_b16 v[14:15], v63, off offset:-576
	s_or_b32 exec_lo, exec_lo, s11
	s_delay_alu instid0(SALU_CYCLE_1)
	s_mov_b32 s11, exec_lo
	v_cmpx_gt_u32_e64 s20, v25
	s_cbranch_execz .LBB45_54
.LBB45_76:                              ;   in Loop: Header=BB45_14 Depth=1
	s_waitcnt lgkmcnt(8)
	global_store_b16 v[14:15], v62, off offset:-512
	s_or_b32 exec_lo, exec_lo, s11
	s_delay_alu instid0(SALU_CYCLE_1)
	s_mov_b32 s11, exec_lo
	v_cmpx_gt_u32_e64 s20, v26
	s_cbranch_execz .LBB45_55
.LBB45_77:                              ;   in Loop: Header=BB45_14 Depth=1
	s_waitcnt lgkmcnt(7)
	global_store_b16 v[14:15], v61, off offset:-448
	s_or_b32 exec_lo, exec_lo, s11
	s_delay_alu instid0(SALU_CYCLE_1)
	s_mov_b32 s11, exec_lo
	v_cmpx_gt_u32_e64 s20, v27
	s_cbranch_execz .LBB45_56
.LBB45_78:                              ;   in Loop: Header=BB45_14 Depth=1
	s_waitcnt lgkmcnt(6)
	global_store_b16 v[14:15], v60, off offset:-384
	s_or_b32 exec_lo, exec_lo, s11
	s_delay_alu instid0(SALU_CYCLE_1)
	s_mov_b32 s11, exec_lo
	v_cmpx_gt_u32_e64 s20, v28
	s_cbranch_execz .LBB45_57
.LBB45_79:                              ;   in Loop: Header=BB45_14 Depth=1
	s_waitcnt lgkmcnt(5)
	global_store_b16 v[14:15], v59, off offset:-320
	s_or_b32 exec_lo, exec_lo, s11
	s_delay_alu instid0(SALU_CYCLE_1)
	s_mov_b32 s11, exec_lo
	v_cmpx_gt_u32_e64 s20, v29
	s_cbranch_execz .LBB45_58
.LBB45_80:                              ;   in Loop: Header=BB45_14 Depth=1
	s_waitcnt lgkmcnt(4)
	global_store_b16 v[14:15], v58, off offset:-256
	s_or_b32 exec_lo, exec_lo, s11
	s_delay_alu instid0(SALU_CYCLE_1)
	s_mov_b32 s11, exec_lo
	v_cmpx_gt_u32_e64 s20, v30
	s_cbranch_execz .LBB45_59
.LBB45_81:                              ;   in Loop: Header=BB45_14 Depth=1
	s_waitcnt lgkmcnt(3)
	global_store_b16 v[14:15], v57, off offset:-192
	s_or_b32 exec_lo, exec_lo, s11
	s_delay_alu instid0(SALU_CYCLE_1)
	s_mov_b32 s11, exec_lo
	v_cmpx_gt_u32_e64 s20, v31
	s_cbranch_execz .LBB45_60
.LBB45_82:                              ;   in Loop: Header=BB45_14 Depth=1
	s_waitcnt lgkmcnt(2)
	global_store_b16 v[14:15], v56, off offset:-128
	s_or_b32 exec_lo, exec_lo, s11
	s_delay_alu instid0(SALU_CYCLE_1)
	s_mov_b32 s11, exec_lo
	v_cmpx_gt_u32_e64 s20, v32
	s_cbranch_execnz .LBB45_61
	s_branch .LBB45_62
.LBB45_83:                              ;   in Loop: Header=BB45_14 Depth=1
	s_waitcnt lgkmcnt(0)
	v_dual_mov_b32 v0, 0 :: v_dual_mov_b32 v3, v1
	v_mov_b32_e32 v7, v1
	v_mov_b32_e32 v2, v1
	;; [unrolled: 1-line block ×3, first 2 shown]
	global_load_d16_b16 v0, v[14:15], off
	v_mov_b32_e32 v5, v1
	v_mov_b32_e32 v6, v1
	s_waitcnt vmcnt(0)
	v_mov_b32_e32 v9, v7
	s_delay_alu instid0(VALU_DEP_2)
	v_dual_mov_b32 v8, v6 :: v_dual_mov_b32 v7, v5
	v_mov_b32_e32 v6, v4
	v_mov_b32_e32 v5, v3
	v_mov_b32_e32 v4, v2
	v_mov_b32_e32 v3, v1
	v_mov_b32_e32 v2, v0
	s_or_b32 exec_lo, exec_lo, s13
	s_delay_alu instid0(SALU_CYCLE_1)
	s_mov_b32 s11, exec_lo
	v_cmpx_gt_u32_e64 s20, v19
	s_cbranch_execz .LBB45_17
.LBB45_84:                              ;   in Loop: Header=BB45_14 Depth=1
	global_load_d16_hi_b16 v2, v[14:15], off offset:64
	s_or_b32 exec_lo, exec_lo, s11
	s_delay_alu instid0(SALU_CYCLE_1)
	s_mov_b32 s11, exec_lo
	v_cmpx_gt_u32_e64 s20, v20
	s_cbranch_execz .LBB45_18
.LBB45_85:                              ;   in Loop: Header=BB45_14 Depth=1
	global_load_d16_b16 v3, v[14:15], off offset:128
	s_or_b32 exec_lo, exec_lo, s11
	s_delay_alu instid0(SALU_CYCLE_1)
	s_mov_b32 s11, exec_lo
	v_cmpx_gt_u32_e64 s20, v21
	s_cbranch_execz .LBB45_19
.LBB45_86:                              ;   in Loop: Header=BB45_14 Depth=1
	global_load_d16_hi_b16 v3, v[14:15], off offset:192
	s_or_b32 exec_lo, exec_lo, s11
	s_delay_alu instid0(SALU_CYCLE_1)
	s_mov_b32 s11, exec_lo
	v_cmpx_gt_u32_e64 s20, v22
	s_cbranch_execz .LBB45_20
.LBB45_87:                              ;   in Loop: Header=BB45_14 Depth=1
	global_load_d16_b16 v4, v[14:15], off offset:256
	s_or_b32 exec_lo, exec_lo, s11
	s_delay_alu instid0(SALU_CYCLE_1)
	s_mov_b32 s11, exec_lo
	v_cmpx_gt_u32_e64 s20, v23
	s_cbranch_execz .LBB45_21
.LBB45_88:                              ;   in Loop: Header=BB45_14 Depth=1
	global_load_d16_hi_b16 v4, v[14:15], off offset:320
	s_or_b32 exec_lo, exec_lo, s11
	s_delay_alu instid0(SALU_CYCLE_1)
	s_mov_b32 s11, exec_lo
	v_cmpx_gt_u32_e64 s20, v24
	s_cbranch_execz .LBB45_22
.LBB45_89:                              ;   in Loop: Header=BB45_14 Depth=1
	global_load_d16_b16 v5, v[14:15], off offset:384
	s_or_b32 exec_lo, exec_lo, s11
	s_delay_alu instid0(SALU_CYCLE_1)
	s_mov_b32 s11, exec_lo
	v_cmpx_gt_u32_e64 s20, v25
	s_cbranch_execz .LBB45_23
.LBB45_90:                              ;   in Loop: Header=BB45_14 Depth=1
	global_load_d16_hi_b16 v5, v[14:15], off offset:448
	s_or_b32 exec_lo, exec_lo, s11
	s_delay_alu instid0(SALU_CYCLE_1)
	s_mov_b32 s11, exec_lo
	v_cmpx_gt_u32_e64 s20, v26
	s_cbranch_execz .LBB45_24
.LBB45_91:                              ;   in Loop: Header=BB45_14 Depth=1
	global_load_d16_b16 v6, v[14:15], off offset:512
	s_or_b32 exec_lo, exec_lo, s11
	s_delay_alu instid0(SALU_CYCLE_1)
	s_mov_b32 s11, exec_lo
	v_cmpx_gt_u32_e64 s20, v27
	s_cbranch_execz .LBB45_25
.LBB45_92:                              ;   in Loop: Header=BB45_14 Depth=1
	global_load_d16_hi_b16 v6, v[14:15], off offset:576
	s_or_b32 exec_lo, exec_lo, s11
	s_delay_alu instid0(SALU_CYCLE_1)
	s_mov_b32 s11, exec_lo
	v_cmpx_gt_u32_e64 s20, v28
	s_cbranch_execz .LBB45_26
.LBB45_93:                              ;   in Loop: Header=BB45_14 Depth=1
	global_load_d16_b16 v7, v[14:15], off offset:640
	s_or_b32 exec_lo, exec_lo, s11
	s_delay_alu instid0(SALU_CYCLE_1)
	s_mov_b32 s11, exec_lo
	v_cmpx_gt_u32_e64 s20, v29
	s_cbranch_execz .LBB45_27
.LBB45_94:                              ;   in Loop: Header=BB45_14 Depth=1
	global_load_d16_hi_b16 v7, v[14:15], off offset:704
	s_or_b32 exec_lo, exec_lo, s11
	s_delay_alu instid0(SALU_CYCLE_1)
	s_mov_b32 s11, exec_lo
	v_cmpx_gt_u32_e64 s20, v30
	s_cbranch_execz .LBB45_28
.LBB45_95:                              ;   in Loop: Header=BB45_14 Depth=1
	global_load_d16_b16 v8, v[14:15], off offset:768
	s_or_b32 exec_lo, exec_lo, s11
	s_delay_alu instid0(SALU_CYCLE_1)
	s_mov_b32 s11, exec_lo
	v_cmpx_gt_u32_e64 s20, v31
	s_cbranch_execz .LBB45_29
.LBB45_96:                              ;   in Loop: Header=BB45_14 Depth=1
	global_load_d16_hi_b16 v8, v[14:15], off offset:832
	s_or_b32 exec_lo, exec_lo, s11
	s_delay_alu instid0(SALU_CYCLE_1)
	s_mov_b32 s11, exec_lo
	v_cmpx_gt_u32_e64 s20, v32
	s_cbranch_execz .LBB45_30
.LBB45_97:                              ;   in Loop: Header=BB45_14 Depth=1
	global_load_d16_b16 v9, v[14:15], off offset:896
	s_or_b32 exec_lo, exec_lo, s11
	s_delay_alu instid0(SALU_CYCLE_1)
	s_mov_b32 s11, exec_lo
	v_cmpx_gt_u32_e64 s20, v33
	s_cbranch_execnz .LBB45_31
	s_branch .LBB45_32
.LBB45_98:
	s_nop 0
	s_sendmsg sendmsg(MSG_DEALLOC_VGPRS)
	s_endpgm
	.section	.rodata,"a",@progbits
	.p2align	6, 0x0
	.amdhsa_kernel _ZN2at4cuda3cub17final_scan_kernelILi512ELi16EsEEvPKT1_PS3_S6_li
		.amdhsa_group_segment_fixed_size 16896
		.amdhsa_private_segment_fixed_size 0
		.amdhsa_kernarg_size 296
		.amdhsa_user_sgpr_count 15
		.amdhsa_user_sgpr_dispatch_ptr 0
		.amdhsa_user_sgpr_queue_ptr 0
		.amdhsa_user_sgpr_kernarg_segment_ptr 1
		.amdhsa_user_sgpr_dispatch_id 0
		.amdhsa_user_sgpr_private_segment_size 0
		.amdhsa_wavefront_size32 1
		.amdhsa_uses_dynamic_stack 0
		.amdhsa_enable_private_segment 0
		.amdhsa_system_sgpr_workgroup_id_x 1
		.amdhsa_system_sgpr_workgroup_id_y 0
		.amdhsa_system_sgpr_workgroup_id_z 0
		.amdhsa_system_sgpr_workgroup_info 0
		.amdhsa_system_vgpr_workitem_id 0
		.amdhsa_next_free_vgpr 70
		.amdhsa_next_free_sgpr 27
		.amdhsa_reserve_vcc 1
		.amdhsa_float_round_mode_32 0
		.amdhsa_float_round_mode_16_64 0
		.amdhsa_float_denorm_mode_32 3
		.amdhsa_float_denorm_mode_16_64 3
		.amdhsa_dx10_clamp 1
		.amdhsa_ieee_mode 1
		.amdhsa_fp16_overflow 0
		.amdhsa_workgroup_processor_mode 1
		.amdhsa_memory_ordered 1
		.amdhsa_forward_progress 0
		.amdhsa_shared_vgpr_count 0
		.amdhsa_exception_fp_ieee_invalid_op 0
		.amdhsa_exception_fp_denorm_src 0
		.amdhsa_exception_fp_ieee_div_zero 0
		.amdhsa_exception_fp_ieee_overflow 0
		.amdhsa_exception_fp_ieee_underflow 0
		.amdhsa_exception_fp_ieee_inexact 0
		.amdhsa_exception_int_div_zero 0
	.end_amdhsa_kernel
	.section	.text._ZN2at4cuda3cub17final_scan_kernelILi512ELi16EsEEvPKT1_PS3_S6_li,"axG",@progbits,_ZN2at4cuda3cub17final_scan_kernelILi512ELi16EsEEvPKT1_PS3_S6_li,comdat
.Lfunc_end45:
	.size	_ZN2at4cuda3cub17final_scan_kernelILi512ELi16EsEEvPKT1_PS3_S6_li, .Lfunc_end45-_ZN2at4cuda3cub17final_scan_kernelILi512ELi16EsEEvPKT1_PS3_S6_li
                                        ; -- End function
	.section	.AMDGPU.csdata,"",@progbits
; Kernel info:
; codeLenInByte = 5660
; NumSgprs: 29
; NumVgprs: 70
; ScratchSize: 0
; MemoryBound: 0
; FloatMode: 240
; IeeeMode: 1
; LDSByteSize: 16896 bytes/workgroup (compile time only)
; SGPRBlocks: 3
; VGPRBlocks: 8
; NumSGPRsForWavesPerEU: 29
; NumVGPRsForWavesPerEU: 70
; Occupancy: 16
; WaveLimiterHint : 0
; COMPUTE_PGM_RSRC2:SCRATCH_EN: 0
; COMPUTE_PGM_RSRC2:USER_SGPR: 15
; COMPUTE_PGM_RSRC2:TRAP_HANDLER: 0
; COMPUTE_PGM_RSRC2:TGID_X_EN: 1
; COMPUTE_PGM_RSRC2:TGID_Y_EN: 0
; COMPUTE_PGM_RSRC2:TGID_Z_EN: 0
; COMPUTE_PGM_RSRC2:TIDIG_COMP_CNT: 0
	.section	.text._ZN7rocprim17ROCPRIM_304000_NS6detail31init_lookback_scan_state_kernelINS1_19lookback_scan_stateIsLb1ELb1EEEEEvT_jjPNS5_10value_typeE,"axG",@progbits,_ZN7rocprim17ROCPRIM_304000_NS6detail31init_lookback_scan_state_kernelINS1_19lookback_scan_stateIsLb1ELb1EEEEEvT_jjPNS5_10value_typeE,comdat
	.protected	_ZN7rocprim17ROCPRIM_304000_NS6detail31init_lookback_scan_state_kernelINS1_19lookback_scan_stateIsLb1ELb1EEEEEvT_jjPNS5_10value_typeE ; -- Begin function _ZN7rocprim17ROCPRIM_304000_NS6detail31init_lookback_scan_state_kernelINS1_19lookback_scan_stateIsLb1ELb1EEEEEvT_jjPNS5_10value_typeE
	.globl	_ZN7rocprim17ROCPRIM_304000_NS6detail31init_lookback_scan_state_kernelINS1_19lookback_scan_stateIsLb1ELb1EEEEEvT_jjPNS5_10value_typeE
	.p2align	8
	.type	_ZN7rocprim17ROCPRIM_304000_NS6detail31init_lookback_scan_state_kernelINS1_19lookback_scan_stateIsLb1ELb1EEEEEvT_jjPNS5_10value_typeE,@function
_ZN7rocprim17ROCPRIM_304000_NS6detail31init_lookback_scan_state_kernelINS1_19lookback_scan_stateIsLb1ELb1EEEEEvT_jjPNS5_10value_typeE: ; @_ZN7rocprim17ROCPRIM_304000_NS6detail31init_lookback_scan_state_kernelINS1_19lookback_scan_stateIsLb1ELb1EEEEEvT_jjPNS5_10value_typeE
; %bb.0:
	s_clause 0x2
	s_load_b32 s6, s[0:1], 0x24
	s_load_b64 s[4:5], s[0:1], 0x10
	s_load_b128 s[0:3], s[0:1], 0x0
	s_waitcnt lgkmcnt(0)
	s_and_b32 s6, s6, 0xffff
	s_cmp_eq_u64 s[4:5], 0
	v_mad_u64_u32 v[1:2], null, s15, s6, v[0:1]
	s_cbranch_scc1 .LBB46_9
; %bb.1:
	s_cmp_lt_u32 s3, s2
	s_mov_b32 s7, 0
	s_cselect_b32 s6, s3, 0
	s_mov_b32 s8, exec_lo
	s_delay_alu instid0(VALU_DEP_1)
	v_cmpx_eq_u32_e64 s6, v1
	s_cbranch_execz .LBB46_8
; %bb.2:
	s_add_i32 s6, s3, 32
	v_mov_b32_e32 v0, 0
	s_lshl_b64 s[6:7], s[6:7], 2
	s_delay_alu instid0(SALU_CYCLE_1) | instskip(SKIP_4) | instid1(VALU_DEP_1)
	s_add_u32 s6, s0, s6
	s_addc_u32 s7, s1, s7
	global_load_b32 v2, v0, s[6:7] glc
	s_waitcnt vmcnt(0)
	v_and_b32_e32 v3, 0xff0000, v2
	v_cmp_ne_u32_e32 vcc_lo, 0, v3
	s_cbranch_vccnz .LBB46_7
; %bb.3:
	s_mov_b32 s3, 1
.LBB46_4:                               ; =>This Loop Header: Depth=1
                                        ;     Child Loop BB46_5 Depth 2
	s_delay_alu instid0(SALU_CYCLE_1)
	s_max_u32 s9, s3, 1
.LBB46_5:                               ;   Parent Loop BB46_4 Depth=1
                                        ; =>  This Inner Loop Header: Depth=2
	s_delay_alu instid0(SALU_CYCLE_1)
	s_add_i32 s9, s9, -1
	s_sleep 1
	s_cmp_eq_u32 s9, 0
	s_cbranch_scc0 .LBB46_5
; %bb.6:                                ;   in Loop: Header=BB46_4 Depth=1
	global_load_b32 v2, v0, s[6:7] glc
	s_cmp_lt_u32 s3, 32
	s_cselect_b32 s9, -1, 0
	s_delay_alu instid0(SALU_CYCLE_1) | instskip(SKIP_3) | instid1(VALU_DEP_1)
	s_cmp_lg_u32 s9, 0
	s_addc_u32 s3, s3, 0
	s_waitcnt vmcnt(0)
	v_and_b32_e32 v3, 0xff0000, v2
	v_cmp_ne_u32_e32 vcc_lo, 0, v3
	s_cbranch_vccz .LBB46_4
.LBB46_7:
	v_mov_b32_e32 v0, 0
	global_store_b16 v0, v2, s[4:5]
.LBB46_8:
	s_or_b32 exec_lo, exec_lo, s8
.LBB46_9:
	s_delay_alu instid0(VALU_DEP_1)
	v_cmp_gt_u32_e32 vcc_lo, s2, v1
	s_and_saveexec_b32 s2, vcc_lo
	s_cbranch_execz .LBB46_11
; %bb.10:
	v_dual_mov_b32 v3, 0 :: v_dual_add_nc_u32 v2, 32, v1
	s_delay_alu instid0(VALU_DEP_1) | instskip(NEXT) | instid1(VALU_DEP_1)
	v_lshlrev_b64 v[4:5], 2, v[2:3]
	v_add_co_u32 v4, vcc_lo, s0, v4
	s_delay_alu instid0(VALU_DEP_2)
	v_add_co_ci_u32_e32 v5, vcc_lo, s1, v5, vcc_lo
	global_store_b32 v[4:5], v3, off
.LBB46_11:
	s_or_b32 exec_lo, exec_lo, s2
	s_delay_alu instid0(SALU_CYCLE_1)
	s_mov_b32 s2, exec_lo
	v_cmpx_gt_u32_e32 32, v1
	s_cbranch_execz .LBB46_13
; %bb.12:
	v_mov_b32_e32 v2, 0
	s_delay_alu instid0(VALU_DEP_1) | instskip(SKIP_1) | instid1(VALU_DEP_2)
	v_lshlrev_b64 v[0:1], 2, v[1:2]
	v_mov_b32_e32 v2, 0xff0000
	v_add_co_u32 v0, vcc_lo, s0, v0
	s_delay_alu instid0(VALU_DEP_3)
	v_add_co_ci_u32_e32 v1, vcc_lo, s1, v1, vcc_lo
	global_store_b32 v[0:1], v2, off
.LBB46_13:
	s_nop 0
	s_sendmsg sendmsg(MSG_DEALLOC_VGPRS)
	s_endpgm
	.section	.rodata,"a",@progbits
	.p2align	6, 0x0
	.amdhsa_kernel _ZN7rocprim17ROCPRIM_304000_NS6detail31init_lookback_scan_state_kernelINS1_19lookback_scan_stateIsLb1ELb1EEEEEvT_jjPNS5_10value_typeE
		.amdhsa_group_segment_fixed_size 0
		.amdhsa_private_segment_fixed_size 0
		.amdhsa_kernarg_size 280
		.amdhsa_user_sgpr_count 15
		.amdhsa_user_sgpr_dispatch_ptr 0
		.amdhsa_user_sgpr_queue_ptr 0
		.amdhsa_user_sgpr_kernarg_segment_ptr 1
		.amdhsa_user_sgpr_dispatch_id 0
		.amdhsa_user_sgpr_private_segment_size 0
		.amdhsa_wavefront_size32 1
		.amdhsa_uses_dynamic_stack 0
		.amdhsa_enable_private_segment 0
		.amdhsa_system_sgpr_workgroup_id_x 1
		.amdhsa_system_sgpr_workgroup_id_y 0
		.amdhsa_system_sgpr_workgroup_id_z 0
		.amdhsa_system_sgpr_workgroup_info 0
		.amdhsa_system_vgpr_workitem_id 0
		.amdhsa_next_free_vgpr 6
		.amdhsa_next_free_sgpr 16
		.amdhsa_reserve_vcc 1
		.amdhsa_float_round_mode_32 0
		.amdhsa_float_round_mode_16_64 0
		.amdhsa_float_denorm_mode_32 3
		.amdhsa_float_denorm_mode_16_64 3
		.amdhsa_dx10_clamp 1
		.amdhsa_ieee_mode 1
		.amdhsa_fp16_overflow 0
		.amdhsa_workgroup_processor_mode 1
		.amdhsa_memory_ordered 1
		.amdhsa_forward_progress 0
		.amdhsa_shared_vgpr_count 0
		.amdhsa_exception_fp_ieee_invalid_op 0
		.amdhsa_exception_fp_denorm_src 0
		.amdhsa_exception_fp_ieee_div_zero 0
		.amdhsa_exception_fp_ieee_overflow 0
		.amdhsa_exception_fp_ieee_underflow 0
		.amdhsa_exception_fp_ieee_inexact 0
		.amdhsa_exception_int_div_zero 0
	.end_amdhsa_kernel
	.section	.text._ZN7rocprim17ROCPRIM_304000_NS6detail31init_lookback_scan_state_kernelINS1_19lookback_scan_stateIsLb1ELb1EEEEEvT_jjPNS5_10value_typeE,"axG",@progbits,_ZN7rocprim17ROCPRIM_304000_NS6detail31init_lookback_scan_state_kernelINS1_19lookback_scan_stateIsLb1ELb1EEEEEvT_jjPNS5_10value_typeE,comdat
.Lfunc_end46:
	.size	_ZN7rocprim17ROCPRIM_304000_NS6detail31init_lookback_scan_state_kernelINS1_19lookback_scan_stateIsLb1ELb1EEEEEvT_jjPNS5_10value_typeE, .Lfunc_end46-_ZN7rocprim17ROCPRIM_304000_NS6detail31init_lookback_scan_state_kernelINS1_19lookback_scan_stateIsLb1ELb1EEEEEvT_jjPNS5_10value_typeE
                                        ; -- End function
	.section	.AMDGPU.csdata,"",@progbits
; Kernel info:
; codeLenInByte = 376
; NumSgprs: 18
; NumVgprs: 6
; ScratchSize: 0
; MemoryBound: 0
; FloatMode: 240
; IeeeMode: 1
; LDSByteSize: 0 bytes/workgroup (compile time only)
; SGPRBlocks: 2
; VGPRBlocks: 0
; NumSGPRsForWavesPerEU: 18
; NumVGPRsForWavesPerEU: 6
; Occupancy: 16
; WaveLimiterHint : 0
; COMPUTE_PGM_RSRC2:SCRATCH_EN: 0
; COMPUTE_PGM_RSRC2:USER_SGPR: 15
; COMPUTE_PGM_RSRC2:TRAP_HANDLER: 0
; COMPUTE_PGM_RSRC2:TGID_X_EN: 1
; COMPUTE_PGM_RSRC2:TGID_Y_EN: 0
; COMPUTE_PGM_RSRC2:TGID_Z_EN: 0
; COMPUTE_PGM_RSRC2:TIDIG_COMP_CNT: 0
	.section	.text._ZN7rocprim17ROCPRIM_304000_NS6detail31init_lookback_scan_state_kernelINS1_19lookback_scan_stateIsLb0ELb1EEEEEvT_jjPNS5_10value_typeE,"axG",@progbits,_ZN7rocprim17ROCPRIM_304000_NS6detail31init_lookback_scan_state_kernelINS1_19lookback_scan_stateIsLb0ELb1EEEEEvT_jjPNS5_10value_typeE,comdat
	.protected	_ZN7rocprim17ROCPRIM_304000_NS6detail31init_lookback_scan_state_kernelINS1_19lookback_scan_stateIsLb0ELb1EEEEEvT_jjPNS5_10value_typeE ; -- Begin function _ZN7rocprim17ROCPRIM_304000_NS6detail31init_lookback_scan_state_kernelINS1_19lookback_scan_stateIsLb0ELb1EEEEEvT_jjPNS5_10value_typeE
	.globl	_ZN7rocprim17ROCPRIM_304000_NS6detail31init_lookback_scan_state_kernelINS1_19lookback_scan_stateIsLb0ELb1EEEEEvT_jjPNS5_10value_typeE
	.p2align	8
	.type	_ZN7rocprim17ROCPRIM_304000_NS6detail31init_lookback_scan_state_kernelINS1_19lookback_scan_stateIsLb0ELb1EEEEEvT_jjPNS5_10value_typeE,@function
_ZN7rocprim17ROCPRIM_304000_NS6detail31init_lookback_scan_state_kernelINS1_19lookback_scan_stateIsLb0ELb1EEEEEvT_jjPNS5_10value_typeE: ; @_ZN7rocprim17ROCPRIM_304000_NS6detail31init_lookback_scan_state_kernelINS1_19lookback_scan_stateIsLb0ELb1EEEEEvT_jjPNS5_10value_typeE
; %bb.0:
	s_clause 0x2
	s_load_b32 s6, s[0:1], 0x24
	s_load_b64 s[4:5], s[0:1], 0x10
	s_load_b128 s[0:3], s[0:1], 0x0
	s_waitcnt lgkmcnt(0)
	s_and_b32 s6, s6, 0xffff
	s_cmp_eq_u64 s[4:5], 0
	v_mad_u64_u32 v[1:2], null, s15, s6, v[0:1]
	s_cbranch_scc1 .LBB47_6
; %bb.1:
	s_cmp_lt_u32 s3, s2
	s_mov_b32 s7, 0
	s_cselect_b32 s6, s3, 0
	s_mov_b32 s8, exec_lo
	s_delay_alu instid0(VALU_DEP_1)
	v_cmpx_eq_u32_e64 s6, v1
	s_cbranch_execz .LBB47_5
; %bb.2:
	s_add_i32 s6, s3, 32
	v_mov_b32_e32 v2, 0
	s_lshl_b64 s[6:7], s[6:7], 2
	s_delay_alu instid0(SALU_CYCLE_1) | instskip(SKIP_4) | instid1(VALU_DEP_1)
	s_add_u32 s6, s0, s6
	s_addc_u32 s7, s1, s7
	global_load_b32 v0, v2, s[6:7] glc
	s_waitcnt vmcnt(0)
	v_and_b32_e32 v3, 0xff0000, v0
	v_cmp_ne_u32_e32 vcc_lo, 0, v3
	s_cbranch_vccnz .LBB47_4
.LBB47_3:                               ; =>This Inner Loop Header: Depth=1
	global_load_b32 v0, v2, s[6:7] glc
	s_waitcnt vmcnt(0)
	v_and_b32_e32 v3, 0xff0000, v0
	s_delay_alu instid0(VALU_DEP_1)
	v_cmp_eq_u32_e32 vcc_lo, 0, v3
	s_cbranch_vccnz .LBB47_3
.LBB47_4:
	v_mov_b32_e32 v2, 0
	global_store_b16 v2, v0, s[4:5]
.LBB47_5:
	s_or_b32 exec_lo, exec_lo, s8
.LBB47_6:
	s_delay_alu instid0(VALU_DEP_1)
	v_cmp_gt_u32_e32 vcc_lo, s2, v1
	s_and_saveexec_b32 s2, vcc_lo
	s_cbranch_execz .LBB47_8
; %bb.7:
	v_dual_mov_b32 v3, 0 :: v_dual_add_nc_u32 v2, 32, v1
	s_delay_alu instid0(VALU_DEP_1) | instskip(NEXT) | instid1(VALU_DEP_1)
	v_lshlrev_b64 v[4:5], 2, v[2:3]
	v_add_co_u32 v4, vcc_lo, s0, v4
	s_delay_alu instid0(VALU_DEP_2)
	v_add_co_ci_u32_e32 v5, vcc_lo, s1, v5, vcc_lo
	global_store_b32 v[4:5], v3, off
.LBB47_8:
	s_or_b32 exec_lo, exec_lo, s2
	s_delay_alu instid0(SALU_CYCLE_1)
	s_mov_b32 s2, exec_lo
	v_cmpx_gt_u32_e32 32, v1
	s_cbranch_execz .LBB47_10
; %bb.9:
	v_mov_b32_e32 v2, 0
	s_delay_alu instid0(VALU_DEP_1) | instskip(SKIP_1) | instid1(VALU_DEP_2)
	v_lshlrev_b64 v[0:1], 2, v[1:2]
	v_mov_b32_e32 v2, 0xff0000
	v_add_co_u32 v0, vcc_lo, s0, v0
	s_delay_alu instid0(VALU_DEP_3)
	v_add_co_ci_u32_e32 v1, vcc_lo, s1, v1, vcc_lo
	global_store_b32 v[0:1], v2, off
.LBB47_10:
	s_nop 0
	s_sendmsg sendmsg(MSG_DEALLOC_VGPRS)
	s_endpgm
	.section	.rodata,"a",@progbits
	.p2align	6, 0x0
	.amdhsa_kernel _ZN7rocprim17ROCPRIM_304000_NS6detail31init_lookback_scan_state_kernelINS1_19lookback_scan_stateIsLb0ELb1EEEEEvT_jjPNS5_10value_typeE
		.amdhsa_group_segment_fixed_size 0
		.amdhsa_private_segment_fixed_size 0
		.amdhsa_kernarg_size 280
		.amdhsa_user_sgpr_count 15
		.amdhsa_user_sgpr_dispatch_ptr 0
		.amdhsa_user_sgpr_queue_ptr 0
		.amdhsa_user_sgpr_kernarg_segment_ptr 1
		.amdhsa_user_sgpr_dispatch_id 0
		.amdhsa_user_sgpr_private_segment_size 0
		.amdhsa_wavefront_size32 1
		.amdhsa_uses_dynamic_stack 0
		.amdhsa_enable_private_segment 0
		.amdhsa_system_sgpr_workgroup_id_x 1
		.amdhsa_system_sgpr_workgroup_id_y 0
		.amdhsa_system_sgpr_workgroup_id_z 0
		.amdhsa_system_sgpr_workgroup_info 0
		.amdhsa_system_vgpr_workitem_id 0
		.amdhsa_next_free_vgpr 6
		.amdhsa_next_free_sgpr 16
		.amdhsa_reserve_vcc 1
		.amdhsa_float_round_mode_32 0
		.amdhsa_float_round_mode_16_64 0
		.amdhsa_float_denorm_mode_32 3
		.amdhsa_float_denorm_mode_16_64 3
		.amdhsa_dx10_clamp 1
		.amdhsa_ieee_mode 1
		.amdhsa_fp16_overflow 0
		.amdhsa_workgroup_processor_mode 1
		.amdhsa_memory_ordered 1
		.amdhsa_forward_progress 0
		.amdhsa_shared_vgpr_count 0
		.amdhsa_exception_fp_ieee_invalid_op 0
		.amdhsa_exception_fp_denorm_src 0
		.amdhsa_exception_fp_ieee_div_zero 0
		.amdhsa_exception_fp_ieee_overflow 0
		.amdhsa_exception_fp_ieee_underflow 0
		.amdhsa_exception_fp_ieee_inexact 0
		.amdhsa_exception_int_div_zero 0
	.end_amdhsa_kernel
	.section	.text._ZN7rocprim17ROCPRIM_304000_NS6detail31init_lookback_scan_state_kernelINS1_19lookback_scan_stateIsLb0ELb1EEEEEvT_jjPNS5_10value_typeE,"axG",@progbits,_ZN7rocprim17ROCPRIM_304000_NS6detail31init_lookback_scan_state_kernelINS1_19lookback_scan_stateIsLb0ELb1EEEEEvT_jjPNS5_10value_typeE,comdat
.Lfunc_end47:
	.size	_ZN7rocprim17ROCPRIM_304000_NS6detail31init_lookback_scan_state_kernelINS1_19lookback_scan_stateIsLb0ELb1EEEEEvT_jjPNS5_10value_typeE, .Lfunc_end47-_ZN7rocprim17ROCPRIM_304000_NS6detail31init_lookback_scan_state_kernelINS1_19lookback_scan_stateIsLb0ELb1EEEEEvT_jjPNS5_10value_typeE
                                        ; -- End function
	.section	.AMDGPU.csdata,"",@progbits
; Kernel info:
; codeLenInByte = 328
; NumSgprs: 18
; NumVgprs: 6
; ScratchSize: 0
; MemoryBound: 0
; FloatMode: 240
; IeeeMode: 1
; LDSByteSize: 0 bytes/workgroup (compile time only)
; SGPRBlocks: 2
; VGPRBlocks: 0
; NumSGPRsForWavesPerEU: 18
; NumVGPRsForWavesPerEU: 6
; Occupancy: 16
; WaveLimiterHint : 0
; COMPUTE_PGM_RSRC2:SCRATCH_EN: 0
; COMPUTE_PGM_RSRC2:USER_SGPR: 15
; COMPUTE_PGM_RSRC2:TRAP_HANDLER: 0
; COMPUTE_PGM_RSRC2:TGID_X_EN: 1
; COMPUTE_PGM_RSRC2:TGID_Y_EN: 0
; COMPUTE_PGM_RSRC2:TGID_Z_EN: 0
; COMPUTE_PGM_RSRC2:TIDIG_COMP_CNT: 0
	.section	.text._ZN7rocprim17ROCPRIM_304000_NS6detail20lookback_scan_kernelILNS1_25lookback_scan_determinismE0ELb0ENS1_19wrapped_scan_configINS0_14default_configEsEEPKsPsSt4plusIsEssNS1_19lookback_scan_stateIsLb1ELb1EEEEEvT2_T3_mT5_T4_T7_jPT6_SK_bb,"axG",@progbits,_ZN7rocprim17ROCPRIM_304000_NS6detail20lookback_scan_kernelILNS1_25lookback_scan_determinismE0ELb0ENS1_19wrapped_scan_configINS0_14default_configEsEEPKsPsSt4plusIsEssNS1_19lookback_scan_stateIsLb1ELb1EEEEEvT2_T3_mT5_T4_T7_jPT6_SK_bb,comdat
	.protected	_ZN7rocprim17ROCPRIM_304000_NS6detail20lookback_scan_kernelILNS1_25lookback_scan_determinismE0ELb0ENS1_19wrapped_scan_configINS0_14default_configEsEEPKsPsSt4plusIsEssNS1_19lookback_scan_stateIsLb1ELb1EEEEEvT2_T3_mT5_T4_T7_jPT6_SK_bb ; -- Begin function _ZN7rocprim17ROCPRIM_304000_NS6detail20lookback_scan_kernelILNS1_25lookback_scan_determinismE0ELb0ENS1_19wrapped_scan_configINS0_14default_configEsEEPKsPsSt4plusIsEssNS1_19lookback_scan_stateIsLb1ELb1EEEEEvT2_T3_mT5_T4_T7_jPT6_SK_bb
	.globl	_ZN7rocprim17ROCPRIM_304000_NS6detail20lookback_scan_kernelILNS1_25lookback_scan_determinismE0ELb0ENS1_19wrapped_scan_configINS0_14default_configEsEEPKsPsSt4plusIsEssNS1_19lookback_scan_stateIsLb1ELb1EEEEEvT2_T3_mT5_T4_T7_jPT6_SK_bb
	.p2align	8
	.type	_ZN7rocprim17ROCPRIM_304000_NS6detail20lookback_scan_kernelILNS1_25lookback_scan_determinismE0ELb0ENS1_19wrapped_scan_configINS0_14default_configEsEEPKsPsSt4plusIsEssNS1_19lookback_scan_stateIsLb1ELb1EEEEEvT2_T3_mT5_T4_T7_jPT6_SK_bb,@function
_ZN7rocprim17ROCPRIM_304000_NS6detail20lookback_scan_kernelILNS1_25lookback_scan_determinismE0ELb0ENS1_19wrapped_scan_configINS0_14default_configEsEEPKsPsSt4plusIsEssNS1_19lookback_scan_stateIsLb1ELb1EEEEEvT2_T3_mT5_T4_T7_jPT6_SK_bb: ; @_ZN7rocprim17ROCPRIM_304000_NS6detail20lookback_scan_kernelILNS1_25lookback_scan_determinismE0ELb0ENS1_19wrapped_scan_configINS0_14default_configEsEEPKsPsSt4plusIsEssNS1_19lookback_scan_stateIsLb1ELb1EEEEEvT2_T3_mT5_T4_T7_jPT6_SK_bb
; %bb.0:
	s_endpgm
	.section	.rodata,"a",@progbits
	.p2align	6, 0x0
	.amdhsa_kernel _ZN7rocprim17ROCPRIM_304000_NS6detail20lookback_scan_kernelILNS1_25lookback_scan_determinismE0ELb0ENS1_19wrapped_scan_configINS0_14default_configEsEEPKsPsSt4plusIsEssNS1_19lookback_scan_stateIsLb1ELb1EEEEEvT2_T3_mT5_T4_T7_jPT6_SK_bb
		.amdhsa_group_segment_fixed_size 0
		.amdhsa_private_segment_fixed_size 0
		.amdhsa_kernarg_size 68
		.amdhsa_user_sgpr_count 15
		.amdhsa_user_sgpr_dispatch_ptr 0
		.amdhsa_user_sgpr_queue_ptr 0
		.amdhsa_user_sgpr_kernarg_segment_ptr 1
		.amdhsa_user_sgpr_dispatch_id 0
		.amdhsa_user_sgpr_private_segment_size 0
		.amdhsa_wavefront_size32 1
		.amdhsa_uses_dynamic_stack 0
		.amdhsa_enable_private_segment 0
		.amdhsa_system_sgpr_workgroup_id_x 1
		.amdhsa_system_sgpr_workgroup_id_y 0
		.amdhsa_system_sgpr_workgroup_id_z 0
		.amdhsa_system_sgpr_workgroup_info 0
		.amdhsa_system_vgpr_workitem_id 0
		.amdhsa_next_free_vgpr 1
		.amdhsa_next_free_sgpr 1
		.amdhsa_reserve_vcc 0
		.amdhsa_float_round_mode_32 0
		.amdhsa_float_round_mode_16_64 0
		.amdhsa_float_denorm_mode_32 3
		.amdhsa_float_denorm_mode_16_64 3
		.amdhsa_dx10_clamp 1
		.amdhsa_ieee_mode 1
		.amdhsa_fp16_overflow 0
		.amdhsa_workgroup_processor_mode 1
		.amdhsa_memory_ordered 1
		.amdhsa_forward_progress 0
		.amdhsa_shared_vgpr_count 0
		.amdhsa_exception_fp_ieee_invalid_op 0
		.amdhsa_exception_fp_denorm_src 0
		.amdhsa_exception_fp_ieee_div_zero 0
		.amdhsa_exception_fp_ieee_overflow 0
		.amdhsa_exception_fp_ieee_underflow 0
		.amdhsa_exception_fp_ieee_inexact 0
		.amdhsa_exception_int_div_zero 0
	.end_amdhsa_kernel
	.section	.text._ZN7rocprim17ROCPRIM_304000_NS6detail20lookback_scan_kernelILNS1_25lookback_scan_determinismE0ELb0ENS1_19wrapped_scan_configINS0_14default_configEsEEPKsPsSt4plusIsEssNS1_19lookback_scan_stateIsLb1ELb1EEEEEvT2_T3_mT5_T4_T7_jPT6_SK_bb,"axG",@progbits,_ZN7rocprim17ROCPRIM_304000_NS6detail20lookback_scan_kernelILNS1_25lookback_scan_determinismE0ELb0ENS1_19wrapped_scan_configINS0_14default_configEsEEPKsPsSt4plusIsEssNS1_19lookback_scan_stateIsLb1ELb1EEEEEvT2_T3_mT5_T4_T7_jPT6_SK_bb,comdat
.Lfunc_end48:
	.size	_ZN7rocprim17ROCPRIM_304000_NS6detail20lookback_scan_kernelILNS1_25lookback_scan_determinismE0ELb0ENS1_19wrapped_scan_configINS0_14default_configEsEEPKsPsSt4plusIsEssNS1_19lookback_scan_stateIsLb1ELb1EEEEEvT2_T3_mT5_T4_T7_jPT6_SK_bb, .Lfunc_end48-_ZN7rocprim17ROCPRIM_304000_NS6detail20lookback_scan_kernelILNS1_25lookback_scan_determinismE0ELb0ENS1_19wrapped_scan_configINS0_14default_configEsEEPKsPsSt4plusIsEssNS1_19lookback_scan_stateIsLb1ELb1EEEEEvT2_T3_mT5_T4_T7_jPT6_SK_bb
                                        ; -- End function
	.section	.AMDGPU.csdata,"",@progbits
; Kernel info:
; codeLenInByte = 4
; NumSgprs: 0
; NumVgprs: 0
; ScratchSize: 0
; MemoryBound: 0
; FloatMode: 240
; IeeeMode: 1
; LDSByteSize: 0 bytes/workgroup (compile time only)
; SGPRBlocks: 0
; VGPRBlocks: 0
; NumSGPRsForWavesPerEU: 1
; NumVGPRsForWavesPerEU: 1
; Occupancy: 16
; WaveLimiterHint : 0
; COMPUTE_PGM_RSRC2:SCRATCH_EN: 0
; COMPUTE_PGM_RSRC2:USER_SGPR: 15
; COMPUTE_PGM_RSRC2:TRAP_HANDLER: 0
; COMPUTE_PGM_RSRC2:TGID_X_EN: 1
; COMPUTE_PGM_RSRC2:TGID_Y_EN: 0
; COMPUTE_PGM_RSRC2:TGID_Z_EN: 0
; COMPUTE_PGM_RSRC2:TIDIG_COMP_CNT: 0
	.section	.text._ZN7rocprim17ROCPRIM_304000_NS6detail20lookback_scan_kernelILNS1_25lookback_scan_determinismE0ELb0ENS1_19wrapped_scan_configINS0_14default_configEsEEPKsPsSt4plusIsEssNS1_19lookback_scan_stateIsLb0ELb1EEEEEvT2_T3_mT5_T4_T7_jPT6_SK_bb,"axG",@progbits,_ZN7rocprim17ROCPRIM_304000_NS6detail20lookback_scan_kernelILNS1_25lookback_scan_determinismE0ELb0ENS1_19wrapped_scan_configINS0_14default_configEsEEPKsPsSt4plusIsEssNS1_19lookback_scan_stateIsLb0ELb1EEEEEvT2_T3_mT5_T4_T7_jPT6_SK_bb,comdat
	.protected	_ZN7rocprim17ROCPRIM_304000_NS6detail20lookback_scan_kernelILNS1_25lookback_scan_determinismE0ELb0ENS1_19wrapped_scan_configINS0_14default_configEsEEPKsPsSt4plusIsEssNS1_19lookback_scan_stateIsLb0ELb1EEEEEvT2_T3_mT5_T4_T7_jPT6_SK_bb ; -- Begin function _ZN7rocprim17ROCPRIM_304000_NS6detail20lookback_scan_kernelILNS1_25lookback_scan_determinismE0ELb0ENS1_19wrapped_scan_configINS0_14default_configEsEEPKsPsSt4plusIsEssNS1_19lookback_scan_stateIsLb0ELb1EEEEEvT2_T3_mT5_T4_T7_jPT6_SK_bb
	.globl	_ZN7rocprim17ROCPRIM_304000_NS6detail20lookback_scan_kernelILNS1_25lookback_scan_determinismE0ELb0ENS1_19wrapped_scan_configINS0_14default_configEsEEPKsPsSt4plusIsEssNS1_19lookback_scan_stateIsLb0ELb1EEEEEvT2_T3_mT5_T4_T7_jPT6_SK_bb
	.p2align	8
	.type	_ZN7rocprim17ROCPRIM_304000_NS6detail20lookback_scan_kernelILNS1_25lookback_scan_determinismE0ELb0ENS1_19wrapped_scan_configINS0_14default_configEsEEPKsPsSt4plusIsEssNS1_19lookback_scan_stateIsLb0ELb1EEEEEvT2_T3_mT5_T4_T7_jPT6_SK_bb,@function
_ZN7rocprim17ROCPRIM_304000_NS6detail20lookback_scan_kernelILNS1_25lookback_scan_determinismE0ELb0ENS1_19wrapped_scan_configINS0_14default_configEsEEPKsPsSt4plusIsEssNS1_19lookback_scan_stateIsLb0ELb1EEEEEvT2_T3_mT5_T4_T7_jPT6_SK_bb: ; @_ZN7rocprim17ROCPRIM_304000_NS6detail20lookback_scan_kernelILNS1_25lookback_scan_determinismE0ELb0ENS1_19wrapped_scan_configINS0_14default_configEsEEPKsPsSt4plusIsEssNS1_19lookback_scan_stateIsLb0ELb1EEEEEvT2_T3_mT5_T4_T7_jPT6_SK_bb
; %bb.0:
	s_clause 0x2
	s_load_b32 s4, s[0:1], 0x28
	s_load_b64 s[2:3], s[0:1], 0x10
	s_load_b128 s[8:11], s[0:1], 0x0
	s_mov_b32 s5, 0
	v_lshlrev_b32_e32 v15, 1, v0
	s_waitcnt lgkmcnt(0)
	s_add_i32 s4, s4, -1
	s_delay_alu instid0(SALU_CYCLE_1) | instskip(NEXT) | instid1(SALU_CYCLE_1)
	s_mul_i32 s6, s4, 0x580
	s_sub_u32 s14, s2, s6
	s_subb_u32 s16, s3, 0
	s_cmp_lg_u32 s15, s4
	s_mul_i32 s4, s15, 0x580
	s_cselect_b32 s17, -1, 0
	s_lshl_b64 s[12:13], s[4:5], 1
	s_mov_b32 s3, -1
	s_add_u32 s4, s8, s12
	s_addc_u32 s5, s9, s13
	s_and_b32 vcc_lo, exec_lo, s17
	s_cbranch_vccz .LBB49_2
; %bb.1:
	s_clause 0x15
	global_load_u16 v1, v15, s[4:5]
	global_load_u16 v2, v15, s[4:5] offset:128
	global_load_u16 v3, v15, s[4:5] offset:256
	;; [unrolled: 1-line block ×21, first 2 shown]
	s_mov_b32 s3, 0
	s_waitcnt vmcnt(21)
	ds_store_b16 v15, v1
	s_waitcnt vmcnt(20)
	ds_store_b16 v15, v2 offset:128
	s_waitcnt vmcnt(19)
	ds_store_b16 v15, v3 offset:256
	;; [unrolled: 2-line block ×21, first 2 shown]
	s_waitcnt lgkmcnt(0)
	s_barrier
.LBB49_2:
	v_cmp_gt_u32_e64 s2, s14, v0
	s_and_not1_b32 vcc_lo, exec_lo, s3
	s_cbranch_vccnz .LBB49_48
; %bb.3:
	v_mov_b32_e32 v1, 0
	global_load_u16 v3, v1, s[4:5]
	v_add_co_u32 v1, s3, s4, v15
	s_delay_alu instid0(VALU_DEP_1)
	v_add_co_ci_u32_e64 v2, null, s5, 0, s3
	s_waitcnt vmcnt(0)
	v_mov_b32_e32 v4, v3
	s_and_saveexec_b32 s3, s2
	s_cbranch_execz .LBB49_5
; %bb.4:
	global_load_u16 v4, v[1:2], off
.LBB49_5:
	s_or_b32 exec_lo, exec_lo, s3
	v_or_b32_e32 v5, 64, v0
	s_delay_alu instid0(VALU_DEP_1)
	v_cmp_gt_u32_e32 vcc_lo, s14, v5
	v_mov_b32_e32 v5, v3
	s_and_saveexec_b32 s2, vcc_lo
	s_cbranch_execz .LBB49_7
; %bb.6:
	global_load_u16 v5, v[1:2], off offset:128
.LBB49_7:
	s_or_b32 exec_lo, exec_lo, s2
	v_or_b32_e32 v6, 0x80, v0
	s_delay_alu instid0(VALU_DEP_1)
	v_cmp_gt_u32_e32 vcc_lo, s14, v6
	v_mov_b32_e32 v6, v3
	s_and_saveexec_b32 s2, vcc_lo
	s_cbranch_execz .LBB49_9
; %bb.8:
	global_load_u16 v6, v[1:2], off offset:256
.LBB49_9:
	;; [unrolled: 10-line block ×20, first 2 shown]
	s_or_b32 exec_lo, exec_lo, s2
	v_or_b32_e32 v26, 0x540, v0
	s_mov_b32 s2, exec_lo
	s_delay_alu instid0(VALU_DEP_1)
	v_cmpx_gt_u32_e64 s14, v26
	s_cbranch_execz .LBB49_47
; %bb.46:
	global_load_u16 v3, v[1:2], off offset:2688
.LBB49_47:
	s_or_b32 exec_lo, exec_lo, s2
	s_waitcnt vmcnt(0)
	ds_store_b16 v15, v4
	ds_store_b16 v15, v5 offset:128
	ds_store_b16 v15, v6 offset:256
	;; [unrolled: 1-line block ×21, first 2 shown]
	s_waitcnt lgkmcnt(0)
	s_barrier
.LBB49_48:
	v_mul_u32_u24_e32 v16, 22, v0
	buffer_gl0_inv
	s_load_b64 s[8:9], s[0:1], 0x20
	v_lshrrev_b32_e32 v30, 5, v0
	v_cmp_gt_u32_e32 vcc_lo, 32, v0
	v_lshlrev_b32_e32 v17, 1, v16
	s_cmp_lg_u32 s15, 0
	ds_load_2addr_b32 v[9:10], v17 offset1:1
	ds_load_2addr_b32 v[7:8], v17 offset0:2 offset1:3
	ds_load_2addr_b32 v[5:6], v17 offset0:4 offset1:5
	;; [unrolled: 1-line block ×4, first 2 shown]
	ds_load_b32 v18, v17 offset:40
	s_waitcnt lgkmcnt(0)
	s_barrier
	buffer_gl0_inv
	v_lshrrev_b32_e32 v29, 16, v9
	v_lshrrev_b32_e32 v28, 16, v10
	v_lshrrev_b32_e32 v27, 16, v7
	v_lshrrev_b32_e32 v26, 16, v8
	v_lshrrev_b32_e32 v25, 16, v5
	v_lshrrev_b32_e32 v24, 16, v6
	v_lshrrev_b32_e32 v23, 16, v3
	v_lshrrev_b32_e32 v22, 16, v4
	v_lshrrev_b32_e32 v21, 16, v1
	v_lshrrev_b32_e32 v20, 16, v2
	v_lshrrev_b32_e32 v19, 16, v18
	s_cbranch_scc0 .LBB49_73
; %bb.49:
	v_add_nc_u16 v11, v29, v9
	v_add_lshl_u32 v12, v30, v0, 1
	s_delay_alu instid0(VALU_DEP_2) | instskip(NEXT) | instid1(VALU_DEP_1)
	v_add_nc_u16 v11, v11, v10
	v_add_nc_u16 v11, v11, v28
	s_delay_alu instid0(VALU_DEP_1) | instskip(NEXT) | instid1(VALU_DEP_1)
	v_add_nc_u16 v11, v11, v7
	v_add_nc_u16 v11, v11, v27
	s_delay_alu instid0(VALU_DEP_1) | instskip(NEXT) | instid1(VALU_DEP_1)
	;; [unrolled: 3-line block ×9, first 2 shown]
	v_add_nc_u16 v11, v11, v18
	v_add_nc_u16 v11, v11, v19
	ds_store_b16 v12, v11
	s_waitcnt lgkmcnt(0)
	s_barrier
	buffer_gl0_inv
	s_and_saveexec_b32 s3, vcc_lo
	s_cbranch_execz .LBB49_51
; %bb.50:
	v_lshrrev_b32_e32 v12, 3, v0
	v_mbcnt_lo_u32_b32 v32, -1, 0
	s_delay_alu instid0(VALU_DEP_2) | instskip(NEXT) | instid1(VALU_DEP_2)
	v_and_b32_e32 v12, 6, v12
	v_and_b32_e32 v34, 15, v32
	s_delay_alu instid0(VALU_DEP_2) | instskip(NEXT) | instid1(VALU_DEP_2)
	v_lshl_or_b32 v12, v0, 2, v12
	v_cmp_ne_u32_e64 s2, 0, v34
	ds_load_u16 v13, v12
	ds_load_u16 v14, v12 offset:2
	s_waitcnt lgkmcnt(0)
	v_add_nc_u16 v31, v14, v13
	s_delay_alu instid0(VALU_DEP_1) | instskip(NEXT) | instid1(VALU_DEP_1)
	v_and_b32_e32 v33, 0xffff, v31
	v_mov_b32_dpp v33, v33 row_shr:1 row_mask:0xf bank_mask:0xf
	s_delay_alu instid0(VALU_DEP_1) | instskip(SKIP_1) | instid1(VALU_DEP_2)
	v_cndmask_b32_e64 v33, 0, v33, s2
	v_cmp_lt_u32_e64 s2, 1, v34
	v_add_nc_u16 v31, v33, v31
	s_delay_alu instid0(VALU_DEP_1) | instskip(NEXT) | instid1(VALU_DEP_1)
	v_and_b32_e32 v33, 0xffff, v31
	v_mov_b32_dpp v33, v33 row_shr:2 row_mask:0xf bank_mask:0xf
	s_delay_alu instid0(VALU_DEP_1) | instskip(SKIP_1) | instid1(VALU_DEP_2)
	v_cndmask_b32_e64 v33, 0, v33, s2
	v_cmp_lt_u32_e64 s2, 3, v34
	v_add_nc_u16 v31, v31, v33
	s_delay_alu instid0(VALU_DEP_1) | instskip(NEXT) | instid1(VALU_DEP_1)
	v_and_b32_e32 v33, 0xffff, v31
	v_mov_b32_dpp v33, v33 row_shr:4 row_mask:0xf bank_mask:0xf
	s_delay_alu instid0(VALU_DEP_1) | instskip(SKIP_2) | instid1(VALU_DEP_3)
	v_cndmask_b32_e64 v33, 0, v33, s2
	v_cmp_lt_u32_e64 s2, 7, v34
	v_and_b32_e32 v34, 16, v32
	v_add_nc_u16 v31, v31, v33
	s_delay_alu instid0(VALU_DEP_1) | instskip(NEXT) | instid1(VALU_DEP_1)
	v_and_b32_e32 v33, 0xffff, v31
	v_mov_b32_dpp v33, v33 row_shr:8 row_mask:0xf bank_mask:0xf
	s_delay_alu instid0(VALU_DEP_1) | instskip(SKIP_2) | instid1(VALU_DEP_3)
	v_cndmask_b32_e64 v33, 0, v33, s2
	v_cmp_ne_u32_e64 s2, 0, v34
	v_add_nc_u32_e32 v34, -1, v32
	v_add_nc_u16 v31, v31, v33
	s_delay_alu instid0(VALU_DEP_1) | instskip(SKIP_4) | instid1(VALU_DEP_2)
	v_and_b32_e32 v33, 0xffff, v31
	ds_swizzle_b32 v33, v33 offset:swizzle(BROADCAST,32,15)
	s_waitcnt lgkmcnt(0)
	v_cndmask_b32_e64 v33, 0, v33, s2
	v_cmp_gt_i32_e64 s2, 0, v34
	v_add_nc_u16 v31, v31, v33
	s_delay_alu instid0(VALU_DEP_2) | instskip(SKIP_1) | instid1(VALU_DEP_3)
	v_cndmask_b32_e64 v32, v34, v32, s2
	v_cmp_eq_u32_e64 s2, 0, v0
	v_and_b32_e32 v31, 0xffff, v31
	s_delay_alu instid0(VALU_DEP_3) | instskip(SKIP_3) | instid1(VALU_DEP_1)
	v_lshlrev_b32_e32 v32, 2, v32
	ds_bpermute_b32 v31, v32, v31
	s_waitcnt lgkmcnt(0)
	v_add_nc_u16 v13, v13, v31
	v_cndmask_b32_e64 v11, v13, v11, s2
	s_delay_alu instid0(VALU_DEP_1)
	v_add_nc_u16 v13, v11, v14
	ds_store_b16 v12, v11
	ds_store_b16 v12, v13 offset:2
.LBB49_51:
	s_or_b32 exec_lo, exec_lo, s3
	v_cmp_eq_u32_e64 s2, 0, v0
	v_mov_b32_e32 v31, 0
	s_mov_b32 s4, exec_lo
	s_waitcnt lgkmcnt(0)
	s_barrier
	buffer_gl0_inv
	v_cmpx_ne_u32_e32 0, v0
	s_cbranch_execz .LBB49_53
; %bb.52:
	v_add_nc_u32_e32 v11, -1, v0
	s_delay_alu instid0(VALU_DEP_1) | instskip(NEXT) | instid1(VALU_DEP_1)
	v_lshrrev_b32_e32 v12, 5, v11
	v_add_lshl_u32 v11, v12, v11, 1
	ds_load_u16 v31, v11
.LBB49_53:
	s_or_b32 exec_lo, exec_lo, s4
	s_and_saveexec_b32 s18, vcc_lo
	s_cbranch_execz .LBB49_72
; %bb.54:
	v_mov_b32_e32 v13, 0
	v_mbcnt_lo_u32_b32 v14, -1, 0
	s_mov_b32 s5, 0
	ds_load_u16 v32, v13 offset:128
	v_cmp_eq_u32_e64 s3, 0, v14
	s_delay_alu instid0(VALU_DEP_1)
	s_and_saveexec_b32 s6, s3
	s_cbranch_execz .LBB49_56
; %bb.55:
	s_add_i32 s4, s15, 32
	s_waitcnt lgkmcnt(0)
	v_or_b32_e32 v11, 0x10000, v32
	s_lshl_b64 s[4:5], s[4:5], 2
	s_delay_alu instid0(SALU_CYCLE_1)
	s_add_u32 s4, s8, s4
	s_addc_u32 s5, s9, s5
	global_store_b32 v13, v11, s[4:5]
.LBB49_56:
	s_or_b32 exec_lo, exec_lo, s6
	v_xad_u32 v11, v14, -1, s15
	s_mov_b32 s4, exec_lo
	s_delay_alu instid0(VALU_DEP_1) | instskip(NEXT) | instid1(VALU_DEP_1)
	v_add_nc_u32_e32 v12, 32, v11
	v_lshlrev_b64 v[12:13], 2, v[12:13]
	s_delay_alu instid0(VALU_DEP_1) | instskip(NEXT) | instid1(VALU_DEP_2)
	v_add_co_u32 v12, vcc_lo, s8, v12
	v_add_co_ci_u32_e32 v13, vcc_lo, s9, v13, vcc_lo
	global_load_b32 v42, v[12:13], off glc
	s_waitcnt vmcnt(0)
	v_lshrrev_b32_e32 v33, 16, v42
	s_delay_alu instid0(VALU_DEP_1) | instskip(NEXT) | instid1(VALU_DEP_1)
	v_and_b32_e32 v34, 0xff, v33
	v_cmpx_eq_u16_e32 0, v34
	s_cbranch_execz .LBB49_60
; %bb.57:
	s_mov_b32 s5, 0
.LBB49_58:                              ; =>This Inner Loop Header: Depth=1
	global_load_b32 v42, v[12:13], off glc
	s_waitcnt vmcnt(0)
	v_lshrrev_b32_e32 v33, 16, v42
	s_delay_alu instid0(VALU_DEP_1) | instskip(NEXT) | instid1(VALU_DEP_1)
	v_and_b32_e32 v34, 0xff, v33
	v_cmp_ne_u16_e32 vcc_lo, 0, v34
	s_or_b32 s5, vcc_lo, s5
	s_delay_alu instid0(SALU_CYCLE_1)
	s_and_not1_b32 exec_lo, exec_lo, s5
	s_cbranch_execnz .LBB49_58
; %bb.59:
	s_or_b32 exec_lo, exec_lo, s5
.LBB49_60:
	s_delay_alu instid0(SALU_CYCLE_1)
	s_or_b32 exec_lo, exec_lo, s4
	v_cmp_ne_u32_e32 vcc_lo, 31, v14
	v_and_b32_e32 v36, 0xff, v33
	v_lshlrev_b32_e64 v35, v14, -1
	v_cmp_gt_u32_e64 s4, 30, v14
	v_cmp_gt_u32_e64 s5, 24, v14
	v_add_co_ci_u32_e32 v12, vcc_lo, 0, v14, vcc_lo
	v_cmp_eq_u16_e32 vcc_lo, 2, v36
	v_add_nc_u32_e32 v36, 1, v14
	v_cndmask_b32_e64 v37, 0, 1, s4
	v_cmp_gt_u32_e64 s4, 28, v14
	v_cmp_gt_u32_e64 s6, 16, v14
	v_and_or_b32 v38, vcc_lo, v35, 0x80000000
	s_delay_alu instid0(VALU_DEP_4) | instskip(NEXT) | instid1(VALU_DEP_4)
	v_lshlrev_b32_e32 v37, 1, v37
	v_cndmask_b32_e64 v39, 0, 1, s4
	s_delay_alu instid0(VALU_DEP_3) | instskip(NEXT) | instid1(VALU_DEP_3)
	v_ctz_i32_b32_e32 v46, v38
	v_add_lshl_u32 v37, v37, v14, 2
	s_delay_alu instid0(VALU_DEP_3) | instskip(NEXT) | instid1(VALU_DEP_3)
	v_lshlrev_b32_e32 v39, 2, v39
	v_cmp_le_u32_e32 vcc_lo, v36, v46
	v_and_b32_e32 v13, 0xffff, v42
	v_lshlrev_b32_e32 v34, 2, v12
	s_delay_alu instid0(VALU_DEP_4) | instskip(SKIP_3) | instid1(VALU_DEP_1)
	v_add_lshl_u32 v39, v39, v14, 2
	ds_bpermute_b32 v12, v34, v13
	s_waitcnt lgkmcnt(0)
	v_add_nc_u16 v12, v12, v42
	v_and_b32_e32 v38, 0xffff, v12
	s_delay_alu instid0(VALU_DEP_1) | instskip(SKIP_4) | instid1(VALU_DEP_2)
	v_dual_cndmask_b32 v12, v42, v12 :: v_dual_cndmask_b32 v13, v13, v38
	ds_bpermute_b32 v38, v37, v13
	s_waitcnt lgkmcnt(0)
	v_add_nc_u16 v40, v12, v38
	v_add_nc_u32_e32 v38, 2, v14
	v_and_b32_e32 v41, 0xffff, v40
	s_delay_alu instid0(VALU_DEP_2) | instskip(NEXT) | instid1(VALU_DEP_1)
	v_cmp_le_u32_e64 s4, v38, v46
	v_cndmask_b32_e64 v13, v13, v41, s4
	v_cndmask_b32_e64 v12, v12, v40, s4
	;; [unrolled: 1-line block ×3, first 2 shown]
	s_or_b32 s4, vcc_lo, s4
	ds_bpermute_b32 v41, v39, v13
	s_waitcnt lgkmcnt(0)
	v_add_nc_u16 v43, v12, v41
	v_lshlrev_b32_e32 v41, 3, v40
	v_add_nc_u32_e32 v40, 4, v14
	s_delay_alu instid0(VALU_DEP_3) | instskip(NEXT) | instid1(VALU_DEP_3)
	v_and_b32_e32 v44, 0xffff, v43
	v_add_lshl_u32 v41, v41, v14, 2
	s_delay_alu instid0(VALU_DEP_3) | instskip(NEXT) | instid1(VALU_DEP_1)
	v_cmp_le_u32_e64 s5, v40, v46
	v_cndmask_b32_e64 v13, v13, v44, s5
	v_cndmask_b32_e64 v12, v12, v43, s5
	;; [unrolled: 1-line block ×3, first 2 shown]
	s_or_b32 s4, s5, s4
	ds_bpermute_b32 v44, v41, v13
	s_waitcnt lgkmcnt(0)
	v_add_nc_u16 v47, v12, v44
	v_lshlrev_b32_e32 v44, 4, v43
	v_add_nc_u32_e32 v43, 8, v14
	s_delay_alu instid0(VALU_DEP_3) | instskip(NEXT) | instid1(VALU_DEP_3)
	v_and_b32_e32 v45, 0xffff, v47
	v_add_lshl_u32 v44, v44, v14, 2
	s_delay_alu instid0(VALU_DEP_3) | instskip(NEXT) | instid1(VALU_DEP_1)
	v_cmp_le_u32_e64 s6, v43, v46
	v_cndmask_b32_e64 v13, v13, v45, s6
	v_add_nc_u32_e32 v45, 16, v14
	v_cndmask_b32_e64 v12, v12, v47, s6
	s_or_b32 s4, s6, s4
	ds_bpermute_b32 v13, v44, v13
	v_cmp_le_u32_e64 s7, v45, v46
	s_delay_alu instid0(VALU_DEP_1) | instskip(SKIP_2) | instid1(VALU_DEP_1)
	s_or_b32 vcc_lo, s7, s4
	s_waitcnt lgkmcnt(0)
	v_cndmask_b32_e64 v13, 0, v13, s7
	v_add_nc_u16 v12, v12, v13
	s_delay_alu instid0(VALU_DEP_1)
	v_dual_cndmask_b32 v13, v42, v12 :: v_dual_mov_b32 v12, 0
	s_branch .LBB49_62
.LBB49_61:                              ;   in Loop: Header=BB49_62 Depth=1
	s_or_b32 exec_lo, exec_lo, s4
	v_and_b32_e32 v13, 0xffff, v46
	v_subrev_nc_u32_e32 v11, 32, v11
	ds_bpermute_b32 v14, v34, v13
	s_waitcnt lgkmcnt(0)
	v_add_nc_u16 v14, v14, v46
	v_and_b32_e32 v47, 0xff, v33
	s_delay_alu instid0(VALU_DEP_2) | instskip(NEXT) | instid1(VALU_DEP_2)
	v_and_b32_e32 v48, 0xffff, v14
	v_cmp_eq_u16_e32 vcc_lo, 2, v47
	v_and_or_b32 v47, vcc_lo, v35, 0x80000000
	s_delay_alu instid0(VALU_DEP_1) | instskip(NEXT) | instid1(VALU_DEP_1)
	v_ctz_i32_b32_e32 v47, v47
	v_cmp_le_u32_e32 vcc_lo, v36, v47
	v_cmp_le_u32_e64 s4, v38, v47
	v_cmp_le_u32_e64 s5, v40, v47
	;; [unrolled: 1-line block ×4, first 2 shown]
	v_dual_cndmask_b32 v13, v13, v48 :: v_dual_cndmask_b32 v14, v46, v14
	ds_bpermute_b32 v48, v37, v13
	s_waitcnt lgkmcnt(0)
	v_add_nc_u16 v48, v14, v48
	s_delay_alu instid0(VALU_DEP_1) | instskip(SKIP_1) | instid1(VALU_DEP_2)
	v_and_b32_e32 v49, 0xffff, v48
	v_cndmask_b32_e64 v14, v14, v48, s4
	v_cndmask_b32_e64 v13, v13, v49, s4
	s_or_b32 s4, vcc_lo, s4
	s_delay_alu instid0(SALU_CYCLE_1) | instskip(SKIP_2) | instid1(SALU_CYCLE_1)
	s_or_b32 s4, s5, s4
	ds_bpermute_b32 v49, v39, v13
	s_or_b32 s4, s6, s4
	s_or_b32 vcc_lo, s7, s4
	s_waitcnt lgkmcnt(0)
	v_add_nc_u16 v48, v14, v49
	s_delay_alu instid0(VALU_DEP_1) | instskip(SKIP_1) | instid1(VALU_DEP_2)
	v_and_b32_e32 v49, 0xffff, v48
	v_cndmask_b32_e64 v14, v14, v48, s5
	v_cndmask_b32_e64 v13, v13, v49, s5
	ds_bpermute_b32 v49, v41, v13
	s_waitcnt lgkmcnt(0)
	v_add_nc_u16 v48, v14, v49
	s_delay_alu instid0(VALU_DEP_1) | instskip(SKIP_1) | instid1(VALU_DEP_2)
	v_and_b32_e32 v49, 0xffff, v48
	v_cndmask_b32_e64 v14, v14, v48, s6
	v_cndmask_b32_e64 v13, v13, v49, s6
	ds_bpermute_b32 v13, v44, v13
	s_waitcnt lgkmcnt(0)
	v_cndmask_b32_e64 v13, 0, v13, s7
	s_delay_alu instid0(VALU_DEP_1) | instskip(NEXT) | instid1(VALU_DEP_1)
	v_add_nc_u16 v13, v14, v13
	v_cndmask_b32_e32 v13, v46, v13, vcc_lo
	s_delay_alu instid0(VALU_DEP_1)
	v_add_nc_u16 v13, v13, v42
.LBB49_62:                              ; =>This Loop Header: Depth=1
                                        ;     Child Loop BB49_65 Depth 2
	v_and_b32_e32 v14, 0xff, v33
	s_delay_alu instid0(VALU_DEP_2) | instskip(NEXT) | instid1(VALU_DEP_2)
	v_mov_b32_e32 v42, v13
	v_cmp_ne_u16_e32 vcc_lo, 2, v14
	v_cndmask_b32_e64 v14, 0, 1, vcc_lo
	;;#ASMSTART
	;;#ASMEND
	s_delay_alu instid0(VALU_DEP_1)
	v_cmp_ne_u32_e32 vcc_lo, 0, v14
	s_cmp_lg_u32 vcc_lo, exec_lo
	s_cbranch_scc1 .LBB49_67
; %bb.63:                               ;   in Loop: Header=BB49_62 Depth=1
	v_lshlrev_b64 v[13:14], 2, v[11:12]
	s_mov_b32 s4, exec_lo
	s_delay_alu instid0(VALU_DEP_1) | instskip(NEXT) | instid1(VALU_DEP_2)
	v_add_co_u32 v13, vcc_lo, s8, v13
	v_add_co_ci_u32_e32 v14, vcc_lo, s9, v14, vcc_lo
	global_load_b32 v46, v[13:14], off glc
	s_waitcnt vmcnt(0)
	v_lshrrev_b32_e32 v33, 16, v46
	s_delay_alu instid0(VALU_DEP_1) | instskip(NEXT) | instid1(VALU_DEP_1)
	v_and_b32_e32 v47, 0xff, v33
	v_cmpx_eq_u16_e32 0, v47
	s_cbranch_execz .LBB49_61
; %bb.64:                               ;   in Loop: Header=BB49_62 Depth=1
	s_mov_b32 s5, 0
.LBB49_65:                              ;   Parent Loop BB49_62 Depth=1
                                        ; =>  This Inner Loop Header: Depth=2
	global_load_b32 v46, v[13:14], off glc
	s_waitcnt vmcnt(0)
	v_lshrrev_b32_e32 v33, 16, v46
	s_delay_alu instid0(VALU_DEP_1) | instskip(NEXT) | instid1(VALU_DEP_1)
	v_and_b32_e32 v47, 0xff, v33
	v_cmp_ne_u16_e32 vcc_lo, 0, v47
	s_or_b32 s5, vcc_lo, s5
	s_delay_alu instid0(SALU_CYCLE_1)
	s_and_not1_b32 exec_lo, exec_lo, s5
	s_cbranch_execnz .LBB49_65
; %bb.66:                               ;   in Loop: Header=BB49_62 Depth=1
	s_or_b32 exec_lo, exec_lo, s5
	s_branch .LBB49_61
.LBB49_67:                              ;   in Loop: Header=BB49_62 Depth=1
                                        ; implicit-def: $vgpr13
                                        ; implicit-def: $vgpr33
	s_cbranch_execz .LBB49_62
; %bb.68:
	s_and_saveexec_b32 s4, s3
	s_cbranch_execz .LBB49_70
; %bb.69:
	v_add_nc_u16 v11, v42, v32
	s_add_i32 s6, s15, 32
	s_mov_b32 s7, 0
	v_mov_b32_e32 v12, 0
	s_lshl_b64 s[6:7], s[6:7], 2
	v_and_b32_e32 v11, 0xffff, v11
	s_add_u32 s6, s8, s6
	s_addc_u32 s7, s9, s7
	s_delay_alu instid0(VALU_DEP_1)
	v_or_b32_e32 v11, 0x20000, v11
	global_store_b32 v12, v11, s[6:7]
.LBB49_70:
	s_or_b32 exec_lo, exec_lo, s4
	s_delay_alu instid0(SALU_CYCLE_1)
	s_and_b32 exec_lo, exec_lo, s2
	s_cbranch_execz .LBB49_72
; %bb.71:
	v_mov_b32_e32 v11, 0
	ds_store_b16 v11, v42
.LBB49_72:
	s_or_b32 exec_lo, exec_lo, s18
	v_mov_b32_e32 v11, 0
	s_waitcnt lgkmcnt(0)
	s_waitcnt_vscnt null, 0x0
	s_barrier
	buffer_gl0_inv
	v_add_nc_u16 v12, v31, v9
	ds_load_u16 v11, v11
	s_waitcnt lgkmcnt(0)
	v_add_nc_u16 v11, v12, v11
	s_load_b128 s[4:7], s[0:1], 0x30
	s_branch .LBB49_83
.LBB49_73:
                                        ; implicit-def: $vgpr11
	s_load_b128 s[4:7], s[0:1], 0x30
	s_cbranch_execz .LBB49_83
; %bb.74:
	s_load_b32 s2, s[0:1], 0x40
	v_cmp_eq_u32_e32 vcc_lo, 0, v0
	s_waitcnt lgkmcnt(0)
	s_bitcmp1_b32 s2, 0
	v_cmp_ne_u32_e64 s2, 0, v0
	s_cselect_b32 s3, -1, 0
	s_delay_alu instid0(SALU_CYCLE_1) | instskip(NEXT) | instid1(SALU_CYCLE_1)
	s_and_b32 s15, vcc_lo, s3
	s_and_saveexec_b32 s3, s15
	s_cbranch_execz .LBB49_76
; %bb.75:
	v_mov_b32_e32 v11, 0
	global_load_u16 v11, v11, s[4:5]
	s_waitcnt vmcnt(0)
	v_add_nc_u16 v9, v11, v9
.LBB49_76:
	s_or_b32 exec_lo, exec_lo, s3
	v_add_nc_u16 v11, v10, v29
	v_add_lshl_u32 v12, v30, v0, 1
	s_mov_b32 s4, exec_lo
	s_delay_alu instid0(VALU_DEP_2) | instskip(NEXT) | instid1(VALU_DEP_1)
	v_add_nc_u16 v11, v11, v28
	v_add_nc_u16 v11, v11, v7
	s_delay_alu instid0(VALU_DEP_1) | instskip(NEXT) | instid1(VALU_DEP_1)
	v_add_nc_u16 v11, v11, v27
	v_add_nc_u16 v11, v11, v8
	s_delay_alu instid0(VALU_DEP_1) | instskip(NEXT) | instid1(VALU_DEP_1)
	;; [unrolled: 3-line block ×9, first 2 shown]
	v_add_nc_u16 v11, v11, v19
	v_add_nc_u16 v11, v11, v9
	ds_store_b16 v12, v11
	s_waitcnt lgkmcnt(0)
	s_barrier
	buffer_gl0_inv
	v_cmpx_gt_u32_e32 32, v0
	s_cbranch_execz .LBB49_78
; %bb.77:
	v_lshrrev_b32_e32 v12, 3, v0
	v_mbcnt_lo_u32_b32 v31, -1, 0
	s_delay_alu instid0(VALU_DEP_2) | instskip(NEXT) | instid1(VALU_DEP_2)
	v_and_b32_e32 v12, 6, v12
	v_and_b32_e32 v33, 15, v31
	s_delay_alu instid0(VALU_DEP_2) | instskip(NEXT) | instid1(VALU_DEP_2)
	v_lshl_or_b32 v12, v0, 2, v12
	v_cmp_ne_u32_e64 s3, 0, v33
	ds_load_u16 v13, v12
	ds_load_u16 v14, v12 offset:2
	s_waitcnt lgkmcnt(0)
	v_add_nc_u16 v30, v14, v13
	s_delay_alu instid0(VALU_DEP_1) | instskip(NEXT) | instid1(VALU_DEP_1)
	v_and_b32_e32 v32, 0xffff, v30
	v_mov_b32_dpp v32, v32 row_shr:1 row_mask:0xf bank_mask:0xf
	s_delay_alu instid0(VALU_DEP_1) | instskip(SKIP_1) | instid1(VALU_DEP_2)
	v_cndmask_b32_e64 v32, 0, v32, s3
	v_cmp_lt_u32_e64 s3, 1, v33
	v_add_nc_u16 v30, v32, v30
	s_delay_alu instid0(VALU_DEP_1) | instskip(NEXT) | instid1(VALU_DEP_1)
	v_and_b32_e32 v32, 0xffff, v30
	v_mov_b32_dpp v32, v32 row_shr:2 row_mask:0xf bank_mask:0xf
	s_delay_alu instid0(VALU_DEP_1) | instskip(SKIP_1) | instid1(VALU_DEP_2)
	v_cndmask_b32_e64 v32, 0, v32, s3
	v_cmp_lt_u32_e64 s3, 3, v33
	v_add_nc_u16 v30, v30, v32
	s_delay_alu instid0(VALU_DEP_1) | instskip(NEXT) | instid1(VALU_DEP_1)
	v_and_b32_e32 v32, 0xffff, v30
	v_mov_b32_dpp v32, v32 row_shr:4 row_mask:0xf bank_mask:0xf
	s_delay_alu instid0(VALU_DEP_1) | instskip(SKIP_2) | instid1(VALU_DEP_3)
	v_cndmask_b32_e64 v32, 0, v32, s3
	v_cmp_lt_u32_e64 s3, 7, v33
	v_and_b32_e32 v33, 16, v31
	v_add_nc_u16 v30, v30, v32
	s_delay_alu instid0(VALU_DEP_1) | instskip(NEXT) | instid1(VALU_DEP_1)
	v_and_b32_e32 v32, 0xffff, v30
	v_mov_b32_dpp v32, v32 row_shr:8 row_mask:0xf bank_mask:0xf
	s_delay_alu instid0(VALU_DEP_1) | instskip(SKIP_2) | instid1(VALU_DEP_3)
	v_cndmask_b32_e64 v32, 0, v32, s3
	v_cmp_ne_u32_e64 s3, 0, v33
	v_add_nc_u32_e32 v33, -1, v31
	v_add_nc_u16 v30, v30, v32
	s_delay_alu instid0(VALU_DEP_1) | instskip(SKIP_4) | instid1(VALU_DEP_2)
	v_and_b32_e32 v32, 0xffff, v30
	ds_swizzle_b32 v32, v32 offset:swizzle(BROADCAST,32,15)
	s_waitcnt lgkmcnt(0)
	v_cndmask_b32_e64 v32, 0, v32, s3
	v_cmp_gt_i32_e64 s3, 0, v33
	v_add_nc_u16 v30, v30, v32
	s_delay_alu instid0(VALU_DEP_2) | instskip(NEXT) | instid1(VALU_DEP_2)
	v_cndmask_b32_e64 v31, v33, v31, s3
	v_and_b32_e32 v30, 0xffff, v30
	s_delay_alu instid0(VALU_DEP_2) | instskip(SKIP_3) | instid1(VALU_DEP_1)
	v_lshlrev_b32_e32 v31, 2, v31
	ds_bpermute_b32 v30, v31, v30
	s_waitcnt lgkmcnt(0)
	v_add_nc_u16 v13, v13, v30
	v_cndmask_b32_e32 v11, v13, v11, vcc_lo
	s_delay_alu instid0(VALU_DEP_1)
	v_add_nc_u16 v13, v11, v14
	ds_store_b16 v12, v11
	ds_store_b16 v12, v13 offset:2
.LBB49_78:
	s_or_b32 exec_lo, exec_lo, s4
	v_mov_b32_e32 v11, 0
	s_waitcnt lgkmcnt(0)
	s_barrier
	buffer_gl0_inv
	s_and_saveexec_b32 s3, s2
	s_cbranch_execz .LBB49_80
; %bb.79:
	v_add_nc_u32_e32 v11, -1, v0
	s_delay_alu instid0(VALU_DEP_1) | instskip(NEXT) | instid1(VALU_DEP_1)
	v_lshrrev_b32_e32 v12, 5, v11
	v_add_lshl_u32 v11, v12, v11, 1
	ds_load_u16 v11, v11
.LBB49_80:
	s_or_b32 exec_lo, exec_lo, s3
	s_and_saveexec_b32 s2, vcc_lo
	s_cbranch_execz .LBB49_82
; %bb.81:
	v_mov_b32_e32 v12, 0
	ds_load_u16 v13, v12 offset:128
	s_waitcnt lgkmcnt(0)
	v_or_b32_e32 v13, 0x20000, v13
	global_store_b32 v12, v13, s[8:9] offset:128
.LBB49_82:
	s_or_b32 exec_lo, exec_lo, s2
	s_waitcnt lgkmcnt(0)
	v_add_nc_u16 v11, v11, v9
.LBB49_83:
	s_delay_alu instid0(VALU_DEP_1)
	v_add_nc_u16 v9, v11, v29
	s_add_u32 s2, s10, s12
	s_addc_u32 s3, s11, s13
	s_and_b32 vcc_lo, exec_lo, s17
	s_waitcnt lgkmcnt(0)
	s_mov_b32 s4, -1
	v_add_nc_u16 v10, v9, v10
	s_waitcnt_vscnt null, 0x0
	s_barrier
	buffer_gl0_inv
	v_add_nc_u16 v12, v10, v28
	s_delay_alu instid0(VALU_DEP_1) | instskip(NEXT) | instid1(VALU_DEP_1)
	v_add_nc_u16 v7, v12, v7
	v_add_nc_u16 v13, v7, v27
	s_delay_alu instid0(VALU_DEP_1) | instskip(NEXT) | instid1(VALU_DEP_1)
	v_add_nc_u16 v8, v13, v8
	;; [unrolled: 3-line block ×4, first 2 shown]
	v_add_nc_u16 v6, v5, v24
	s_delay_alu instid0(VALU_DEP_1) | instskip(SKIP_3) | instid1(VALU_DEP_4)
	v_add_nc_u16 v24, v6, v3
	v_perm_b32 v3, v13, v7, 0x5040100
	v_perm_b32 v5, v6, v5, 0x5040100
	;; [unrolled: 1-line block ×3, first 2 shown]
	v_add_nc_u16 v23, v24, v23
	s_delay_alu instid0(VALU_DEP_1) | instskip(SKIP_2) | instid1(VALU_DEP_3)
	v_add_nc_u16 v27, v23, v4
	v_perm_b32 v4, v14, v8, 0x5040100
	v_perm_b32 v8, v23, v24, 0x5040100
	v_add_nc_u16 v22, v27, v22
	s_delay_alu instid0(VALU_DEP_1) | instskip(SKIP_2) | instid1(VALU_DEP_3)
	v_add_nc_u16 v28, v22, v1
	v_perm_b32 v1, v9, v11, 0x5040100
	v_perm_b32 v7, v22, v27, 0x5040100
	;; [unrolled: 5-line block ×3, first 2 shown]
	v_add_nc_u16 v20, v29, v20
	s_delay_alu instid0(VALU_DEP_1) | instskip(SKIP_1) | instid1(VALU_DEP_2)
	v_add_nc_u16 v11, v20, v18
	v_perm_b32 v9, v20, v29, 0x5040100
	v_add_nc_u16 v12, v11, v19
	s_delay_alu instid0(VALU_DEP_1)
	v_perm_b32 v11, v12, v11, 0x5040100
	s_cbranch_vccz .LBB49_85
; %bb.84:
	ds_store_2addr_b32 v17, v1, v2 offset1:1
	ds_store_2addr_b32 v17, v3, v4 offset0:2 offset1:3
	ds_store_2addr_b32 v17, v6, v5 offset0:4 offset1:5
	;; [unrolled: 1-line block ×4, first 2 shown]
	ds_store_b32 v17, v11 offset:40
	s_waitcnt lgkmcnt(0)
	s_barrier
	buffer_gl0_inv
	ds_load_u16 v12, v15
	ds_load_u16 v13, v15 offset:128
	ds_load_u16 v14, v15 offset:256
	;; [unrolled: 1-line block ×21, first 2 shown]
	s_mov_b32 s4, 0
	s_waitcnt lgkmcnt(21)
	global_store_b16 v15, v12, s[2:3]
	s_waitcnt lgkmcnt(20)
	global_store_b16 v15, v13, s[2:3] offset:128
	s_waitcnt lgkmcnt(19)
	global_store_b16 v15, v14, s[2:3] offset:256
	;; [unrolled: 2-line block ×21, first 2 shown]
.LBB49_85:
	s_and_not1_b32 vcc_lo, exec_lo, s4
	s_cbranch_vccnz .LBB49_212
; %bb.86:
	ds_store_2addr_b32 v17, v1, v2 offset1:1
	ds_store_2addr_b32 v17, v3, v4 offset0:2 offset1:3
	ds_store_2addr_b32 v17, v6, v5 offset0:4 offset1:5
	ds_store_2addr_b32 v17, v8, v7 offset0:6 offset1:7
	ds_store_2addr_b32 v17, v10, v9 offset0:8 offset1:9
	ds_store_b32 v17, v11 offset:40
	s_waitcnt lgkmcnt(0)
	s_waitcnt_vscnt null, 0x0
	s_barrier
	buffer_gl0_inv
	ds_load_u16 v5, v15
	ds_load_u16 v4, v15 offset:128
	ds_load_u16 v7, v15 offset:256
	;; [unrolled: 1-line block ×21, first 2 shown]
	v_add_co_u32 v2, s2, s2, v15
	v_mov_b32_e32 v1, 0
	v_add_co_ci_u32_e64 v3, null, s3, 0, s2
	s_mov_b32 s2, exec_lo
	v_cmpx_gt_u32_e64 s14, v0
	s_cbranch_execz .LBB49_88
; %bb.87:
	s_waitcnt lgkmcnt(21)
	global_store_b16 v[2:3], v5, off
.LBB49_88:
	s_or_b32 exec_lo, exec_lo, s2
	v_or_b32_e32 v15, 64, v0
	s_mov_b32 s2, exec_lo
	s_delay_alu instid0(VALU_DEP_1)
	v_cmpx_gt_u32_e64 s14, v15
	s_cbranch_execz .LBB49_90
; %bb.89:
	s_waitcnt lgkmcnt(20)
	global_store_b16 v[2:3], v4, off offset:128
.LBB49_90:
	s_or_b32 exec_lo, exec_lo, s2
	v_or_b32_e32 v15, 0x80, v0
	s_mov_b32 s2, exec_lo
	s_delay_alu instid0(VALU_DEP_1)
	v_cmpx_gt_u32_e64 s14, v15
	s_cbranch_execz .LBB49_92
; %bb.91:
	s_waitcnt lgkmcnt(19)
	global_store_b16 v[2:3], v7, off offset:256
.LBB49_92:
	;; [unrolled: 10-line block ×21, first 2 shown]
	s_or_b32 exec_lo, exec_lo, s2
	s_load_b32 s0, s[0:1], 0x40
	s_waitcnt lgkmcnt(0)
	s_bfe_u32 s0, s0, 0x10008
	s_delay_alu instid0(SALU_CYCLE_1)
	s_cmp_eq_u32 s0, 0
	s_cbranch_scc1 .LBB49_212
; %bb.131:
	s_add_u32 s0, s14, -1
	s_addc_u32 s1, s16, -1
	s_add_u32 s2, 0, 0x2e8b0a00
	s_addc_u32 s3, 0, 42
	s_mul_hi_u32 s5, s2, 0xffffffea
	s_add_i32 s3, s3, 0xba2e890
	s_sub_i32 s5, s5, s2
	s_mul_i32 s8, s3, 0xffffffea
	s_mul_i32 s4, s2, 0xffffffea
	s_add_i32 s5, s5, s8
	s_mul_hi_u32 s9, s3, s4
	s_mul_i32 s8, s3, s4
	s_mul_i32 s10, s2, s5
	s_mul_hi_u32 s4, s2, s4
	s_mul_hi_u32 s11, s2, s5
	s_add_u32 s4, s4, s10
	s_addc_u32 s10, 0, s11
	s_mul_hi_u32 s11, s3, s5
	s_add_u32 s4, s4, s8
	s_addc_u32 s4, s10, s9
	s_mul_i32 s5, s3, s5
	s_addc_u32 s8, s11, 0
	s_add_u32 s4, s4, s5
	s_delay_alu instid0(SALU_CYCLE_1) | instskip(SKIP_2) | instid1(VALU_DEP_1)
	v_add_co_u32 v2, s2, s2, s4
	s_addc_u32 s4, 0, s8
	s_cmp_lg_u32 s2, 0
	v_readfirstlane_b32 s2, v2
	s_addc_u32 s3, s3, s4
	s_delay_alu instid0(SALU_CYCLE_1) | instskip(SKIP_1) | instid1(VALU_DEP_1)
	s_mul_i32 s4, s0, s3
	s_mul_hi_u32 s8, s0, s3
	s_mul_hi_u32 s5, s0, s2
	s_mul_i32 s9, s1, s2
	s_add_u32 s4, s5, s4
	s_addc_u32 s5, 0, s8
	s_mul_hi_u32 s2, s1, s2
	s_mul_hi_u32 s8, s1, s3
	s_add_u32 s4, s4, s9
	s_addc_u32 s2, s5, s2
	s_mul_i32 s3, s1, s3
	s_addc_u32 s4, s8, 0
	s_add_u32 s2, s2, s3
	s_addc_u32 s3, 0, s4
	s_mul_i32 s5, s2, 22
	s_add_u32 s4, s2, 1
	v_sub_co_u32 v2, s5, s0, s5
	s_addc_u32 s8, s3, 0
	s_mul_i32 s10, s3, 22
	s_mul_hi_u32 s12, s2, 22
	s_delay_alu instid0(VALU_DEP_1)
	v_sub_co_u32 v3, s11, v2, 22
	s_add_u32 s9, s2, 2
	s_addc_u32 s13, s3, 0
	s_add_i32 s12, s12, s10
	s_cmp_lg_u32 s5, 0
	v_readfirstlane_b32 s5, v3
	s_subb_u32 s10, s1, s12
	s_cmp_lg_u32 s11, 0
	s_subb_u32 s11, s10, 0
	s_delay_alu instid0(VALU_DEP_1) | instskip(SKIP_4) | instid1(SALU_CYCLE_1)
	s_cmp_gt_u32 s5, 21
	s_cselect_b32 s5, -1, 0
	s_cmp_eq_u32 s11, 0
	v_readfirstlane_b32 s11, v2
	s_cselect_b32 s5, s5, -1
	s_cmp_lg_u32 s5, 0
	s_cselect_b32 s4, s9, s4
	s_cselect_b32 s5, s13, s8
	s_cmp_gt_u32 s11, 21
	s_cselect_b32 s8, -1, 0
	s_cmp_eq_u32 s10, 0
	s_cselect_b32 s8, s8, -1
	s_delay_alu instid0(SALU_CYCLE_1) | instskip(SKIP_2) | instid1(SALU_CYCLE_1)
	s_cmp_lg_u32 s8, 0
	s_cselect_b32 s3, s5, s3
	s_cselect_b32 s2, s4, s2
	v_cmp_eq_u64_e32 vcc_lo, s[2:3], v[0:1]
	s_and_saveexec_b32 s2, vcc_lo
	s_cbranch_execz .LBB49_212
; %bb.132:
	v_mul_hi_u32_u24_e32 v1, 22, v0
	v_sub_co_u32 v0, vcc_lo, s0, v16
	s_mov_b32 s0, 0
	s_mov_b32 s2, 0
	s_delay_alu instid0(VALU_DEP_2) | instskip(SKIP_1) | instid1(VALU_DEP_1)
	v_sub_co_ci_u32_e32 v1, vcc_lo, s1, v1, vcc_lo
	s_mov_b32 s1, exec_lo
	v_cmpx_lt_i64_e32 10, v[0:1]
	s_xor_b32 s1, exec_lo, s1
	s_cbranch_execnz .LBB49_136
; %bb.133:
	s_or_saveexec_b32 s1, s1
	s_mov_b32 s3, 0
	s_xor_b32 exec_lo, exec_lo, s1
	s_cbranch_execnz .LBB49_177
.LBB49_134:
	s_or_b32 exec_lo, exec_lo, s1
	s_and_saveexec_b32 s1, s2
	s_cbranch_execnz .LBB49_188
.LBB49_135:
	s_or_b32 exec_lo, exec_lo, s1
	s_and_saveexec_b32 s1, s0
	s_cbranch_execnz .LBB49_189
	s_branch .LBB49_193
.LBB49_136:
	s_mov_b32 s3, 0
	s_mov_b32 s2, exec_lo
	v_cmpx_lt_i64_e32 15, v[0:1]
	s_xor_b32 s2, exec_lo, s2
	s_cbranch_execz .LBB49_158
; %bb.137:
	s_mov_b32 s4, exec_lo
                                        ; implicit-def: $vgpr12
	v_cmpx_lt_i64_e32 18, v[0:1]
	s_xor_b32 s4, exec_lo, s4
	s_cbranch_execz .LBB49_147
; %bb.138:
	s_mov_b32 s5, 0
	s_mov_b32 s3, exec_lo
                                        ; implicit-def: $vgpr12
	v_cmpx_lt_i64_e32 19, v[0:1]
	s_xor_b32 s3, exec_lo, s3
	s_cbranch_execz .LBB49_144
; %bb.139:
	s_mov_b32 s5, exec_lo
	v_cmpx_lt_i64_e32 20, v[0:1]
	s_xor_b32 s5, exec_lo, s5
	s_cbranch_execz .LBB49_141
; %bb.140:
	v_mov_b32_e32 v2, 0
                                        ; implicit-def: $vgpr21
	global_store_b16 v2, v27, s[6:7]
.LBB49_141:
	s_or_saveexec_b32 s5, s5
	s_mov_b32 s8, 0
	s_xor_b32 exec_lo, exec_lo, s5
; %bb.142:
	s_delay_alu instid0(SALU_CYCLE_1)
	s_mov_b32 s8, exec_lo
; %bb.143:
	s_or_b32 exec_lo, exec_lo, s5
	v_mov_b32_e32 v12, v21
	s_and_b32 s5, s8, exec_lo
                                        ; implicit-def: $vgpr26
.LBB49_144:
	s_and_not1_saveexec_b32 s3, s3
	s_cbranch_execz .LBB49_146
; %bb.145:
	v_mov_b32_e32 v2, 0
                                        ; implicit-def: $vgpr12
	global_store_b16 v2, v26, s[6:7]
.LBB49_146:
	s_or_b32 exec_lo, exec_lo, s3
	s_delay_alu instid0(SALU_CYCLE_1)
	s_and_b32 s3, s5, exec_lo
                                        ; implicit-def: $vgpr23
                                        ; implicit-def: $vgpr20
                                        ; implicit-def: $vgpr25
.LBB49_147:
	s_and_not1_saveexec_b32 s4, s4
	s_cbranch_execz .LBB49_157
; %bb.148:
	s_mov_b32 s5, exec_lo
	v_cmpx_lt_i64_e32 16, v[0:1]
	s_xor_b32 s5, exec_lo, s5
	s_cbranch_execz .LBB49_154
; %bb.149:
	s_mov_b32 s8, exec_lo
	v_cmpx_lt_i64_e32 17, v[0:1]
	s_xor_b32 s8, exec_lo, s8
	s_cbranch_execz .LBB49_151
; %bb.150:
	v_mov_b32_e32 v2, 0
                                        ; implicit-def: $vgpr20
	global_store_b16 v2, v25, s[6:7]
.LBB49_151:
	s_and_not1_saveexec_b32 s8, s8
	s_cbranch_execz .LBB49_153
; %bb.152:
	v_mov_b32_e32 v2, 0
	global_store_b16 v2, v20, s[6:7]
.LBB49_153:
	s_or_b32 exec_lo, exec_lo, s8
                                        ; implicit-def: $vgpr23
.LBB49_154:
	s_and_not1_saveexec_b32 s5, s5
	s_cbranch_execz .LBB49_156
; %bb.155:
	v_mov_b32_e32 v2, 0
	global_store_b16 v2, v23, s[6:7]
.LBB49_156:
	s_or_b32 exec_lo, exec_lo, s5
                                        ; implicit-def: $vgpr12
.LBB49_157:
	s_delay_alu instid0(SALU_CYCLE_1) | instskip(NEXT) | instid1(SALU_CYCLE_1)
	s_or_b32 exec_lo, exec_lo, s4
	s_and_b32 s3, s3, exec_lo
                                        ; implicit-def: $vgpr22
                                        ; implicit-def: $vgpr19
                                        ; implicit-def: $vgpr18
                                        ; implicit-def: $vgpr24
.LBB49_158:
	s_and_not1_saveexec_b32 s2, s2
	s_cbranch_execz .LBB49_176
; %bb.159:
	s_mov_b32 s4, exec_lo
	v_cmpx_lt_i64_e32 12, v[0:1]
	s_xor_b32 s4, exec_lo, s4
	s_cbranch_execz .LBB49_169
; %bb.160:
	s_mov_b32 s5, exec_lo
	v_cmpx_lt_i64_e32 13, v[0:1]
	s_xor_b32 s5, exec_lo, s5
	;; [unrolled: 5-line block ×3, first 2 shown]
	s_cbranch_execz .LBB49_163
; %bb.162:
	v_mov_b32_e32 v2, 0
                                        ; implicit-def: $vgpr18
	global_store_b16 v2, v24, s[6:7]
.LBB49_163:
	s_and_not1_saveexec_b32 s8, s8
	s_cbranch_execz .LBB49_165
; %bb.164:
	v_mov_b32_e32 v2, 0
	global_store_b16 v2, v18, s[6:7]
.LBB49_165:
	s_or_b32 exec_lo, exec_lo, s8
                                        ; implicit-def: $vgpr22
.LBB49_166:
	s_and_not1_saveexec_b32 s5, s5
	s_cbranch_execz .LBB49_168
; %bb.167:
	v_mov_b32_e32 v2, 0
	global_store_b16 v2, v22, s[6:7]
.LBB49_168:
	s_or_b32 exec_lo, exec_lo, s5
                                        ; implicit-def: $vgpr12
                                        ; implicit-def: $vgpr19
.LBB49_169:
	s_or_saveexec_b32 s4, s4
	s_mov_b32 s5, s3
	s_xor_b32 exec_lo, exec_lo, s4
	s_cbranch_execz .LBB49_175
; %bb.170:
	s_mov_b32 s5, exec_lo
	v_cmpx_lt_i64_e32 11, v[0:1]
	s_xor_b32 s5, exec_lo, s5
	s_cbranch_execz .LBB49_172
; %bb.171:
	v_mov_b32_e32 v2, 0
                                        ; implicit-def: $vgpr12
	global_store_b16 v2, v19, s[6:7]
.LBB49_172:
	s_or_saveexec_b32 s5, s5
	s_mov_b32 s8, s3
	s_xor_b32 exec_lo, exec_lo, s5
; %bb.173:
	s_delay_alu instid0(SALU_CYCLE_1)
	s_or_b32 s8, s3, exec_lo
; %bb.174:
	s_or_b32 exec_lo, exec_lo, s5
	s_delay_alu instid0(SALU_CYCLE_1) | instskip(SKIP_1) | instid1(SALU_CYCLE_1)
	s_and_not1_b32 s5, s3, exec_lo
	s_and_b32 s8, s8, exec_lo
	s_or_b32 s5, s5, s8
.LBB49_175:
	s_or_b32 exec_lo, exec_lo, s4
	s_delay_alu instid0(SALU_CYCLE_1) | instskip(SKIP_1) | instid1(SALU_CYCLE_1)
	s_and_not1_b32 s3, s3, exec_lo
	s_and_b32 s4, s5, exec_lo
	s_or_b32 s3, s3, s4
.LBB49_176:
	s_or_b32 exec_lo, exec_lo, s2
	s_delay_alu instid0(SALU_CYCLE_1)
	s_and_b32 s2, s3, exec_lo
                                        ; implicit-def: $vgpr14
                                        ; implicit-def: $vgpr17
                                        ; implicit-def: $vgpr13
	s_or_saveexec_b32 s1, s1
	s_mov_b32 s3, 0
	s_xor_b32 exec_lo, exec_lo, s1
	s_cbranch_execz .LBB49_134
.LBB49_177:
	s_mov_b32 s4, 0
	s_mov_b32 s3, -1
	s_mov_b32 s5, s2
	s_mov_b32 s0, exec_lo
                                        ; implicit-def: $vgpr12
	v_cmpx_lt_i64_e32 5, v[0:1]
	s_cbranch_execz .LBB49_187
; %bb.178:
	s_mov_b32 s4, -1
	s_mov_b32 s5, s2
	s_mov_b32 s3, exec_lo
	v_cmpx_lt_i64_e32 7, v[0:1]
	s_cbranch_execz .LBB49_186
; %bb.179:
	s_mov_b32 s4, exec_lo
	v_cmpx_lt_i64_e32 8, v[0:1]
	s_cbranch_execz .LBB49_185
; %bb.180:
	s_mov_b32 s5, exec_lo
	v_cmpx_lt_i64_e32 9, v[0:1]
	s_xor_b32 s5, exec_lo, s5
; %bb.181:
                                        ; implicit-def: $vgpr17
; %bb.182:
	s_delay_alu instid0(SALU_CYCLE_1)
	s_and_not1_saveexec_b32 s5, s5
; %bb.183:
	v_mov_b32_e32 v13, v17
; %bb.184:
	s_or_b32 exec_lo, exec_lo, s5
	s_delay_alu instid0(VALU_DEP_1)
	v_mov_b32_e32 v14, v13
.LBB49_185:
	s_or_b32 exec_lo, exec_lo, s4
	s_delay_alu instid0(SALU_CYCLE_1)
	s_xor_b32 s4, exec_lo, -1
	s_or_b32 s5, s2, exec_lo
.LBB49_186:
	s_or_b32 exec_lo, exec_lo, s3
	v_mov_b32_e32 v12, v14
	s_and_not1_b32 s8, s2, exec_lo
	s_and_b32 s5, s5, exec_lo
	s_xor_b32 s3, exec_lo, -1
	s_and_b32 s4, s4, exec_lo
	s_or_b32 s5, s8, s5
.LBB49_187:
	s_or_b32 exec_lo, exec_lo, s0
	s_delay_alu instid0(SALU_CYCLE_1)
	s_and_not1_b32 s2, s2, exec_lo
	s_and_b32 s5, s5, exec_lo
	s_and_b32 s3, s3, exec_lo
	;; [unrolled: 1-line block ×3, first 2 shown]
	s_or_b32 s2, s2, s5
	s_or_b32 exec_lo, exec_lo, s1
	s_and_saveexec_b32 s1, s2
	s_cbranch_execz .LBB49_135
.LBB49_188:
	v_mov_b32_e32 v2, 0
	global_store_b16 v2, v12, s[6:7]
	s_or_b32 exec_lo, exec_lo, s1
	s_and_saveexec_b32 s1, s0
	s_cbranch_execz .LBB49_193
.LBB49_189:
	s_mov_b32 s0, exec_lo
	v_cmpx_lt_i64_e32 6, v[0:1]
	s_xor_b32 s0, exec_lo, s0
	s_cbranch_execz .LBB49_191
; %bb.190:
	v_mov_b32_e32 v2, 0
                                        ; implicit-def: $vgpr10
	global_store_b16 v2, v11, s[6:7]
.LBB49_191:
	s_and_not1_saveexec_b32 s0, s0
	s_cbranch_execz .LBB49_193
; %bb.192:
	v_mov_b32_e32 v2, 0
	global_store_b16 v2, v10, s[6:7]
.LBB49_193:
	s_or_b32 exec_lo, exec_lo, s1
	s_delay_alu instid0(SALU_CYCLE_1)
	s_and_b32 exec_lo, exec_lo, s3
	s_cbranch_execz .LBB49_212
; %bb.194:
	s_mov_b32 s0, exec_lo
	v_cmpx_lt_i64_e32 2, v[0:1]
	s_xor_b32 s0, exec_lo, s0
	s_cbranch_execz .LBB49_204
; %bb.195:
	s_mov_b32 s1, exec_lo
	v_cmpx_lt_i64_e32 3, v[0:1]
	s_xor_b32 s1, exec_lo, s1
	;; [unrolled: 5-line block ×3, first 2 shown]
	s_cbranch_execz .LBB49_198
; %bb.197:
	v_mov_b32_e32 v0, 0
                                        ; implicit-def: $vgpr6
	global_store_b16 v0, v9, s[6:7]
.LBB49_198:
	s_and_not1_saveexec_b32 s2, s2
	s_cbranch_execz .LBB49_200
; %bb.199:
	v_mov_b32_e32 v0, 0
	global_store_b16 v0, v6, s[6:7]
.LBB49_200:
	s_or_b32 exec_lo, exec_lo, s2
                                        ; implicit-def: $vgpr8
.LBB49_201:
	s_and_not1_saveexec_b32 s1, s1
	s_cbranch_execz .LBB49_203
; %bb.202:
	v_mov_b32_e32 v0, 0
	global_store_b16 v0, v8, s[6:7]
.LBB49_203:
	s_or_b32 exec_lo, exec_lo, s1
                                        ; implicit-def: $vgpr0_vgpr1
                                        ; implicit-def: $vgpr7
                                        ; implicit-def: $vgpr4
                                        ; implicit-def: $vgpr5
.LBB49_204:
	s_and_not1_saveexec_b32 s0, s0
	s_cbranch_execz .LBB49_212
; %bb.205:
	s_mov_b32 s0, exec_lo
	v_cmpx_lt_i64_e32 1, v[0:1]
	s_xor_b32 s0, exec_lo, s0
	s_cbranch_execz .LBB49_207
; %bb.206:
	v_mov_b32_e32 v0, 0
                                        ; implicit-def: $vgpr4
                                        ; implicit-def: $vgpr5
	global_store_b16 v0, v7, s[6:7]
                                        ; implicit-def: $vgpr0_vgpr1
.LBB49_207:
	s_and_not1_saveexec_b32 s0, s0
	s_cbranch_execz .LBB49_212
; %bb.208:
	s_mov_b32 s0, exec_lo
	v_cmpx_ne_u64_e32 1, v[0:1]
	s_xor_b32 s0, exec_lo, s0
	s_cbranch_execz .LBB49_210
; %bb.209:
	v_mov_b32_e32 v0, 0
                                        ; implicit-def: $vgpr4
	global_store_b16 v0, v5, s[6:7]
.LBB49_210:
	s_and_not1_saveexec_b32 s0, s0
	s_cbranch_execz .LBB49_212
; %bb.211:
	v_mov_b32_e32 v0, 0
	global_store_b16 v0, v4, s[6:7]
.LBB49_212:
	s_nop 0
	s_sendmsg sendmsg(MSG_DEALLOC_VGPRS)
	s_endpgm
	.section	.rodata,"a",@progbits
	.p2align	6, 0x0
	.amdhsa_kernel _ZN7rocprim17ROCPRIM_304000_NS6detail20lookback_scan_kernelILNS1_25lookback_scan_determinismE0ELb0ENS1_19wrapped_scan_configINS0_14default_configEsEEPKsPsSt4plusIsEssNS1_19lookback_scan_stateIsLb0ELb1EEEEEvT2_T3_mT5_T4_T7_jPT6_SK_bb
		.amdhsa_group_segment_fixed_size 2816
		.amdhsa_private_segment_fixed_size 0
		.amdhsa_kernarg_size 68
		.amdhsa_user_sgpr_count 15
		.amdhsa_user_sgpr_dispatch_ptr 0
		.amdhsa_user_sgpr_queue_ptr 0
		.amdhsa_user_sgpr_kernarg_segment_ptr 1
		.amdhsa_user_sgpr_dispatch_id 0
		.amdhsa_user_sgpr_private_segment_size 0
		.amdhsa_wavefront_size32 1
		.amdhsa_uses_dynamic_stack 0
		.amdhsa_enable_private_segment 0
		.amdhsa_system_sgpr_workgroup_id_x 1
		.amdhsa_system_sgpr_workgroup_id_y 0
		.amdhsa_system_sgpr_workgroup_id_z 0
		.amdhsa_system_sgpr_workgroup_info 0
		.amdhsa_system_vgpr_workitem_id 0
		.amdhsa_next_free_vgpr 50
		.amdhsa_next_free_sgpr 19
		.amdhsa_reserve_vcc 1
		.amdhsa_float_round_mode_32 0
		.amdhsa_float_round_mode_16_64 0
		.amdhsa_float_denorm_mode_32 3
		.amdhsa_float_denorm_mode_16_64 3
		.amdhsa_dx10_clamp 1
		.amdhsa_ieee_mode 1
		.amdhsa_fp16_overflow 0
		.amdhsa_workgroup_processor_mode 1
		.amdhsa_memory_ordered 1
		.amdhsa_forward_progress 0
		.amdhsa_shared_vgpr_count 0
		.amdhsa_exception_fp_ieee_invalid_op 0
		.amdhsa_exception_fp_denorm_src 0
		.amdhsa_exception_fp_ieee_div_zero 0
		.amdhsa_exception_fp_ieee_overflow 0
		.amdhsa_exception_fp_ieee_underflow 0
		.amdhsa_exception_fp_ieee_inexact 0
		.amdhsa_exception_int_div_zero 0
	.end_amdhsa_kernel
	.section	.text._ZN7rocprim17ROCPRIM_304000_NS6detail20lookback_scan_kernelILNS1_25lookback_scan_determinismE0ELb0ENS1_19wrapped_scan_configINS0_14default_configEsEEPKsPsSt4plusIsEssNS1_19lookback_scan_stateIsLb0ELb1EEEEEvT2_T3_mT5_T4_T7_jPT6_SK_bb,"axG",@progbits,_ZN7rocprim17ROCPRIM_304000_NS6detail20lookback_scan_kernelILNS1_25lookback_scan_determinismE0ELb0ENS1_19wrapped_scan_configINS0_14default_configEsEEPKsPsSt4plusIsEssNS1_19lookback_scan_stateIsLb0ELb1EEEEEvT2_T3_mT5_T4_T7_jPT6_SK_bb,comdat
.Lfunc_end49:
	.size	_ZN7rocprim17ROCPRIM_304000_NS6detail20lookback_scan_kernelILNS1_25lookback_scan_determinismE0ELb0ENS1_19wrapped_scan_configINS0_14default_configEsEEPKsPsSt4plusIsEssNS1_19lookback_scan_stateIsLb0ELb1EEEEEvT2_T3_mT5_T4_T7_jPT6_SK_bb, .Lfunc_end49-_ZN7rocprim17ROCPRIM_304000_NS6detail20lookback_scan_kernelILNS1_25lookback_scan_determinismE0ELb0ENS1_19wrapped_scan_configINS0_14default_configEsEEPKsPsSt4plusIsEssNS1_19lookback_scan_stateIsLb0ELb1EEEEEvT2_T3_mT5_T4_T7_jPT6_SK_bb
                                        ; -- End function
	.section	.AMDGPU.csdata,"",@progbits
; Kernel info:
; codeLenInByte = 8384
; NumSgprs: 21
; NumVgprs: 50
; ScratchSize: 0
; MemoryBound: 0
; FloatMode: 240
; IeeeMode: 1
; LDSByteSize: 2816 bytes/workgroup (compile time only)
; SGPRBlocks: 2
; VGPRBlocks: 6
; NumSGPRsForWavesPerEU: 21
; NumVGPRsForWavesPerEU: 50
; Occupancy: 16
; WaveLimiterHint : 1
; COMPUTE_PGM_RSRC2:SCRATCH_EN: 0
; COMPUTE_PGM_RSRC2:USER_SGPR: 15
; COMPUTE_PGM_RSRC2:TRAP_HANDLER: 0
; COMPUTE_PGM_RSRC2:TGID_X_EN: 1
; COMPUTE_PGM_RSRC2:TGID_Y_EN: 0
; COMPUTE_PGM_RSRC2:TGID_Z_EN: 0
; COMPUTE_PGM_RSRC2:TIDIG_COMP_CNT: 0
	.section	.text._ZN7rocprim17ROCPRIM_304000_NS6detail16transform_kernelINS1_24wrapped_transform_configINS0_14default_configEsEEsPsS6_NS0_8identityIsEEEEvT1_mT2_T3_,"axG",@progbits,_ZN7rocprim17ROCPRIM_304000_NS6detail16transform_kernelINS1_24wrapped_transform_configINS0_14default_configEsEEsPsS6_NS0_8identityIsEEEEvT1_mT2_T3_,comdat
	.protected	_ZN7rocprim17ROCPRIM_304000_NS6detail16transform_kernelINS1_24wrapped_transform_configINS0_14default_configEsEEsPsS6_NS0_8identityIsEEEEvT1_mT2_T3_ ; -- Begin function _ZN7rocprim17ROCPRIM_304000_NS6detail16transform_kernelINS1_24wrapped_transform_configINS0_14default_configEsEEsPsS6_NS0_8identityIsEEEEvT1_mT2_T3_
	.globl	_ZN7rocprim17ROCPRIM_304000_NS6detail16transform_kernelINS1_24wrapped_transform_configINS0_14default_configEsEEsPsS6_NS0_8identityIsEEEEvT1_mT2_T3_
	.p2align	8
	.type	_ZN7rocprim17ROCPRIM_304000_NS6detail16transform_kernelINS1_24wrapped_transform_configINS0_14default_configEsEEsPsS6_NS0_8identityIsEEEEvT1_mT2_T3_,@function
_ZN7rocprim17ROCPRIM_304000_NS6detail16transform_kernelINS1_24wrapped_transform_configINS0_14default_configEsEEsPsS6_NS0_8identityIsEEEEvT1_mT2_T3_: ; @_ZN7rocprim17ROCPRIM_304000_NS6detail16transform_kernelINS1_24wrapped_transform_configINS0_14default_configEsEEsPsS6_NS0_8identityIsEEEEvT1_mT2_T3_
; %bb.0:
	s_clause 0x2
	s_load_b32 s10, s[0:1], 0x20
	s_load_b128 s[4:7], s[0:1], 0x0
	s_load_b64 s[2:3], s[0:1], 0x10
	s_mov_b32 s1, 0
	s_lshl_b32 s0, s15, 11
	v_lshlrev_b32_e32 v3, 1, v0
	s_lshl_b64 s[8:9], s[0:1], 1
	s_waitcnt lgkmcnt(0)
	s_add_i32 s10, s10, -1
	s_add_u32 s4, s4, s8
	s_addc_u32 s5, s5, s9
	v_add_co_u32 v1, s4, s4, v3
	s_delay_alu instid0(VALU_DEP_1)
	v_add_co_ci_u32_e64 v2, null, s5, 0, s4
	s_cmp_lg_u32 s15, s10
	s_mov_b32 s4, -1
	s_cbranch_scc0 .LBB50_2
; %bb.1:
	s_clause 0x1
	global_load_u16 v5, v[1:2], off
	global_load_u16 v4, v[1:2], off offset:2048
	s_add_u32 s10, s2, s8
	s_addc_u32 s11, s3, s9
	s_mov_b32 s1, -1
	s_waitcnt vmcnt(1)
	global_store_b16 v3, v5, s[10:11]
	s_cbranch_execz .LBB50_3
	s_branch .LBB50_10
.LBB50_2:
                                        ; implicit-def: $vgpr4
	s_and_not1_b32 vcc_lo, exec_lo, s4
	s_cbranch_vccnz .LBB50_10
.LBB50_3:
	s_sub_i32 s0, s6, s0
                                        ; implicit-def: $vgpr5
	s_delay_alu instid0(SALU_CYCLE_1)
	v_cmp_gt_u32_e32 vcc_lo, s0, v0
	s_and_saveexec_b32 s4, vcc_lo
	s_cbranch_execz .LBB50_5
; %bb.4:
	global_load_d16_b16 v5, v[1:2], off
.LBB50_5:
	s_or_b32 exec_lo, exec_lo, s4
	v_or_b32_e32 v0, 0x400, v0
	s_delay_alu instid0(VALU_DEP_1) | instskip(NEXT) | instid1(VALU_DEP_1)
	v_cmp_gt_u32_e64 s0, s0, v0
	s_and_saveexec_b32 s4, s0
	s_cbranch_execnz .LBB50_13
; %bb.6:
	s_or_b32 exec_lo, exec_lo, s4
	s_and_saveexec_b32 s4, vcc_lo
	s_cbranch_execnz .LBB50_14
.LBB50_7:
	s_or_b32 exec_lo, exec_lo, s4
                                        ; implicit-def: $vgpr4
	s_and_saveexec_b32 s4, s0
	s_cbranch_execz .LBB50_9
.LBB50_8:
	s_waitcnt vmcnt(0)
	v_lshrrev_b32_e32 v4, 16, v5
	s_or_b32 s1, s1, exec_lo
.LBB50_9:
	s_or_b32 exec_lo, exec_lo, s4
.LBB50_10:
	s_and_saveexec_b32 s0, s1
	s_cbranch_execnz .LBB50_12
; %bb.11:
	s_nop 0
	s_sendmsg sendmsg(MSG_DEALLOC_VGPRS)
	s_endpgm
.LBB50_12:
	s_add_u32 s0, s2, s8
	s_addc_u32 s1, s3, s9
	s_waitcnt vmcnt(0)
	global_store_b16 v3, v4, s[0:1] offset:2048
	s_nop 0
	s_sendmsg sendmsg(MSG_DEALLOC_VGPRS)
	s_endpgm
.LBB50_13:
	global_load_d16_hi_b16 v5, v[1:2], off offset:2048
	s_or_b32 exec_lo, exec_lo, s4
	s_and_saveexec_b32 s4, vcc_lo
	s_cbranch_execz .LBB50_7
.LBB50_14:
	s_add_u32 s6, s2, s8
	s_addc_u32 s7, s3, s9
	s_waitcnt vmcnt(0)
	global_store_b16 v3, v5, s[6:7]
	s_or_b32 exec_lo, exec_lo, s4
                                        ; implicit-def: $vgpr4
	s_and_saveexec_b32 s4, s0
	s_cbranch_execnz .LBB50_8
	s_branch .LBB50_9
	.section	.rodata,"a",@progbits
	.p2align	6, 0x0
	.amdhsa_kernel _ZN7rocprim17ROCPRIM_304000_NS6detail16transform_kernelINS1_24wrapped_transform_configINS0_14default_configEsEEsPsS6_NS0_8identityIsEEEEvT1_mT2_T3_
		.amdhsa_group_segment_fixed_size 0
		.amdhsa_private_segment_fixed_size 0
		.amdhsa_kernarg_size 288
		.amdhsa_user_sgpr_count 15
		.amdhsa_user_sgpr_dispatch_ptr 0
		.amdhsa_user_sgpr_queue_ptr 0
		.amdhsa_user_sgpr_kernarg_segment_ptr 1
		.amdhsa_user_sgpr_dispatch_id 0
		.amdhsa_user_sgpr_private_segment_size 0
		.amdhsa_wavefront_size32 1
		.amdhsa_uses_dynamic_stack 0
		.amdhsa_enable_private_segment 0
		.amdhsa_system_sgpr_workgroup_id_x 1
		.amdhsa_system_sgpr_workgroup_id_y 0
		.amdhsa_system_sgpr_workgroup_id_z 0
		.amdhsa_system_sgpr_workgroup_info 0
		.amdhsa_system_vgpr_workitem_id 0
		.amdhsa_next_free_vgpr 6
		.amdhsa_next_free_sgpr 16
		.amdhsa_reserve_vcc 1
		.amdhsa_float_round_mode_32 0
		.amdhsa_float_round_mode_16_64 0
		.amdhsa_float_denorm_mode_32 3
		.amdhsa_float_denorm_mode_16_64 3
		.amdhsa_dx10_clamp 1
		.amdhsa_ieee_mode 1
		.amdhsa_fp16_overflow 0
		.amdhsa_workgroup_processor_mode 1
		.amdhsa_memory_ordered 1
		.amdhsa_forward_progress 0
		.amdhsa_shared_vgpr_count 0
		.amdhsa_exception_fp_ieee_invalid_op 0
		.amdhsa_exception_fp_denorm_src 0
		.amdhsa_exception_fp_ieee_div_zero 0
		.amdhsa_exception_fp_ieee_overflow 0
		.amdhsa_exception_fp_ieee_underflow 0
		.amdhsa_exception_fp_ieee_inexact 0
		.amdhsa_exception_int_div_zero 0
	.end_amdhsa_kernel
	.section	.text._ZN7rocprim17ROCPRIM_304000_NS6detail16transform_kernelINS1_24wrapped_transform_configINS0_14default_configEsEEsPsS6_NS0_8identityIsEEEEvT1_mT2_T3_,"axG",@progbits,_ZN7rocprim17ROCPRIM_304000_NS6detail16transform_kernelINS1_24wrapped_transform_configINS0_14default_configEsEEsPsS6_NS0_8identityIsEEEEvT1_mT2_T3_,comdat
.Lfunc_end50:
	.size	_ZN7rocprim17ROCPRIM_304000_NS6detail16transform_kernelINS1_24wrapped_transform_configINS0_14default_configEsEEsPsS6_NS0_8identityIsEEEEvT1_mT2_T3_, .Lfunc_end50-_ZN7rocprim17ROCPRIM_304000_NS6detail16transform_kernelINS1_24wrapped_transform_configINS0_14default_configEsEEsPsS6_NS0_8identityIsEEEEvT1_mT2_T3_
                                        ; -- End function
	.section	.AMDGPU.csdata,"",@progbits
; Kernel info:
; codeLenInByte = 360
; NumSgprs: 18
; NumVgprs: 6
; ScratchSize: 0
; MemoryBound: 0
; FloatMode: 240
; IeeeMode: 1
; LDSByteSize: 0 bytes/workgroup (compile time only)
; SGPRBlocks: 2
; VGPRBlocks: 0
; NumSGPRsForWavesPerEU: 18
; NumVGPRsForWavesPerEU: 6
; Occupancy: 16
; WaveLimiterHint : 1
; COMPUTE_PGM_RSRC2:SCRATCH_EN: 0
; COMPUTE_PGM_RSRC2:USER_SGPR: 15
; COMPUTE_PGM_RSRC2:TRAP_HANDLER: 0
; COMPUTE_PGM_RSRC2:TGID_X_EN: 1
; COMPUTE_PGM_RSRC2:TGID_Y_EN: 0
; COMPUTE_PGM_RSRC2:TGID_Z_EN: 0
; COMPUTE_PGM_RSRC2:TIDIG_COMP_CNT: 0
	.section	.text._ZN7rocprim17ROCPRIM_304000_NS6detail18single_scan_kernelILb0ENS1_19wrapped_scan_configINS0_14default_configEsEEPKsPsSt4plusIsEssEEvT1_mT4_T2_T3_,"axG",@progbits,_ZN7rocprim17ROCPRIM_304000_NS6detail18single_scan_kernelILb0ENS1_19wrapped_scan_configINS0_14default_configEsEEPKsPsSt4plusIsEssEEvT1_mT4_T2_T3_,comdat
	.protected	_ZN7rocprim17ROCPRIM_304000_NS6detail18single_scan_kernelILb0ENS1_19wrapped_scan_configINS0_14default_configEsEEPKsPsSt4plusIsEssEEvT1_mT4_T2_T3_ ; -- Begin function _ZN7rocprim17ROCPRIM_304000_NS6detail18single_scan_kernelILb0ENS1_19wrapped_scan_configINS0_14default_configEsEEPKsPsSt4plusIsEssEEvT1_mT4_T2_T3_
	.globl	_ZN7rocprim17ROCPRIM_304000_NS6detail18single_scan_kernelILb0ENS1_19wrapped_scan_configINS0_14default_configEsEEPKsPsSt4plusIsEssEEvT1_mT4_T2_T3_
	.p2align	8
	.type	_ZN7rocprim17ROCPRIM_304000_NS6detail18single_scan_kernelILb0ENS1_19wrapped_scan_configINS0_14default_configEsEEPKsPsSt4plusIsEssEEvT1_mT4_T2_T3_,@function
_ZN7rocprim17ROCPRIM_304000_NS6detail18single_scan_kernelILb0ENS1_19wrapped_scan_configINS0_14default_configEsEEPKsPsSt4plusIsEssEEvT1_mT4_T2_T3_: ; @_ZN7rocprim17ROCPRIM_304000_NS6detail18single_scan_kernelILb0ENS1_19wrapped_scan_configINS0_14default_configEsEEPKsPsSt4plusIsEssEEvT1_mT4_T2_T3_
; %bb.0:
	s_load_b128 s[20:23], s[0:1], 0x0
	v_mov_b32_e32 v1, 0
	v_lshlrev_b32_e32 v11, 1, v0
	s_waitcnt lgkmcnt(0)
	global_load_u16 v3, v1, s[20:21]
	v_add_co_u32 v1, s2, s20, v11
	s_delay_alu instid0(VALU_DEP_1)
	v_add_co_ci_u32_e64 v2, null, s21, 0, s2
	v_cmp_gt_u32_e32 vcc_lo, s22, v0
	s_waitcnt vmcnt(0)
	v_mov_b32_e32 v4, v3
	s_and_saveexec_b32 s2, vcc_lo
	s_cbranch_execz .LBB51_2
; %bb.1:
	global_load_u16 v4, v[1:2], off
.LBB51_2:
	s_or_b32 exec_lo, exec_lo, s2
	v_or_b32_e32 v5, 64, v0
	s_delay_alu instid0(VALU_DEP_1) | instskip(SKIP_1) | instid1(VALU_DEP_2)
	v_cmp_gt_u32_e64 s2, s22, v5
	v_mov_b32_e32 v5, v3
	s_and_saveexec_b32 s3, s2
	s_cbranch_execz .LBB51_4
; %bb.3:
	global_load_u16 v5, v[1:2], off offset:128
.LBB51_4:
	s_or_b32 exec_lo, exec_lo, s3
	v_or_b32_e32 v6, 0x80, v0
	s_delay_alu instid0(VALU_DEP_1) | instskip(SKIP_1) | instid1(VALU_DEP_2)
	v_cmp_gt_u32_e64 s3, s22, v6
	v_mov_b32_e32 v6, v3
	s_and_saveexec_b32 s4, s3
	s_cbranch_execz .LBB51_6
; %bb.5:
	global_load_u16 v6, v[1:2], off offset:256
.LBB51_6:
	;; [unrolled: 10-line block ×20, first 2 shown]
	s_or_b32 exec_lo, exec_lo, s23
	v_or_b32_e32 v26, 0x540, v0
	s_delay_alu instid0(VALU_DEP_1) | instskip(NEXT) | instid1(VALU_DEP_1)
	v_cmp_gt_u32_e64 s22, s22, v26
	s_and_saveexec_b32 s23, s22
	s_cbranch_execz .LBB51_44
; %bb.43:
	global_load_u16 v3, v[1:2], off offset:2688
.LBB51_44:
	s_or_b32 exec_lo, exec_lo, s23
	s_waitcnt vmcnt(0)
	ds_store_b16 v11, v4
	ds_store_b16 v11, v5 offset:128
	ds_store_b16 v11, v6 offset:256
	;; [unrolled: 1-line block ×15, first 2 shown]
	v_mad_u32_u24 v13, v0, 42, v11
	ds_store_b16 v11, v21 offset:2048
	ds_store_b16 v11, v22 offset:2176
	;; [unrolled: 1-line block ×6, first 2 shown]
	s_waitcnt lgkmcnt(0)
	s_barrier
	buffer_gl0_inv
	ds_load_2addr_b32 v[7:8], v13 offset1:1
	ds_load_2addr_b32 v[5:6], v13 offset0:2 offset1:3
	ds_load_2addr_b32 v[3:4], v13 offset0:4 offset1:5
	;; [unrolled: 1-line block ×3, first 2 shown]
	v_lshrrev_b32_e32 v24, 4, v0
	s_mov_b32 s24, exec_lo
	s_delay_alu instid0(VALU_DEP_1) | instskip(NEXT) | instid1(VALU_DEP_1)
	v_and_b32_e32 v24, 2, v24
	v_add_nc_u32_e32 v26, v11, v24
	s_waitcnt lgkmcnt(3)
	v_lshrrev_b32_e32 v12, 16, v7
	v_lshrrev_b32_e32 v14, 16, v8
	s_waitcnt lgkmcnt(2)
	v_lshrrev_b32_e32 v16, 16, v5
	v_lshrrev_b32_e32 v17, 16, v6
	s_waitcnt lgkmcnt(1)
	v_lshrrev_b32_e32 v18, 16, v3
	v_add_nc_u16 v9, v12, v7
	v_lshrrev_b32_e32 v19, 16, v4
	s_waitcnt lgkmcnt(0)
	v_lshrrev_b32_e32 v21, 16, v1
	v_lshrrev_b32_e32 v22, 16, v2
	v_add_nc_u16 v9, v9, v8
	s_delay_alu instid0(VALU_DEP_1) | instskip(NEXT) | instid1(VALU_DEP_1)
	v_add_nc_u16 v9, v9, v14
	v_add_nc_u16 v9, v9, v5
	s_delay_alu instid0(VALU_DEP_1) | instskip(NEXT) | instid1(VALU_DEP_1)
	v_add_nc_u16 v9, v9, v16
	;; [unrolled: 3-line block ×4, first 2 shown]
	v_add_nc_u16 v9, v9, v4
	s_delay_alu instid0(VALU_DEP_1)
	v_add_nc_u16 v15, v9, v19
	ds_load_2addr_b32 v[9:10], v13 offset0:8 offset1:9
	ds_load_b32 v13, v13 offset:40
	s_waitcnt lgkmcnt(0)
	s_barrier
	v_add_nc_u16 v15, v15, v1
	buffer_gl0_inv
	v_add_nc_u16 v15, v15, v21
	s_delay_alu instid0(VALU_DEP_1) | instskip(NEXT) | instid1(VALU_DEP_1)
	v_add_nc_u16 v15, v15, v2
	v_add_nc_u16 v15, v15, v22
	v_lshrrev_b32_e32 v23, 16, v9
	v_lshrrev_b32_e32 v20, 16, v10
	s_delay_alu instid0(VALU_DEP_3) | instskip(NEXT) | instid1(VALU_DEP_1)
	v_add_nc_u16 v15, v15, v9
	v_add_nc_u16 v15, v15, v23
	s_delay_alu instid0(VALU_DEP_1) | instskip(NEXT) | instid1(VALU_DEP_1)
	v_add_nc_u16 v15, v15, v10
	v_add_nc_u16 v25, v15, v20
	v_lshrrev_b32_e32 v15, 16, v13
	s_delay_alu instid0(VALU_DEP_2) | instskip(NEXT) | instid1(VALU_DEP_1)
	v_add_nc_u16 v25, v25, v13
	v_add_nc_u16 v24, v25, v15
	ds_store_b16 v26, v24
	s_waitcnt lgkmcnt(0)
	s_barrier
	buffer_gl0_inv
	v_cmpx_gt_u32_e32 32, v0
	s_cbranch_execz .LBB51_46
; %bb.45:
	v_lshrrev_b32_e32 v25, 3, v0
	v_mbcnt_lo_u32_b32 v29, -1, 0
	s_delay_alu instid0(VALU_DEP_2) | instskip(NEXT) | instid1(VALU_DEP_2)
	v_and_b32_e32 v25, 6, v25
	v_and_b32_e32 v31, 15, v29
	s_delay_alu instid0(VALU_DEP_2) | instskip(NEXT) | instid1(VALU_DEP_2)
	v_lshl_or_b32 v25, v0, 2, v25
	v_cmp_ne_u32_e64 s23, 0, v31
	ds_load_u16 v26, v25
	ds_load_u16 v27, v25 offset:2
	s_waitcnt lgkmcnt(0)
	v_add_nc_u16 v28, v27, v26
	s_delay_alu instid0(VALU_DEP_1) | instskip(NEXT) | instid1(VALU_DEP_1)
	v_and_b32_e32 v30, 0xffff, v28
	v_mov_b32_dpp v30, v30 row_shr:1 row_mask:0xf bank_mask:0xf
	s_delay_alu instid0(VALU_DEP_1) | instskip(SKIP_1) | instid1(VALU_DEP_2)
	v_cndmask_b32_e64 v30, 0, v30, s23
	v_cmp_lt_u32_e64 s23, 1, v31
	v_add_nc_u16 v28, v30, v28
	s_delay_alu instid0(VALU_DEP_1) | instskip(NEXT) | instid1(VALU_DEP_1)
	v_and_b32_e32 v30, 0xffff, v28
	v_mov_b32_dpp v30, v30 row_shr:2 row_mask:0xf bank_mask:0xf
	s_delay_alu instid0(VALU_DEP_1) | instskip(SKIP_1) | instid1(VALU_DEP_2)
	v_cndmask_b32_e64 v30, 0, v30, s23
	v_cmp_lt_u32_e64 s23, 3, v31
	v_add_nc_u16 v28, v28, v30
	s_delay_alu instid0(VALU_DEP_1) | instskip(NEXT) | instid1(VALU_DEP_1)
	v_and_b32_e32 v30, 0xffff, v28
	v_mov_b32_dpp v30, v30 row_shr:4 row_mask:0xf bank_mask:0xf
	s_delay_alu instid0(VALU_DEP_1) | instskip(SKIP_2) | instid1(VALU_DEP_3)
	v_cndmask_b32_e64 v30, 0, v30, s23
	v_cmp_lt_u32_e64 s23, 7, v31
	v_and_b32_e32 v31, 16, v29
	v_add_nc_u16 v28, v28, v30
	s_delay_alu instid0(VALU_DEP_1) | instskip(NEXT) | instid1(VALU_DEP_1)
	v_and_b32_e32 v30, 0xffff, v28
	v_mov_b32_dpp v30, v30 row_shr:8 row_mask:0xf bank_mask:0xf
	s_delay_alu instid0(VALU_DEP_1) | instskip(SKIP_2) | instid1(VALU_DEP_3)
	v_cndmask_b32_e64 v30, 0, v30, s23
	v_cmp_ne_u32_e64 s23, 0, v31
	v_add_nc_u32_e32 v31, -1, v29
	v_add_nc_u16 v28, v28, v30
	s_delay_alu instid0(VALU_DEP_1) | instskip(SKIP_4) | instid1(VALU_DEP_2)
	v_and_b32_e32 v30, 0xffff, v28
	ds_swizzle_b32 v30, v30 offset:swizzle(BROADCAST,32,15)
	s_waitcnt lgkmcnt(0)
	v_cndmask_b32_e64 v30, 0, v30, s23
	v_cmp_gt_i32_e64 s23, 0, v31
	v_add_nc_u16 v28, v28, v30
	s_delay_alu instid0(VALU_DEP_2) | instskip(SKIP_1) | instid1(VALU_DEP_3)
	v_cndmask_b32_e64 v29, v31, v29, s23
	v_cmp_eq_u32_e64 s23, 0, v0
	v_and_b32_e32 v28, 0xffff, v28
	s_delay_alu instid0(VALU_DEP_3) | instskip(SKIP_3) | instid1(VALU_DEP_1)
	v_lshlrev_b32_e32 v29, 2, v29
	ds_bpermute_b32 v28, v29, v28
	s_waitcnt lgkmcnt(0)
	v_add_nc_u16 v26, v26, v28
	v_cndmask_b32_e64 v24, v26, v24, s23
	s_delay_alu instid0(VALU_DEP_1)
	v_add_nc_u16 v26, v24, v27
	ds_store_b16 v25, v24
	ds_store_b16 v25, v26 offset:2
.LBB51_46:
	s_or_b32 exec_lo, exec_lo, s24
	v_mul_u32_u24_e32 v24, 42, v0
	v_mov_b32_e32 v25, 0
	s_mov_b32 s24, exec_lo
	s_waitcnt lgkmcnt(0)
	s_barrier
	buffer_gl0_inv
	v_cmpx_ne_u32_e32 0, v0
	s_cbranch_execz .LBB51_48
; %bb.47:
	v_add_nc_u32_e32 v0, -1, v0
	s_delay_alu instid0(VALU_DEP_1) | instskip(NEXT) | instid1(VALU_DEP_1)
	v_lshrrev_b32_e32 v25, 5, v0
	v_add_lshl_u32 v0, v25, v0, 1
	ds_load_u16 v25, v0
.LBB51_48:
	s_or_b32 exec_lo, exec_lo, s24
	s_waitcnt lgkmcnt(0)
	v_add_nc_u16 v0, v25, v7
	s_barrier
	buffer_gl0_inv
	s_load_b64 s[0:1], s[0:1], 0x18
	v_add_nc_u16 v7, v0, v12
	s_delay_alu instid0(VALU_DEP_1) | instskip(SKIP_1) | instid1(VALU_DEP_2)
	v_add_nc_u16 v8, v7, v8
	v_perm_b32 v0, v7, v0, 0x5040100
	v_add_nc_u16 v12, v8, v14
	s_delay_alu instid0(VALU_DEP_1) | instskip(SKIP_1) | instid1(VALU_DEP_2)
	v_add_nc_u16 v5, v12, v5
	v_perm_b32 v7, v12, v8, 0x5040100
	;; [unrolled: 4-line block ×8, first 2 shown]
	v_add_nc_u16 v22, v9, v23
	v_add_nc_u32_e32 v23, v11, v24
	s_delay_alu instid0(VALU_DEP_2) | instskip(SKIP_1) | instid1(VALU_DEP_2)
	v_add_nc_u16 v10, v22, v10
	v_perm_b32 v9, v22, v9, 0x5040100
	v_add_nc_u16 v20, v10, v20
	s_delay_alu instid0(VALU_DEP_1) | instskip(SKIP_1) | instid1(VALU_DEP_2)
	v_add_nc_u16 v8, v20, v13
	v_perm_b32 v10, v20, v10, 0x5040100
	v_add_nc_u16 v12, v8, v15
	s_delay_alu instid0(VALU_DEP_1)
	v_perm_b32 v8, v12, v8, 0x5040100
	ds_store_2addr_b32 v23, v0, v7 offset1:1
	ds_store_2addr_b32 v23, v5, v6 offset0:2 offset1:3
	ds_store_2addr_b32 v23, v3, v4 offset0:4 offset1:5
	;; [unrolled: 1-line block ×4, first 2 shown]
	ds_store_b32 v23, v8 offset:40
	s_waitcnt lgkmcnt(0)
	s_barrier
	buffer_gl0_inv
	ds_load_u16 v23, v11 offset:128
	ds_load_u16 v22, v11 offset:256
	;; [unrolled: 1-line block ×21, first 2 shown]
	v_add_co_u32 v0, s0, s0, v11
	s_delay_alu instid0(VALU_DEP_1)
	v_add_co_ci_u32_e64 v1, null, s1, 0, s0
	s_and_saveexec_b32 s0, vcc_lo
	s_cbranch_execnz .LBB51_71
; %bb.49:
	s_or_b32 exec_lo, exec_lo, s0
	s_and_saveexec_b32 s0, s2
	s_cbranch_execnz .LBB51_72
.LBB51_50:
	s_or_b32 exec_lo, exec_lo, s0
	s_and_saveexec_b32 s0, s3
	s_cbranch_execnz .LBB51_73
.LBB51_51:
	s_or_b32 exec_lo, exec_lo, s0
	s_and_saveexec_b32 s0, s4
	s_cbranch_execnz .LBB51_74
.LBB51_52:
	s_or_b32 exec_lo, exec_lo, s0
	s_and_saveexec_b32 s0, s5
	s_cbranch_execnz .LBB51_75
.LBB51_53:
	s_or_b32 exec_lo, exec_lo, s0
	s_and_saveexec_b32 s0, s6
	s_cbranch_execnz .LBB51_76
.LBB51_54:
	s_or_b32 exec_lo, exec_lo, s0
	s_and_saveexec_b32 s0, s7
	s_cbranch_execnz .LBB51_77
.LBB51_55:
	s_or_b32 exec_lo, exec_lo, s0
	s_and_saveexec_b32 s0, s8
	s_cbranch_execnz .LBB51_78
.LBB51_56:
	s_or_b32 exec_lo, exec_lo, s0
	s_and_saveexec_b32 s0, s9
	s_cbranch_execnz .LBB51_79
.LBB51_57:
	s_or_b32 exec_lo, exec_lo, s0
	s_and_saveexec_b32 s0, s10
	s_cbranch_execnz .LBB51_80
.LBB51_58:
	s_or_b32 exec_lo, exec_lo, s0
	s_and_saveexec_b32 s0, s11
	s_cbranch_execnz .LBB51_81
.LBB51_59:
	s_or_b32 exec_lo, exec_lo, s0
	s_and_saveexec_b32 s0, s12
	s_cbranch_execnz .LBB51_82
.LBB51_60:
	s_or_b32 exec_lo, exec_lo, s0
	s_and_saveexec_b32 s0, s13
	s_cbranch_execnz .LBB51_83
.LBB51_61:
	s_or_b32 exec_lo, exec_lo, s0
	s_and_saveexec_b32 s0, s14
	s_cbranch_execnz .LBB51_84
.LBB51_62:
	s_or_b32 exec_lo, exec_lo, s0
	s_and_saveexec_b32 s0, s15
	s_cbranch_execnz .LBB51_85
.LBB51_63:
	s_or_b32 exec_lo, exec_lo, s0
	s_and_saveexec_b32 s0, s16
	s_cbranch_execnz .LBB51_86
.LBB51_64:
	s_or_b32 exec_lo, exec_lo, s0
	s_and_saveexec_b32 s0, s17
	s_cbranch_execnz .LBB51_87
.LBB51_65:
	s_or_b32 exec_lo, exec_lo, s0
	s_and_saveexec_b32 s0, s18
	s_cbranch_execnz .LBB51_88
.LBB51_66:
	s_or_b32 exec_lo, exec_lo, s0
	s_and_saveexec_b32 s0, s19
	s_cbranch_execnz .LBB51_89
.LBB51_67:
	s_or_b32 exec_lo, exec_lo, s0
	s_and_saveexec_b32 s0, s20
	s_cbranch_execnz .LBB51_90
.LBB51_68:
	s_or_b32 exec_lo, exec_lo, s0
	s_and_saveexec_b32 s0, s21
	s_cbranch_execnz .LBB51_91
.LBB51_69:
	s_or_b32 exec_lo, exec_lo, s0
	s_and_saveexec_b32 s0, s22
	s_cbranch_execnz .LBB51_92
.LBB51_70:
	s_nop 0
	s_sendmsg sendmsg(MSG_DEALLOC_VGPRS)
	s_endpgm
.LBB51_71:
	ds_load_u16 v11, v11
	s_waitcnt lgkmcnt(0)
	global_store_b16 v[0:1], v11, off
	s_or_b32 exec_lo, exec_lo, s0
	s_and_saveexec_b32 s0, s2
	s_cbranch_execz .LBB51_50
.LBB51_72:
	s_waitcnt lgkmcnt(20)
	global_store_b16 v[0:1], v23, off offset:128
	s_or_b32 exec_lo, exec_lo, s0
	s_and_saveexec_b32 s0, s3
	s_cbranch_execz .LBB51_51
.LBB51_73:
	s_waitcnt lgkmcnt(19)
	global_store_b16 v[0:1], v22, off offset:256
	s_or_b32 exec_lo, exec_lo, s0
	s_and_saveexec_b32 s0, s4
	s_cbranch_execz .LBB51_52
.LBB51_74:
	s_waitcnt lgkmcnt(18)
	global_store_b16 v[0:1], v21, off offset:384
	s_or_b32 exec_lo, exec_lo, s0
	s_and_saveexec_b32 s0, s5
	s_cbranch_execz .LBB51_53
.LBB51_75:
	s_waitcnt lgkmcnt(17)
	global_store_b16 v[0:1], v20, off offset:512
	s_or_b32 exec_lo, exec_lo, s0
	s_and_saveexec_b32 s0, s6
	s_cbranch_execz .LBB51_54
.LBB51_76:
	s_waitcnt lgkmcnt(16)
	global_store_b16 v[0:1], v19, off offset:640
	s_or_b32 exec_lo, exec_lo, s0
	s_and_saveexec_b32 s0, s7
	s_cbranch_execz .LBB51_55
.LBB51_77:
	s_waitcnt lgkmcnt(15)
	global_store_b16 v[0:1], v18, off offset:768
	s_or_b32 exec_lo, exec_lo, s0
	s_and_saveexec_b32 s0, s8
	s_cbranch_execz .LBB51_56
.LBB51_78:
	s_waitcnt lgkmcnt(14)
	global_store_b16 v[0:1], v17, off offset:896
	s_or_b32 exec_lo, exec_lo, s0
	s_and_saveexec_b32 s0, s9
	s_cbranch_execz .LBB51_57
.LBB51_79:
	s_waitcnt lgkmcnt(13)
	global_store_b16 v[0:1], v16, off offset:1024
	s_or_b32 exec_lo, exec_lo, s0
	s_and_saveexec_b32 s0, s10
	s_cbranch_execz .LBB51_58
.LBB51_80:
	s_waitcnt lgkmcnt(12)
	global_store_b16 v[0:1], v15, off offset:1152
	s_or_b32 exec_lo, exec_lo, s0
	s_and_saveexec_b32 s0, s11
	s_cbranch_execz .LBB51_59
.LBB51_81:
	s_waitcnt lgkmcnt(11)
	global_store_b16 v[0:1], v14, off offset:1280
	s_or_b32 exec_lo, exec_lo, s0
	s_and_saveexec_b32 s0, s12
	s_cbranch_execz .LBB51_60
.LBB51_82:
	s_waitcnt lgkmcnt(10)
	global_store_b16 v[0:1], v13, off offset:1408
	s_or_b32 exec_lo, exec_lo, s0
	s_and_saveexec_b32 s0, s13
	s_cbranch_execz .LBB51_61
.LBB51_83:
	s_waitcnt lgkmcnt(9)
	global_store_b16 v[0:1], v12, off offset:1536
	s_or_b32 exec_lo, exec_lo, s0
	s_and_saveexec_b32 s0, s14
	s_cbranch_execz .LBB51_62
.LBB51_84:
	s_waitcnt lgkmcnt(8)
	global_store_b16 v[0:1], v10, off offset:1664
	s_or_b32 exec_lo, exec_lo, s0
	s_and_saveexec_b32 s0, s15
	s_cbranch_execz .LBB51_63
.LBB51_85:
	s_waitcnt lgkmcnt(7)
	global_store_b16 v[0:1], v9, off offset:1792
	s_or_b32 exec_lo, exec_lo, s0
	s_and_saveexec_b32 s0, s16
	s_cbranch_execz .LBB51_64
.LBB51_86:
	s_waitcnt lgkmcnt(6)
	global_store_b16 v[0:1], v8, off offset:1920
	s_or_b32 exec_lo, exec_lo, s0
	s_and_saveexec_b32 s0, s17
	s_cbranch_execz .LBB51_65
.LBB51_87:
	s_waitcnt lgkmcnt(5)
	global_store_b16 v[0:1], v7, off offset:2048
	s_or_b32 exec_lo, exec_lo, s0
	s_and_saveexec_b32 s0, s18
	s_cbranch_execz .LBB51_66
.LBB51_88:
	s_waitcnt lgkmcnt(4)
	global_store_b16 v[0:1], v6, off offset:2176
	s_or_b32 exec_lo, exec_lo, s0
	s_and_saveexec_b32 s0, s19
	s_cbranch_execz .LBB51_67
.LBB51_89:
	s_waitcnt lgkmcnt(3)
	global_store_b16 v[0:1], v5, off offset:2304
	s_or_b32 exec_lo, exec_lo, s0
	s_and_saveexec_b32 s0, s20
	s_cbranch_execz .LBB51_68
.LBB51_90:
	s_waitcnt lgkmcnt(2)
	global_store_b16 v[0:1], v4, off offset:2432
	s_or_b32 exec_lo, exec_lo, s0
	s_and_saveexec_b32 s0, s21
	s_cbranch_execz .LBB51_69
.LBB51_91:
	s_waitcnt lgkmcnt(1)
	global_store_b16 v[0:1], v3, off offset:2560
	s_or_b32 exec_lo, exec_lo, s0
	s_and_saveexec_b32 s0, s22
	s_cbranch_execz .LBB51_70
.LBB51_92:
	s_waitcnt lgkmcnt(0)
	global_store_b16 v[0:1], v2, off offset:2688
	s_nop 0
	s_sendmsg sendmsg(MSG_DEALLOC_VGPRS)
	s_endpgm
	.section	.rodata,"a",@progbits
	.p2align	6, 0x0
	.amdhsa_kernel _ZN7rocprim17ROCPRIM_304000_NS6detail18single_scan_kernelILb0ENS1_19wrapped_scan_configINS0_14default_configEsEEPKsPsSt4plusIsEssEEvT1_mT4_T2_T3_
		.amdhsa_group_segment_fixed_size 2816
		.amdhsa_private_segment_fixed_size 0
		.amdhsa_kernarg_size 36
		.amdhsa_user_sgpr_count 15
		.amdhsa_user_sgpr_dispatch_ptr 0
		.amdhsa_user_sgpr_queue_ptr 0
		.amdhsa_user_sgpr_kernarg_segment_ptr 1
		.amdhsa_user_sgpr_dispatch_id 0
		.amdhsa_user_sgpr_private_segment_size 0
		.amdhsa_wavefront_size32 1
		.amdhsa_uses_dynamic_stack 0
		.amdhsa_enable_private_segment 0
		.amdhsa_system_sgpr_workgroup_id_x 1
		.amdhsa_system_sgpr_workgroup_id_y 0
		.amdhsa_system_sgpr_workgroup_id_z 0
		.amdhsa_system_sgpr_workgroup_info 0
		.amdhsa_system_vgpr_workitem_id 0
		.amdhsa_next_free_vgpr 32
		.amdhsa_next_free_sgpr 25
		.amdhsa_reserve_vcc 1
		.amdhsa_float_round_mode_32 0
		.amdhsa_float_round_mode_16_64 0
		.amdhsa_float_denorm_mode_32 3
		.amdhsa_float_denorm_mode_16_64 3
		.amdhsa_dx10_clamp 1
		.amdhsa_ieee_mode 1
		.amdhsa_fp16_overflow 0
		.amdhsa_workgroup_processor_mode 1
		.amdhsa_memory_ordered 1
		.amdhsa_forward_progress 0
		.amdhsa_shared_vgpr_count 0
		.amdhsa_exception_fp_ieee_invalid_op 0
		.amdhsa_exception_fp_denorm_src 0
		.amdhsa_exception_fp_ieee_div_zero 0
		.amdhsa_exception_fp_ieee_overflow 0
		.amdhsa_exception_fp_ieee_underflow 0
		.amdhsa_exception_fp_ieee_inexact 0
		.amdhsa_exception_int_div_zero 0
	.end_amdhsa_kernel
	.section	.text._ZN7rocprim17ROCPRIM_304000_NS6detail18single_scan_kernelILb0ENS1_19wrapped_scan_configINS0_14default_configEsEEPKsPsSt4plusIsEssEEvT1_mT4_T2_T3_,"axG",@progbits,_ZN7rocprim17ROCPRIM_304000_NS6detail18single_scan_kernelILb0ENS1_19wrapped_scan_configINS0_14default_configEsEEPKsPsSt4plusIsEssEEvT1_mT4_T2_T3_,comdat
.Lfunc_end51:
	.size	_ZN7rocprim17ROCPRIM_304000_NS6detail18single_scan_kernelILb0ENS1_19wrapped_scan_configINS0_14default_configEsEEPKsPsSt4plusIsEssEEvT1_mT4_T2_T3_, .Lfunc_end51-_ZN7rocprim17ROCPRIM_304000_NS6detail18single_scan_kernelILb0ENS1_19wrapped_scan_configINS0_14default_configEsEEPKsPsSt4plusIsEssEEvT1_mT4_T2_T3_
                                        ; -- End function
	.section	.AMDGPU.csdata,"",@progbits
; Kernel info:
; codeLenInByte = 3504
; NumSgprs: 27
; NumVgprs: 32
; ScratchSize: 0
; MemoryBound: 0
; FloatMode: 240
; IeeeMode: 1
; LDSByteSize: 2816 bytes/workgroup (compile time only)
; SGPRBlocks: 3
; VGPRBlocks: 3
; NumSGPRsForWavesPerEU: 27
; NumVGPRsForWavesPerEU: 32
; Occupancy: 16
; WaveLimiterHint : 0
; COMPUTE_PGM_RSRC2:SCRATCH_EN: 0
; COMPUTE_PGM_RSRC2:USER_SGPR: 15
; COMPUTE_PGM_RSRC2:TRAP_HANDLER: 0
; COMPUTE_PGM_RSRC2:TGID_X_EN: 1
; COMPUTE_PGM_RSRC2:TGID_Y_EN: 0
; COMPUTE_PGM_RSRC2:TGID_Z_EN: 0
; COMPUTE_PGM_RSRC2:TIDIG_COMP_CNT: 0
	.section	.text._ZN2at6native32tensor_kernel_scan_innermost_dimIsSt4plusIsEEEvPT_PKS4_jjjS4_T0_,"axG",@progbits,_ZN2at6native32tensor_kernel_scan_innermost_dimIsSt4plusIsEEEvPT_PKS4_jjjS4_T0_,comdat
	.protected	_ZN2at6native32tensor_kernel_scan_innermost_dimIsSt4plusIsEEEvPT_PKS4_jjjS4_T0_ ; -- Begin function _ZN2at6native32tensor_kernel_scan_innermost_dimIsSt4plusIsEEEvPT_PKS4_jjjS4_T0_
	.globl	_ZN2at6native32tensor_kernel_scan_innermost_dimIsSt4plusIsEEEvPT_PKS4_jjjS4_T0_
	.p2align	8
	.type	_ZN2at6native32tensor_kernel_scan_innermost_dimIsSt4plusIsEEEvPT_PKS4_jjjS4_T0_,@function
_ZN2at6native32tensor_kernel_scan_innermost_dimIsSt4plusIsEEEvPT_PKS4_jjjS4_T0_: ; @_ZN2at6native32tensor_kernel_scan_innermost_dimIsSt4plusIsEEEvPT_PKS4_jjjS4_T0_
; %bb.0:
	s_load_b256 s[16:23], s[0:1], 0x0
	v_bfe_u32 v9, v0, 10, 10
	s_waitcnt lgkmcnt(0)
	s_lshl_b32 s5, 2, s22
	s_mul_hi_u32 s2, s20, s21
	s_delay_alu instid0(VALU_DEP_1) | instskip(SKIP_3) | instid1(VALU_DEP_1)
	v_mul_lo_u32 v1, s5, v9
	s_mov_b32 s6, s20
	s_cmp_lg_u32 s2, 0
	s_mov_b32 s2, -1
	v_lshl_add_u32 v10, v1, 1, 0
	s_cbranch_scc1 .LBB52_26
; %bb.1:
	s_load_b32 s4, s[0:1], 0x2c
	s_add_u32 s2, s0, 32
	s_addc_u32 s3, s1, 0
	s_waitcnt lgkmcnt(0)
	s_lshr_b32 s4, s4, 16
	s_delay_alu instid0(SALU_CYCLE_1) | instskip(NEXT) | instid1(SALU_CYCLE_1)
	s_mul_i32 s7, s15, s4
	s_cmp_ge_u32 s7, s20
	s_cbranch_scc1 .LBB52_25
; %bb.2:
	s_load_b32 s10, s[2:3], 0x0
	v_dual_mov_b32 v2, 0 :: v_dual_and_b32 v5, 0x3ff, v0
	v_add_nc_u32_e32 v6, -2, v10
	s_lshl_b32 s8, 1, s22
	s_cmp_lg_u32 s21, 0
	s_delay_alu instid0(VALU_DEP_2)
	v_lshl_add_u32 v7, v5, 1, v10
	v_cmp_eq_u32_e64 s2, 0, v5
	v_lshl_add_u32 v8, s5, 1, v6
	s_cselect_b32 s9, -1, 0
	s_add_i32 s11, s22, 1
	v_lshl_add_u32 v11, s8, 1, v7
	s_waitcnt lgkmcnt(0)
	s_mul_i32 s10, s10, s4
	s_branch .LBB52_4
.LBB52_3:                               ;   in Loop: Header=BB52_4 Depth=1
	s_add_i32 s7, s7, s10
	s_delay_alu instid0(SALU_CYCLE_1)
	s_cmp_ge_u32 s7, s20
	s_cbranch_scc1 .LBB52_25
.LBB52_4:                               ; =>This Loop Header: Depth=1
                                        ;     Child Loop BB52_7 Depth 2
                                        ;       Child Loop BB52_16 Depth 3
	s_and_not1_b32 vcc_lo, exec_lo, s9
	s_cbranch_vccnz .LBB52_3
; %bb.5:                                ;   in Loop: Header=BB52_4 Depth=1
	v_add_nc_u32_e32 v12, s7, v9
	v_mov_b32_e32 v16, s23
	s_mov_b32 s12, 0
	s_delay_alu instid0(VALU_DEP_2) | instskip(SKIP_2) | instid1(VALU_DEP_3)
	v_mul_lo_u32 v1, v12, s21
	v_cmp_gt_u32_e32 vcc_lo, s20, v12
	v_cmp_le_u32_e64 s3, s20, v12
	v_lshlrev_b64 v[3:4], 1, v[1:2]
	s_delay_alu instid0(VALU_DEP_1) | instskip(NEXT) | instid1(VALU_DEP_1)
	v_add_co_u32 v12, s4, s18, v3
	v_add_co_ci_u32_e64 v13, s4, s19, v4, s4
	v_add_co_u32 v14, s4, s16, v3
	s_delay_alu instid0(VALU_DEP_1)
	v_add_co_ci_u32_e64 v15, s4, s17, v4, s4
	s_branch .LBB52_7
.LBB52_6:                               ;   in Loop: Header=BB52_7 Depth=2
	s_or_b32 exec_lo, exec_lo, s13
	ds_load_u16 v16, v8
	s_add_i32 s12, s12, s5
	s_waitcnt lgkmcnt(0)
	s_waitcnt_vscnt null, 0x0
	s_cmp_ge_u32 s12, s21
	s_barrier
	buffer_gl0_inv
	s_cbranch_scc1 .LBB52_3
.LBB52_7:                               ;   Parent Loop BB52_4 Depth=1
                                        ; =>  This Loop Header: Depth=2
                                        ;       Child Loop BB52_16 Depth 3
	v_add_nc_u32_e32 v1, s12, v5
	s_delay_alu instid0(VALU_DEP_1)
	v_add_nc_u32_e32 v3, s8, v1
	s_and_saveexec_b32 s13, vcc_lo
	s_cbranch_execz .LBB52_14
; %bb.8:                                ;   in Loop: Header=BB52_7 Depth=2
	v_mov_b32_e32 v4, s23
	s_mov_b32 s14, exec_lo
	v_cmpx_gt_u32_e64 s21, v1
	s_cbranch_execz .LBB52_10
; %bb.9:                                ;   in Loop: Header=BB52_7 Depth=2
	v_lshlrev_b64 v[17:18], 1, v[1:2]
	s_delay_alu instid0(VALU_DEP_1) | instskip(NEXT) | instid1(VALU_DEP_1)
	v_add_co_u32 v17, s4, v12, v17
	v_add_co_ci_u32_e64 v18, s4, v13, v18, s4
	global_load_u16 v4, v[17:18], off
.LBB52_10:                              ;   in Loop: Header=BB52_7 Depth=2
	s_or_b32 exec_lo, exec_lo, s14
	v_mov_b32_e32 v17, s23
	s_mov_b32 s14, exec_lo
	s_waitcnt vmcnt(0)
	ds_store_b16 v7, v4
	v_cmpx_gt_u32_e64 s21, v3
	s_cbranch_execz .LBB52_12
; %bb.11:                               ;   in Loop: Header=BB52_7 Depth=2
	v_mov_b32_e32 v4, v2
	s_delay_alu instid0(VALU_DEP_1) | instskip(NEXT) | instid1(VALU_DEP_1)
	v_lshlrev_b64 v[17:18], 1, v[3:4]
	v_add_co_u32 v17, s4, v12, v17
	s_delay_alu instid0(VALU_DEP_1)
	v_add_co_ci_u32_e64 v18, s4, v13, v18, s4
	global_load_u16 v17, v[17:18], off
.LBB52_12:                              ;   in Loop: Header=BB52_7 Depth=2
	s_or_b32 exec_lo, exec_lo, s14
	s_waitcnt vmcnt(0)
	ds_store_b16 v11, v17
	s_and_b32 exec_lo, exec_lo, s2
	s_cbranch_execz .LBB52_14
; %bb.13:                               ;   in Loop: Header=BB52_7 Depth=2
	ds_load_u16 v4, v10
	s_waitcnt lgkmcnt(0)
	v_add_nc_u16 v4, v4, v16
	ds_store_b16 v10, v4
.LBB52_14:                              ;   in Loop: Header=BB52_7 Depth=2
	s_or_b32 exec_lo, exec_lo, s13
	v_mov_b32_e32 v4, 0
	s_mov_b32 s13, 0
	s_waitcnt lgkmcnt(0)
	s_barrier
	buffer_gl0_inv
	s_set_inst_prefetch_distance 0x1
	s_branch .LBB52_16
	.p2align	6
.LBB52_15:                              ;   in Loop: Header=BB52_16 Depth=3
	s_or_b32 exec_lo, exec_lo, s4
	s_delay_alu instid0(VALU_DEP_1) | instskip(SKIP_4) | instid1(SALU_CYCLE_1)
	v_cmp_eq_u32_e64 s4, s11, v4
	s_waitcnt lgkmcnt(0)
	s_barrier
	buffer_gl0_inv
	s_or_b32 s13, s4, s13
	s_and_not1_b32 exec_lo, exec_lo, s13
	s_cbranch_execz .LBB52_20
.LBB52_16:                              ;   Parent Loop BB52_4 Depth=1
                                        ;     Parent Loop BB52_7 Depth=2
                                        ; =>    This Inner Loop Header: Depth=3
	v_add_nc_u32_e32 v16, 1, v4
	s_and_saveexec_b32 s4, s3
	s_delay_alu instid0(SALU_CYCLE_1)
	s_xor_b32 s4, exec_lo, s4
; %bb.17:                               ;   in Loop: Header=BB52_16 Depth=3
	v_add_nc_u32_e32 v4, 1, v4
                                        ; implicit-def: $vgpr16
; %bb.18:                               ;   in Loop: Header=BB52_16 Depth=3
	s_and_not1_saveexec_b32 s4, s4
	s_cbranch_execz .LBB52_15
; %bb.19:                               ;   in Loop: Header=BB52_16 Depth=3
	s_delay_alu instid0(VALU_DEP_1) | instskip(SKIP_2) | instid1(VALU_DEP_2)
	v_lshlrev_b32_e64 v17, v4, 1
	v_lshrrev_b32_e32 v18, v4, v5
	v_bfm_b32 v4, v4, 0
	v_lshl_or_b32 v17, v18, v16, v17
	s_delay_alu instid0(VALU_DEP_2) | instskip(NEXT) | instid1(VALU_DEP_2)
	v_and_b32_e32 v4, v4, v5
	v_lshlrev_b32_e32 v17, 1, v17
	s_delay_alu instid0(VALU_DEP_2) | instskip(NEXT) | instid1(VALU_DEP_1)
	v_lshlrev_b32_e32 v4, 1, v4
	v_add3_u32 v18, v10, v17, v4
	v_add_nc_u32_e32 v4, v6, v17
	ds_load_u16 v17, v18
	ds_load_u16 v4, v4
	s_waitcnt lgkmcnt(0)
	v_add_nc_u16 v17, v4, v17
	v_mov_b32_e32 v4, v16
	ds_store_b16 v18, v17
	s_branch .LBB52_15
.LBB52_20:                              ;   in Loop: Header=BB52_7 Depth=2
	s_set_inst_prefetch_distance 0x2
	s_or_b32 exec_lo, exec_lo, s13
	s_and_saveexec_b32 s13, vcc_lo
	s_cbranch_execz .LBB52_6
; %bb.21:                               ;   in Loop: Header=BB52_7 Depth=2
	s_mov_b32 s14, exec_lo
	v_cmpx_gt_u32_e64 s21, v1
	s_cbranch_execz .LBB52_23
; %bb.22:                               ;   in Loop: Header=BB52_7 Depth=2
	ds_load_u16 v4, v7
	v_lshlrev_b64 v[16:17], 1, v[1:2]
	s_delay_alu instid0(VALU_DEP_1) | instskip(NEXT) | instid1(VALU_DEP_1)
	v_add_co_u32 v16, s4, v14, v16
	v_add_co_ci_u32_e64 v17, s4, v15, v17, s4
	s_waitcnt lgkmcnt(0)
	global_store_b16 v[16:17], v4, off
.LBB52_23:                              ;   in Loop: Header=BB52_7 Depth=2
	s_or_b32 exec_lo, exec_lo, s14
	v_cmp_gt_u32_e64 s4, s21, v3
	s_delay_alu instid0(VALU_DEP_1)
	s_and_b32 exec_lo, exec_lo, s4
	s_cbranch_execz .LBB52_6
; %bb.24:                               ;   in Loop: Header=BB52_7 Depth=2
	ds_load_u16 v1, v11
	v_mov_b32_e32 v4, v2
	s_delay_alu instid0(VALU_DEP_1) | instskip(NEXT) | instid1(VALU_DEP_1)
	v_lshlrev_b64 v[3:4], 1, v[3:4]
	v_add_co_u32 v3, s4, v14, v3
	s_delay_alu instid0(VALU_DEP_1)
	v_add_co_ci_u32_e64 v4, s4, v15, v4, s4
	s_waitcnt lgkmcnt(0)
	global_store_b16 v[3:4], v1, off
	s_branch .LBB52_6
.LBB52_25:
	s_mov_b32 s2, 0
.LBB52_26:
	s_delay_alu instid0(SALU_CYCLE_1)
	s_and_not1_b32 vcc_lo, exec_lo, s2
	s_cbranch_vccnz .LBB52_53
; %bb.27:
	s_load_b32 s2, s[0:1], 0x2c
	s_add_u32 s0, s0, 32
	s_addc_u32 s1, s1, 0
	s_mov_b32 s7, 0
	s_waitcnt lgkmcnt(0)
	s_lshr_b32 s2, s2, 16
	s_delay_alu instid0(SALU_CYCLE_1) | instskip(SKIP_1) | instid1(SALU_CYCLE_1)
	s_mul_hi_u32 s5, s2, s15
	s_mul_i32 s4, s2, s15
	v_cmp_ge_u64_e64 s3, s[4:5], s[6:7]
	s_delay_alu instid0(VALU_DEP_1)
	s_and_b32 vcc_lo, exec_lo, s3
	s_cbranch_vccnz .LBB52_53
; %bb.28:
	s_load_b32 s1, s[0:1], 0x0
	v_dual_mov_b32 v1, 0 :: v_dual_and_b32 v0, 0x3ff, v0
	s_lshl_b32 s8, 1, s22
	s_and_b32 s2, 0xffff, s2
	s_ashr_i32 s9, s8, 31
	s_cmp_lg_u32 s21, 0
	v_lshl_add_u32 v11, v0, 1, v10
	s_cselect_b32 s3, -1, 0
	s_lshl_b64 s[12:13], s[8:9], 1
	v_cmp_eq_u32_e64 s0, 0, v0
	s_lshl_b32 s11, s12, 1
	v_lshl_add_u32 v13, s8, 1, v11
	v_add3_u32 v12, v10, s11, -2
	s_mov_b32 s10, s21
	s_mov_b32 s11, s7
	s_add_i32 s21, s22, 1
	s_waitcnt lgkmcnt(0)
	s_mul_i32 s20, s1, s2
	s_branch .LBB52_30
.LBB52_29:                              ;   in Loop: Header=BB52_30 Depth=1
	s_add_u32 s4, s4, s20
	s_addc_u32 s5, s5, 0
	s_delay_alu instid0(SALU_CYCLE_1) | instskip(NEXT) | instid1(VALU_DEP_1)
	v_cmp_ge_u64_e64 s1, s[4:5], s[6:7]
	s_and_b32 vcc_lo, exec_lo, s1
	s_cbranch_vccnz .LBB52_53
.LBB52_30:                              ; =>This Loop Header: Depth=1
                                        ;     Child Loop BB52_33 Depth 2
                                        ;       Child Loop BB52_43 Depth 3
	s_and_not1_b32 vcc_lo, exec_lo, s3
	s_cbranch_vccnz .LBB52_29
; %bb.31:                               ;   in Loop: Header=BB52_30 Depth=1
	v_add_co_u32 v2, s1, s4, v9
	s_delay_alu instid0(VALU_DEP_1) | instskip(SKIP_1) | instid1(VALU_DEP_2)
	v_add_co_ci_u32_e64 v3, null, s5, 0, s1
	s_mov_b64 s[14:15], 0
	v_mad_u64_u32 v[4:5], null, v2, s10, 0
	s_delay_alu instid0(VALU_DEP_2) | instskip(SKIP_1) | instid1(VALU_DEP_3)
	v_cmp_gt_u64_e64 s1, s[6:7], v[2:3]
	v_cmp_le_u64_e64 s2, s[6:7], v[2:3]
	v_mad_u64_u32 v[6:7], null, v3, s10, v[5:6]
	s_delay_alu instid0(VALU_DEP_1) | instskip(NEXT) | instid1(VALU_DEP_1)
	v_dual_mov_b32 v5, v6 :: v_dual_mov_b32 v6, s23
	v_lshlrev_b64 v[4:5], 1, v[4:5]
	s_delay_alu instid0(VALU_DEP_1) | instskip(NEXT) | instid1(VALU_DEP_2)
	v_add_co_u32 v14, vcc_lo, s18, v4
	v_add_co_ci_u32_e32 v15, vcc_lo, s19, v5, vcc_lo
	v_add_co_u32 v16, vcc_lo, s16, v4
	v_add_co_ci_u32_e32 v17, vcc_lo, s17, v5, vcc_lo
	s_branch .LBB52_33
.LBB52_32:                              ;   in Loop: Header=BB52_33 Depth=2
	s_or_b32 exec_lo, exec_lo, s22
	ds_load_u16 v6, v12
	s_add_u32 s14, s14, s12
	s_addc_u32 s15, s15, s13
	s_waitcnt lgkmcnt(0)
	s_waitcnt_vscnt null, 0x0
	v_cmp_ge_u64_e64 s22, s[14:15], s[10:11]
	s_barrier
	buffer_gl0_inv
	s_and_b32 vcc_lo, exec_lo, s22
	s_cbranch_vccnz .LBB52_29
.LBB52_33:                              ;   Parent Loop BB52_30 Depth=1
                                        ; =>  This Loop Header: Depth=2
                                        ;       Child Loop BB52_43 Depth 3
	v_add_co_u32 v4, s22, s14, v0
	s_delay_alu instid0(VALU_DEP_1) | instskip(NEXT) | instid1(VALU_DEP_2)
	v_add_co_ci_u32_e64 v5, null, s15, 0, s22
	v_add_co_u32 v2, vcc_lo, v4, s8
	s_delay_alu instid0(VALU_DEP_2)
	v_add_co_ci_u32_e32 v3, vcc_lo, s9, v5, vcc_lo
	s_and_saveexec_b32 s22, s1
	s_cbranch_execz .LBB52_40
; %bb.34:                               ;   in Loop: Header=BB52_33 Depth=2
	v_mov_b32_e32 v7, s23
	s_mov_b32 s24, exec_lo
	v_cmpx_gt_u64_e64 s[10:11], v[4:5]
	s_cbranch_execz .LBB52_36
; %bb.35:                               ;   in Loop: Header=BB52_33 Depth=2
	v_lshlrev_b64 v[7:8], 1, v[4:5]
	s_delay_alu instid0(VALU_DEP_1) | instskip(NEXT) | instid1(VALU_DEP_2)
	v_add_co_u32 v7, vcc_lo, v14, v7
	v_add_co_ci_u32_e32 v8, vcc_lo, v15, v8, vcc_lo
	global_load_u16 v7, v[7:8], off
.LBB52_36:                              ;   in Loop: Header=BB52_33 Depth=2
	s_or_b32 exec_lo, exec_lo, s24
	v_mov_b32_e32 v8, s23
	s_mov_b32 s24, exec_lo
	s_waitcnt vmcnt(0)
	ds_store_b16 v11, v7
	v_cmpx_gt_u64_e64 s[10:11], v[2:3]
	s_cbranch_execz .LBB52_38
; %bb.37:                               ;   in Loop: Header=BB52_33 Depth=2
	v_lshlrev_b64 v[7:8], 1, v[2:3]
	s_delay_alu instid0(VALU_DEP_1) | instskip(NEXT) | instid1(VALU_DEP_2)
	v_add_co_u32 v7, vcc_lo, v14, v7
	v_add_co_ci_u32_e32 v8, vcc_lo, v15, v8, vcc_lo
	global_load_u16 v8, v[7:8], off
.LBB52_38:                              ;   in Loop: Header=BB52_33 Depth=2
	s_or_b32 exec_lo, exec_lo, s24
	s_waitcnt vmcnt(0)
	ds_store_b16 v13, v8
	s_and_b32 exec_lo, exec_lo, s0
	s_cbranch_execz .LBB52_40
; %bb.39:                               ;   in Loop: Header=BB52_33 Depth=2
	ds_load_u16 v7, v10
	s_waitcnt lgkmcnt(0)
	v_add_nc_u16 v6, v7, v6
	ds_store_b16 v10, v6
.LBB52_40:                              ;   in Loop: Header=BB52_33 Depth=2
	s_or_b32 exec_lo, exec_lo, s22
	v_mov_b32_e32 v19, 0
	s_mov_b32 s22, 0
	s_waitcnt lgkmcnt(0)
	s_barrier
	buffer_gl0_inv
	s_branch .LBB52_43
.LBB52_41:                              ;   in Loop: Header=BB52_43 Depth=3
	s_or_b32 exec_lo, exec_lo, s25
	v_lshrrev_b32_e32 v8, v19, v0
	s_delay_alu instid0(VALU_DEP_1) | instskip(NEXT) | instid1(VALU_DEP_1)
	v_lshl_or_b32 v6, v8, v18, v6
	v_lshl_add_u32 v6, v6, 1, v10
	s_delay_alu instid0(VALU_DEP_1)
	v_lshl_add_u32 v7, v7, 1, v6
	v_add_nc_u32_e32 v6, -2, v6
	ds_load_u16 v8, v7
	ds_load_u16 v6, v6
	s_waitcnt lgkmcnt(0)
	v_add_nc_u16 v6, v6, v8
	ds_store_b16 v7, v6
.LBB52_42:                              ;   in Loop: Header=BB52_43 Depth=3
	s_or_b32 exec_lo, exec_lo, s24
	s_delay_alu instid0(VALU_DEP_1)
	v_cmp_eq_u32_e32 vcc_lo, s21, v18
	v_mov_b32_e32 v19, v18
	s_waitcnt lgkmcnt(0)
	s_barrier
	buffer_gl0_inv
	s_or_b32 s22, vcc_lo, s22
	s_delay_alu instid0(SALU_CYCLE_1)
	s_and_not1_b32 exec_lo, exec_lo, s22
	s_cbranch_execz .LBB52_48
.LBB52_43:                              ;   Parent Loop BB52_30 Depth=1
                                        ;     Parent Loop BB52_33 Depth=2
                                        ; =>    This Inner Loop Header: Depth=3
	v_add_nc_u32_e32 v18, 1, v19
	s_and_saveexec_b32 s24, s2
	s_delay_alu instid0(SALU_CYCLE_1)
	s_xor_b32 s24, exec_lo, s24
; %bb.44:                               ;   in Loop: Header=BB52_43 Depth=3
	v_add_nc_u32_e32 v18, 1, v19
                                        ; implicit-def: $vgpr19
; %bb.45:                               ;   in Loop: Header=BB52_43 Depth=3
	s_and_not1_saveexec_b32 s24, s24
	s_cbranch_execz .LBB52_42
; %bb.46:                               ;   in Loop: Header=BB52_43 Depth=3
	v_lshlrev_b32_e64 v6, v19, 1
	s_delay_alu instid0(VALU_DEP_1) | instskip(NEXT) | instid1(VALU_DEP_1)
	v_ashrrev_i32_e32 v7, 31, v6
	v_cmp_ge_u64_e32 vcc_lo, v[0:1], v[6:7]
	v_dual_mov_b32 v8, v1 :: v_dual_mov_b32 v7, v0
	s_and_saveexec_b32 s25, vcc_lo
	s_cbranch_execz .LBB52_41
; %bb.47:                               ;   in Loop: Header=BB52_43 Depth=3
	v_cvt_f32_u32_e32 v7, v6
	v_sub_nc_u32_e32 v8, 0, v6
	s_delay_alu instid0(VALU_DEP_2) | instskip(SKIP_2) | instid1(VALU_DEP_1)
	v_rcp_iflag_f32_e32 v7, v7
	s_waitcnt_depctr 0xfff
	v_mul_f32_e32 v7, 0x4f7ffffe, v7
	v_cvt_u32_f32_e32 v7, v7
	s_delay_alu instid0(VALU_DEP_1) | instskip(NEXT) | instid1(VALU_DEP_1)
	v_mul_lo_u32 v8, v8, v7
	v_mul_hi_u32 v8, v7, v8
	s_delay_alu instid0(VALU_DEP_1) | instskip(NEXT) | instid1(VALU_DEP_1)
	v_add_nc_u32_e32 v7, v7, v8
	v_mul_hi_u32 v7, v0, v7
	s_delay_alu instid0(VALU_DEP_1) | instskip(NEXT) | instid1(VALU_DEP_1)
	v_mul_lo_u32 v7, v7, v6
	v_sub_nc_u32_e32 v7, v0, v7
	s_delay_alu instid0(VALU_DEP_1) | instskip(SKIP_1) | instid1(VALU_DEP_2)
	v_sub_nc_u32_e32 v8, v7, v6
	v_cmp_ge_u32_e32 vcc_lo, v7, v6
	v_cndmask_b32_e32 v7, v7, v8, vcc_lo
	s_delay_alu instid0(VALU_DEP_1) | instskip(SKIP_1) | instid1(VALU_DEP_2)
	v_sub_nc_u32_e32 v8, v7, v6
	v_cmp_ge_u32_e32 vcc_lo, v7, v6
	v_cndmask_b32_e32 v7, v7, v8, vcc_lo
	s_branch .LBB52_41
.LBB52_48:                              ;   in Loop: Header=BB52_33 Depth=2
	s_or_b32 exec_lo, exec_lo, s22
	s_and_saveexec_b32 s22, s1
	s_cbranch_execz .LBB52_32
; %bb.49:                               ;   in Loop: Header=BB52_33 Depth=2
	s_mov_b32 s24, exec_lo
	v_cmpx_gt_u64_e64 s[10:11], v[4:5]
	s_cbranch_execz .LBB52_51
; %bb.50:                               ;   in Loop: Header=BB52_33 Depth=2
	ds_load_u16 v6, v11
	v_lshlrev_b64 v[4:5], 1, v[4:5]
	s_delay_alu instid0(VALU_DEP_1) | instskip(NEXT) | instid1(VALU_DEP_2)
	v_add_co_u32 v4, vcc_lo, v16, v4
	v_add_co_ci_u32_e32 v5, vcc_lo, v17, v5, vcc_lo
	s_waitcnt lgkmcnt(0)
	global_store_b16 v[4:5], v6, off
.LBB52_51:                              ;   in Loop: Header=BB52_33 Depth=2
	s_or_b32 exec_lo, exec_lo, s24
	v_cmp_gt_u64_e32 vcc_lo, s[10:11], v[2:3]
	s_and_b32 exec_lo, exec_lo, vcc_lo
	s_cbranch_execz .LBB52_32
; %bb.52:                               ;   in Loop: Header=BB52_33 Depth=2
	ds_load_u16 v4, v13
	v_lshlrev_b64 v[2:3], 1, v[2:3]
	s_delay_alu instid0(VALU_DEP_1) | instskip(NEXT) | instid1(VALU_DEP_2)
	v_add_co_u32 v2, vcc_lo, v16, v2
	v_add_co_ci_u32_e32 v3, vcc_lo, v17, v3, vcc_lo
	s_waitcnt lgkmcnt(0)
	global_store_b16 v[2:3], v4, off
	s_branch .LBB52_32
.LBB52_53:
	s_endpgm
	.section	.rodata,"a",@progbits
	.p2align	6, 0x0
	.amdhsa_kernel _ZN2at6native32tensor_kernel_scan_innermost_dimIsSt4plusIsEEEvPT_PKS4_jjjS4_T0_
		.amdhsa_group_segment_fixed_size 0
		.amdhsa_private_segment_fixed_size 0
		.amdhsa_kernarg_size 288
		.amdhsa_user_sgpr_count 15
		.amdhsa_user_sgpr_dispatch_ptr 0
		.amdhsa_user_sgpr_queue_ptr 0
		.amdhsa_user_sgpr_kernarg_segment_ptr 1
		.amdhsa_user_sgpr_dispatch_id 0
		.amdhsa_user_sgpr_private_segment_size 0
		.amdhsa_wavefront_size32 1
		.amdhsa_uses_dynamic_stack 0
		.amdhsa_enable_private_segment 0
		.amdhsa_system_sgpr_workgroup_id_x 1
		.amdhsa_system_sgpr_workgroup_id_y 0
		.amdhsa_system_sgpr_workgroup_id_z 0
		.amdhsa_system_sgpr_workgroup_info 0
		.amdhsa_system_vgpr_workitem_id 1
		.amdhsa_next_free_vgpr 20
		.amdhsa_next_free_sgpr 26
		.amdhsa_reserve_vcc 1
		.amdhsa_float_round_mode_32 0
		.amdhsa_float_round_mode_16_64 0
		.amdhsa_float_denorm_mode_32 3
		.amdhsa_float_denorm_mode_16_64 3
		.amdhsa_dx10_clamp 1
		.amdhsa_ieee_mode 1
		.amdhsa_fp16_overflow 0
		.amdhsa_workgroup_processor_mode 1
		.amdhsa_memory_ordered 1
		.amdhsa_forward_progress 0
		.amdhsa_shared_vgpr_count 0
		.amdhsa_exception_fp_ieee_invalid_op 0
		.amdhsa_exception_fp_denorm_src 0
		.amdhsa_exception_fp_ieee_div_zero 0
		.amdhsa_exception_fp_ieee_overflow 0
		.amdhsa_exception_fp_ieee_underflow 0
		.amdhsa_exception_fp_ieee_inexact 0
		.amdhsa_exception_int_div_zero 0
	.end_amdhsa_kernel
	.section	.text._ZN2at6native32tensor_kernel_scan_innermost_dimIsSt4plusIsEEEvPT_PKS4_jjjS4_T0_,"axG",@progbits,_ZN2at6native32tensor_kernel_scan_innermost_dimIsSt4plusIsEEEvPT_PKS4_jjjS4_T0_,comdat
.Lfunc_end52:
	.size	_ZN2at6native32tensor_kernel_scan_innermost_dimIsSt4plusIsEEEvPT_PKS4_jjjS4_T0_, .Lfunc_end52-_ZN2at6native32tensor_kernel_scan_innermost_dimIsSt4plusIsEEEvPT_PKS4_jjjS4_T0_
                                        ; -- End function
	.section	.AMDGPU.csdata,"",@progbits
; Kernel info:
; codeLenInByte = 2024
; NumSgprs: 28
; NumVgprs: 20
; ScratchSize: 0
; MemoryBound: 0
; FloatMode: 240
; IeeeMode: 1
; LDSByteSize: 0 bytes/workgroup (compile time only)
; SGPRBlocks: 3
; VGPRBlocks: 2
; NumSGPRsForWavesPerEU: 28
; NumVGPRsForWavesPerEU: 20
; Occupancy: 16
; WaveLimiterHint : 0
; COMPUTE_PGM_RSRC2:SCRATCH_EN: 0
; COMPUTE_PGM_RSRC2:USER_SGPR: 15
; COMPUTE_PGM_RSRC2:TRAP_HANDLER: 0
; COMPUTE_PGM_RSRC2:TGID_X_EN: 1
; COMPUTE_PGM_RSRC2:TGID_Y_EN: 0
; COMPUTE_PGM_RSRC2:TGID_Z_EN: 0
; COMPUTE_PGM_RSRC2:TIDIG_COMP_CNT: 1
	.section	.text._ZN2at6native28tensor_kernel_scan_outer_dimIsjSt4plusIsEEEvPT_PKS4_jjjS4_T1_,"axG",@progbits,_ZN2at6native28tensor_kernel_scan_outer_dimIsjSt4plusIsEEEvPT_PKS4_jjjS4_T1_,comdat
	.protected	_ZN2at6native28tensor_kernel_scan_outer_dimIsjSt4plusIsEEEvPT_PKS4_jjjS4_T1_ ; -- Begin function _ZN2at6native28tensor_kernel_scan_outer_dimIsjSt4plusIsEEEvPT_PKS4_jjjS4_T1_
	.globl	_ZN2at6native28tensor_kernel_scan_outer_dimIsjSt4plusIsEEEvPT_PKS4_jjjS4_T1_
	.p2align	8
	.type	_ZN2at6native28tensor_kernel_scan_outer_dimIsjSt4plusIsEEEvPT_PKS4_jjjS4_T1_,@function
_ZN2at6native28tensor_kernel_scan_outer_dimIsjSt4plusIsEEEvPT_PKS4_jjjS4_T1_: ; @_ZN2at6native28tensor_kernel_scan_outer_dimIsjSt4plusIsEEEvPT_PKS4_jjjS4_T1_
; %bb.0:
	s_load_b128 s[4:7], s[0:1], 0x10
	s_waitcnt lgkmcnt(0)
	s_cmp_ge_u32 s14, s4
	s_cbranch_scc1 .LBB53_9
; %bb.1:
	s_clause 0x2
	s_load_b32 s12, s[0:1], 0x2c
	s_load_b32 s20, s[0:1], 0x20
	s_load_b128 s[8:11], s[0:1], 0x0
	s_add_u32 s2, s0, 32
	s_addc_u32 s3, s1, 0
	s_mul_i32 s0, s14, s6
	v_mov_b32_e32 v3, 0
	s_mul_i32 s18, s0, s5
	s_mov_b32 s13, 0
	s_waitcnt lgkmcnt(0)
	s_and_b32 s1, s12, 0xffff
	s_mov_b32 s12, s5
	v_mad_u64_u32 v[1:2], null, s15, s1, v[0:1]
	s_cmp_lg_u32 s6, 0
	s_mul_i32 s21, s20, s6
	s_cselect_b32 s15, -1, 0
	s_mul_i32 s21, s21, s5
	s_lshl_b64 s[16:17], s[12:13], 1
	s_mov_b32 s12, s18
	s_delay_alu instid0(VALU_DEP_1)
	v_cmp_gt_u32_e64 s0, s5, v1
	s_set_inst_prefetch_distance 0x1
	s_branch .LBB53_3
	.p2align	6
.LBB53_2:                               ;   in Loop: Header=BB53_3 Depth=1
	s_or_b32 exec_lo, exec_lo, s22
	s_add_i32 s14, s20, s14
	s_add_i32 s12, s12, s21
	s_cmp_ge_u32 s14, s4
	s_cbranch_scc1 .LBB53_9
.LBB53_3:                               ; =>This Loop Header: Depth=1
                                        ;     Child Loop BB53_6 Depth 2
                                        ;       Child Loop BB53_8 Depth 3
	s_delay_alu instid0(VALU_DEP_1)
	s_and_saveexec_b32 s22, s0
	s_cbranch_execz .LBB53_2
; %bb.4:                                ;   in Loop: Header=BB53_3 Depth=1
	s_load_b32 s23, s[2:3], 0x4
	v_mov_b32_e32 v2, v1
	s_lshl_b64 s[18:19], s[12:13], 1
	s_mov_b32 s24, 0
	s_waitcnt lgkmcnt(0)
	s_mul_i32 s23, s23, s1
	s_branch .LBB53_6
	.p2align	6
.LBB53_5:                               ;   in Loop: Header=BB53_6 Depth=2
	v_add_nc_u32_e32 v2, s23, v2
	s_delay_alu instid0(VALU_DEP_1) | instskip(SKIP_1) | instid1(SALU_CYCLE_1)
	v_cmp_le_u32_e32 vcc_lo, s5, v2
	s_or_b32 s24, vcc_lo, s24
	s_and_not1_b32 exec_lo, exec_lo, s24
	s_cbranch_execz .LBB53_2
.LBB53_6:                               ;   Parent Loop BB53_3 Depth=1
                                        ; =>  This Loop Header: Depth=2
                                        ;       Child Loop BB53_8 Depth 3
	s_and_not1_b32 vcc_lo, exec_lo, s15
	s_cbranch_vccnz .LBB53_5
; %bb.7:                                ;   in Loop: Header=BB53_6 Depth=2
	v_lshlrev_b64 v[4:5], 1, v[2:3]
	s_mov_b32 s25, s6
	s_delay_alu instid0(VALU_DEP_1) | instskip(NEXT) | instid1(VALU_DEP_2)
	v_add_co_u32 v0, vcc_lo, s18, v4
	v_add_co_ci_u32_e32 v4, vcc_lo, s19, v5, vcc_lo
	v_mov_b32_e32 v5, s7
	.p2align	6
.LBB53_8:                               ;   Parent Loop BB53_3 Depth=1
                                        ;     Parent Loop BB53_6 Depth=2
                                        ; =>    This Inner Loop Header: Depth=3
	s_delay_alu instid0(VALU_DEP_3) | instskip(NEXT) | instid1(VALU_DEP_3)
	v_add_co_u32 v6, vcc_lo, s10, v0
	v_add_co_ci_u32_e32 v7, vcc_lo, s11, v4, vcc_lo
	s_add_i32 s25, s25, -1
	s_delay_alu instid0(SALU_CYCLE_1)
	s_cmp_eq_u32 s25, 0
	global_load_u16 v8, v[6:7], off
	v_add_co_u32 v6, vcc_lo, s8, v0
	v_add_co_ci_u32_e32 v7, vcc_lo, s9, v4, vcc_lo
	v_add_co_u32 v0, vcc_lo, v0, s16
	v_add_co_ci_u32_e32 v4, vcc_lo, s17, v4, vcc_lo
	s_waitcnt vmcnt(0)
	v_add_nc_u16 v5, v8, v5
	global_store_b16 v[6:7], v5, off
	s_cbranch_scc0 .LBB53_8
	s_branch .LBB53_5
.LBB53_9:
	s_set_inst_prefetch_distance 0x2
	s_nop 0
	s_sendmsg sendmsg(MSG_DEALLOC_VGPRS)
	s_endpgm
	.section	.rodata,"a",@progbits
	.p2align	6, 0x0
	.amdhsa_kernel _ZN2at6native28tensor_kernel_scan_outer_dimIsjSt4plusIsEEEvPT_PKS4_jjjS4_T1_
		.amdhsa_group_segment_fixed_size 0
		.amdhsa_private_segment_fixed_size 0
		.amdhsa_kernarg_size 288
		.amdhsa_user_sgpr_count 14
		.amdhsa_user_sgpr_dispatch_ptr 0
		.amdhsa_user_sgpr_queue_ptr 0
		.amdhsa_user_sgpr_kernarg_segment_ptr 1
		.amdhsa_user_sgpr_dispatch_id 0
		.amdhsa_user_sgpr_private_segment_size 0
		.amdhsa_wavefront_size32 1
		.amdhsa_uses_dynamic_stack 0
		.amdhsa_enable_private_segment 0
		.amdhsa_system_sgpr_workgroup_id_x 1
		.amdhsa_system_sgpr_workgroup_id_y 1
		.amdhsa_system_sgpr_workgroup_id_z 0
		.amdhsa_system_sgpr_workgroup_info 0
		.amdhsa_system_vgpr_workitem_id 0
		.amdhsa_next_free_vgpr 9
		.amdhsa_next_free_sgpr 26
		.amdhsa_reserve_vcc 1
		.amdhsa_float_round_mode_32 0
		.amdhsa_float_round_mode_16_64 0
		.amdhsa_float_denorm_mode_32 3
		.amdhsa_float_denorm_mode_16_64 3
		.amdhsa_dx10_clamp 1
		.amdhsa_ieee_mode 1
		.amdhsa_fp16_overflow 0
		.amdhsa_workgroup_processor_mode 1
		.amdhsa_memory_ordered 1
		.amdhsa_forward_progress 0
		.amdhsa_shared_vgpr_count 0
		.amdhsa_exception_fp_ieee_invalid_op 0
		.amdhsa_exception_fp_denorm_src 0
		.amdhsa_exception_fp_ieee_div_zero 0
		.amdhsa_exception_fp_ieee_overflow 0
		.amdhsa_exception_fp_ieee_underflow 0
		.amdhsa_exception_fp_ieee_inexact 0
		.amdhsa_exception_int_div_zero 0
	.end_amdhsa_kernel
	.section	.text._ZN2at6native28tensor_kernel_scan_outer_dimIsjSt4plusIsEEEvPT_PKS4_jjjS4_T1_,"axG",@progbits,_ZN2at6native28tensor_kernel_scan_outer_dimIsjSt4plusIsEEEvPT_PKS4_jjjS4_T1_,comdat
.Lfunc_end53:
	.size	_ZN2at6native28tensor_kernel_scan_outer_dimIsjSt4plusIsEEEvPT_PKS4_jjjS4_T1_, .Lfunc_end53-_ZN2at6native28tensor_kernel_scan_outer_dimIsjSt4plusIsEEEvPT_PKS4_jjjS4_T1_
                                        ; -- End function
	.section	.AMDGPU.csdata,"",@progbits
; Kernel info:
; codeLenInByte = 372
; NumSgprs: 28
; NumVgprs: 9
; ScratchSize: 0
; MemoryBound: 0
; FloatMode: 240
; IeeeMode: 1
; LDSByteSize: 0 bytes/workgroup (compile time only)
; SGPRBlocks: 3
; VGPRBlocks: 1
; NumSGPRsForWavesPerEU: 28
; NumVGPRsForWavesPerEU: 9
; Occupancy: 16
; WaveLimiterHint : 0
; COMPUTE_PGM_RSRC2:SCRATCH_EN: 0
; COMPUTE_PGM_RSRC2:USER_SGPR: 14
; COMPUTE_PGM_RSRC2:TRAP_HANDLER: 0
; COMPUTE_PGM_RSRC2:TGID_X_EN: 1
; COMPUTE_PGM_RSRC2:TGID_Y_EN: 1
; COMPUTE_PGM_RSRC2:TGID_Z_EN: 0
; COMPUTE_PGM_RSRC2:TIDIG_COMP_CNT: 0
	.section	.text._ZN2at6native28tensor_kernel_scan_outer_dimIsmSt4plusIsEEEvPT_PKS4_jjjS4_T1_,"axG",@progbits,_ZN2at6native28tensor_kernel_scan_outer_dimIsmSt4plusIsEEEvPT_PKS4_jjjS4_T1_,comdat
	.protected	_ZN2at6native28tensor_kernel_scan_outer_dimIsmSt4plusIsEEEvPT_PKS4_jjjS4_T1_ ; -- Begin function _ZN2at6native28tensor_kernel_scan_outer_dimIsmSt4plusIsEEEvPT_PKS4_jjjS4_T1_
	.globl	_ZN2at6native28tensor_kernel_scan_outer_dimIsmSt4plusIsEEEvPT_PKS4_jjjS4_T1_
	.p2align	8
	.type	_ZN2at6native28tensor_kernel_scan_outer_dimIsmSt4plusIsEEEvPT_PKS4_jjjS4_T1_,@function
_ZN2at6native28tensor_kernel_scan_outer_dimIsmSt4plusIsEEEvPT_PKS4_jjjS4_T1_: ; @_ZN2at6native28tensor_kernel_scan_outer_dimIsmSt4plusIsEEEvPT_PKS4_jjjS4_T1_
; %bb.0:
	s_load_b128 s[4:7], s[0:1], 0x10
	s_waitcnt lgkmcnt(0)
	s_cmp_ge_u32 s14, s4
	s_cbranch_scc1 .LBB54_9
; %bb.1:
	s_clause 0x2
	s_load_b32 s12, s[0:1], 0x2c
	s_load_b128 s[8:11], s[0:1], 0x0
	s_load_b32 s18, s[0:1], 0x20
	s_add_u32 s2, s0, 32
	s_addc_u32 s3, s1, 0
	v_mov_b32_e32 v3, 0
	s_mov_b32 s17, 0
	s_mul_hi_u32 s13, s6, s5
	s_mov_b32 s16, s5
	s_waitcnt lgkmcnt(0)
	s_and_b32 s1, s12, 0xffff
	s_cmp_lg_u32 s6, 0
	v_mad_u64_u32 v[1:2], null, s15, s1, v[0:1]
	s_mul_i32 s12, s6, s5
	s_cselect_b32 s15, -1, 0
	s_lshl_b64 s[12:13], s[12:13], 1
	s_lshl_b64 s[16:17], s[16:17], 1
	s_delay_alu instid0(VALU_DEP_1)
	v_cmp_gt_u32_e64 s0, s5, v1
	s_branch .LBB54_3
.LBB54_2:                               ;   in Loop: Header=BB54_3 Depth=1
	s_set_inst_prefetch_distance 0x2
	s_or_b32 exec_lo, exec_lo, s19
	s_add_i32 s14, s14, s18
	s_delay_alu instid0(SALU_CYCLE_1)
	s_cmp_ge_u32 s14, s4
	s_cbranch_scc1 .LBB54_9
.LBB54_3:                               ; =>This Loop Header: Depth=1
                                        ;     Child Loop BB54_6 Depth 2
                                        ;       Child Loop BB54_8 Depth 3
	s_delay_alu instid0(VALU_DEP_1)
	s_and_saveexec_b32 s19, s0
	s_cbranch_execz .LBB54_2
; %bb.4:                                ;   in Loop: Header=BB54_3 Depth=1
	s_load_b32 s22, s[2:3], 0x4
	v_mov_b32_e32 v2, v1
	s_mul_i32 s21, s13, s14
	s_mul_hi_u32 s23, s12, s14
	s_mul_i32 s20, s12, s14
	s_add_i32 s21, s23, s21
	s_mov_b32 s23, 0
	s_waitcnt lgkmcnt(0)
	s_mul_i32 s22, s22, s1
	s_set_inst_prefetch_distance 0x1
	s_branch .LBB54_6
	.p2align	6
.LBB54_5:                               ;   in Loop: Header=BB54_6 Depth=2
	v_add_nc_u32_e32 v2, s22, v2
	s_delay_alu instid0(VALU_DEP_1) | instskip(SKIP_1) | instid1(SALU_CYCLE_1)
	v_cmp_le_u32_e32 vcc_lo, s5, v2
	s_or_b32 s23, vcc_lo, s23
	s_and_not1_b32 exec_lo, exec_lo, s23
	s_cbranch_execz .LBB54_2
.LBB54_6:                               ;   Parent Loop BB54_3 Depth=1
                                        ; =>  This Loop Header: Depth=2
                                        ;       Child Loop BB54_8 Depth 3
	s_and_not1_b32 vcc_lo, exec_lo, s15
	s_cbranch_vccnz .LBB54_5
; %bb.7:                                ;   in Loop: Header=BB54_6 Depth=2
	v_lshlrev_b64 v[4:5], 1, v[2:3]
	s_mov_b32 s24, s6
	s_delay_alu instid0(VALU_DEP_1) | instskip(NEXT) | instid1(VALU_DEP_2)
	v_add_co_u32 v0, vcc_lo, s20, v4
	v_add_co_ci_u32_e32 v4, vcc_lo, s21, v5, vcc_lo
	v_mov_b32_e32 v5, s7
	.p2align	6
.LBB54_8:                               ;   Parent Loop BB54_3 Depth=1
                                        ;     Parent Loop BB54_6 Depth=2
                                        ; =>    This Inner Loop Header: Depth=3
	s_delay_alu instid0(VALU_DEP_3) | instskip(NEXT) | instid1(VALU_DEP_3)
	v_add_co_u32 v6, vcc_lo, s10, v0
	v_add_co_ci_u32_e32 v7, vcc_lo, s11, v4, vcc_lo
	s_add_i32 s24, s24, -1
	s_delay_alu instid0(SALU_CYCLE_1)
	s_cmp_eq_u32 s24, 0
	global_load_u16 v8, v[6:7], off
	v_add_co_u32 v6, vcc_lo, s8, v0
	v_add_co_ci_u32_e32 v7, vcc_lo, s9, v4, vcc_lo
	v_add_co_u32 v0, vcc_lo, v0, s16
	v_add_co_ci_u32_e32 v4, vcc_lo, s17, v4, vcc_lo
	s_waitcnt vmcnt(0)
	v_add_nc_u16 v5, v8, v5
	global_store_b16 v[6:7], v5, off
	s_cbranch_scc0 .LBB54_8
	s_branch .LBB54_5
.LBB54_9:
	s_nop 0
	s_sendmsg sendmsg(MSG_DEALLOC_VGPRS)
	s_endpgm
	.section	.rodata,"a",@progbits
	.p2align	6, 0x0
	.amdhsa_kernel _ZN2at6native28tensor_kernel_scan_outer_dimIsmSt4plusIsEEEvPT_PKS4_jjjS4_T1_
		.amdhsa_group_segment_fixed_size 0
		.amdhsa_private_segment_fixed_size 0
		.amdhsa_kernarg_size 288
		.amdhsa_user_sgpr_count 14
		.amdhsa_user_sgpr_dispatch_ptr 0
		.amdhsa_user_sgpr_queue_ptr 0
		.amdhsa_user_sgpr_kernarg_segment_ptr 1
		.amdhsa_user_sgpr_dispatch_id 0
		.amdhsa_user_sgpr_private_segment_size 0
		.amdhsa_wavefront_size32 1
		.amdhsa_uses_dynamic_stack 0
		.amdhsa_enable_private_segment 0
		.amdhsa_system_sgpr_workgroup_id_x 1
		.amdhsa_system_sgpr_workgroup_id_y 1
		.amdhsa_system_sgpr_workgroup_id_z 0
		.amdhsa_system_sgpr_workgroup_info 0
		.amdhsa_system_vgpr_workitem_id 0
		.amdhsa_next_free_vgpr 9
		.amdhsa_next_free_sgpr 25
		.amdhsa_reserve_vcc 1
		.amdhsa_float_round_mode_32 0
		.amdhsa_float_round_mode_16_64 0
		.amdhsa_float_denorm_mode_32 3
		.amdhsa_float_denorm_mode_16_64 3
		.amdhsa_dx10_clamp 1
		.amdhsa_ieee_mode 1
		.amdhsa_fp16_overflow 0
		.amdhsa_workgroup_processor_mode 1
		.amdhsa_memory_ordered 1
		.amdhsa_forward_progress 0
		.amdhsa_shared_vgpr_count 0
		.amdhsa_exception_fp_ieee_invalid_op 0
		.amdhsa_exception_fp_denorm_src 0
		.amdhsa_exception_fp_ieee_div_zero 0
		.amdhsa_exception_fp_ieee_overflow 0
		.amdhsa_exception_fp_ieee_underflow 0
		.amdhsa_exception_fp_ieee_inexact 0
		.amdhsa_exception_int_div_zero 0
	.end_amdhsa_kernel
	.section	.text._ZN2at6native28tensor_kernel_scan_outer_dimIsmSt4plusIsEEEvPT_PKS4_jjjS4_T1_,"axG",@progbits,_ZN2at6native28tensor_kernel_scan_outer_dimIsmSt4plusIsEEEvPT_PKS4_jjjS4_T1_,comdat
.Lfunc_end54:
	.size	_ZN2at6native28tensor_kernel_scan_outer_dimIsmSt4plusIsEEEvPT_PKS4_jjjS4_T1_, .Lfunc_end54-_ZN2at6native28tensor_kernel_scan_outer_dimIsmSt4plusIsEEEvPT_PKS4_jjjS4_T1_
                                        ; -- End function
	.section	.AMDGPU.csdata,"",@progbits
; Kernel info:
; codeLenInByte = 376
; NumSgprs: 27
; NumVgprs: 9
; ScratchSize: 0
; MemoryBound: 0
; FloatMode: 240
; IeeeMode: 1
; LDSByteSize: 0 bytes/workgroup (compile time only)
; SGPRBlocks: 3
; VGPRBlocks: 1
; NumSGPRsForWavesPerEU: 27
; NumVGPRsForWavesPerEU: 9
; Occupancy: 16
; WaveLimiterHint : 0
; COMPUTE_PGM_RSRC2:SCRATCH_EN: 0
; COMPUTE_PGM_RSRC2:USER_SGPR: 14
; COMPUTE_PGM_RSRC2:TRAP_HANDLER: 0
; COMPUTE_PGM_RSRC2:TGID_X_EN: 1
; COMPUTE_PGM_RSRC2:TGID_Y_EN: 1
; COMPUTE_PGM_RSRC2:TGID_Z_EN: 0
; COMPUTE_PGM_RSRC2:TIDIG_COMP_CNT: 0
	.section	.text._ZN2at4cuda3cub15calc_block_sumsILi256ELi16ELb0EddEEvPKT2_PT3_li,"axG",@progbits,_ZN2at4cuda3cub15calc_block_sumsILi256ELi16ELb0EddEEvPKT2_PT3_li,comdat
	.protected	_ZN2at4cuda3cub15calc_block_sumsILi256ELi16ELb0EddEEvPKT2_PT3_li ; -- Begin function _ZN2at4cuda3cub15calc_block_sumsILi256ELi16ELb0EddEEvPKT2_PT3_li
	.globl	_ZN2at4cuda3cub15calc_block_sumsILi256ELi16ELb0EddEEvPKT2_PT3_li
	.p2align	8
	.type	_ZN2at4cuda3cub15calc_block_sumsILi256ELi16ELb0EddEEvPKT2_PT3_li,@function
_ZN2at4cuda3cub15calc_block_sumsILi256ELi16ELb0EddEEvPKT2_PT3_li: ; @_ZN2at4cuda3cub15calc_block_sumsILi256ELi16ELb0EddEEvPKT2_PT3_li
; %bb.0:
	s_clause 0x1
	s_load_b32 s14, s[0:1], 0x18
	s_load_b64 s[10:11], s[0:1], 0x10
	s_waitcnt lgkmcnt(0)
	s_lshl_b32 s3, s14, 12
	s_delay_alu instid0(SALU_CYCLE_1)
	s_ashr_i32 s4, s3, 31
	s_mul_hi_u32 s5, s3, s15
	s_mul_i32 s4, s4, s15
	s_mul_i32 s12, s3, s15
	s_add_i32 s13, s5, s4
	s_sub_u32 s8, s10, s12
	s_subb_u32 s9, s11, s13
	s_delay_alu instid0(SALU_CYCLE_1) | instskip(NEXT) | instid1(VALU_DEP_1)
	v_cmp_lt_i64_e64 s3, s[8:9], 1
	s_and_b32 vcc_lo, exec_lo, s3
	s_cbranch_vccnz .LBB55_55
; %bb.1:
	s_load_b128 s[4:7], s[0:1], 0x0
	s_mov_b32 s2, s15
	s_cmp_gt_i32 s14, 0
	s_mov_b32 s3, 0
	s_cbranch_scc1 .LBB55_3
; %bb.2:
	s_mov_b64 s[0:1], 0
	s_mov_b32 s11, s3
	s_branch .LBB55_4
.LBB55_3:
	s_mov_b32 s11, -1
                                        ; implicit-def: $sgpr0_sgpr1
.LBB55_4:
	v_dual_mov_b32 v37, s1 :: v_dual_mov_b32 v36, s0
	s_and_not1_b32 vcc_lo, exec_lo, s11
	s_mov_b32 s11, s3
	s_cbranch_vccnz .LBB55_53
; %bb.5:
	v_lshrrev_b32_e32 v1, 2, v0
	s_mul_i32 s0, s2, s14
	v_dual_mov_b32 v36, 0 :: v_dual_add_nc_u32 v41, 0x200, v0
	s_lshl_b32 s1, s0, 12
	s_delay_alu instid0(VALU_DEP_2)
	v_and_b32_e32 v55, 0xf8, v1
	v_lshlrev_b32_e32 v1, 3, v0
	s_sub_i32 s1, s10, s1
	s_lshl_b64 s[10:11], s[12:13], 3
	v_dual_mov_b32 v3, 0 :: v_dual_add_nc_u32 v40, 0x100, v0
	s_waitcnt lgkmcnt(0)
	s_add_u32 s4, s4, s10
	s_addc_u32 s5, s5, s11
	v_add_co_u32 v38, s4, s4, v1
	v_dual_mov_b32 v37, 0 :: v_dual_add_nc_u32 v42, 0x300, v0
	v_or_b32_e32 v43, 0x400, v0
	v_add_nc_u32_e32 v44, 0x500, v0
	v_add_nc_u32_e32 v45, 0x600, v0
	v_add_nc_u32_e32 v46, 0x700, v0
	v_or_b32_e32 v47, 0x800, v0
	v_add_nc_u32_e32 v48, 0x900, v0
	v_add_nc_u32_e32 v49, 0xa00, v0
	v_add_nc_u32_e32 v50, 0xb00, v0
	;; [unrolled: 4-line block ×3, first 2 shown]
	v_cmp_gt_u32_e64 s0, 32, v0
	v_add_co_ci_u32_e64 v39, null, s5, 0, s4
	v_mbcnt_lo_u32_b32 v56, -1, 0
	s_mov_b32 s36, 0
	s_mov_b32 s11, -1
	s_mov_b32 s4, 0
	s_branch .LBB55_7
.LBB55_6:                               ;   in Loop: Header=BB55_7 Depth=1
	s_add_u32 s8, s8, 0xfffff000
	s_addc_u32 s9, s9, -1
	s_add_i32 s4, s4, 1
	v_add_co_u32 v38, vcc_lo, 0x8000, v38
	s_cmp_lt_i32 s4, s14
	v_add_co_ci_u32_e32 v39, vcc_lo, 0, v39, vcc_lo
	s_cselect_b32 s11, -1, 0
	s_addk_i32 s1, 0xf000
	s_cmp_eq_u32 s14, s4
	s_cselect_b32 s5, -1, 0
	s_barrier
	buffer_gl0_inv
	s_and_not1_b32 vcc_lo, exec_lo, s5
	s_cbranch_vccz .LBB55_53
.LBB55_7:                               ; =>This Inner Loop Header: Depth=1
	v_cmp_gt_i64_e64 s5, 0x1000, s[8:9]
                                        ; implicit-def: $vgpr1_vgpr2
	s_delay_alu instid0(VALU_DEP_1)
	s_and_b32 vcc_lo, exec_lo, s5
	s_mov_b32 s5, -1
	s_cbranch_vccnz .LBB55_10
; %bb.8:                                ;   in Loop: Header=BB55_7 Depth=1
	s_and_b32 vcc_lo, exec_lo, s5
	s_cbranch_vccnz .LBB55_32
.LBB55_9:                               ;   in Loop: Header=BB55_7 Depth=1
	s_delay_alu instid0(VALU_DEP_1) | instskip(SKIP_1) | instid1(VALU_DEP_1)
	v_add_f64 v[36:37], v[36:37], v[1:2]
	v_cmp_gt_i64_e64 s5, 0x1001, s[8:9]
	s_and_b32 vcc_lo, exec_lo, s5
	s_cbranch_vccz .LBB55_6
	s_branch .LBB55_37
.LBB55_10:                              ;   in Loop: Header=BB55_7 Depth=1
	s_mov_b32 s37, s36
	s_mov_b32 s38, s36
	;; [unrolled: 1-line block ×31, first 2 shown]
	v_dual_mov_b32 v4, s36 :: v_dual_mov_b32 v5, s37
	v_dual_mov_b32 v6, s38 :: v_dual_mov_b32 v7, s39
	;; [unrolled: 1-line block ×16, first 2 shown]
	s_mov_b32 s5, exec_lo
	v_cmpx_gt_u32_e64 s1, v0
	s_cbranch_execnz .LBB55_38
; %bb.11:                               ;   in Loop: Header=BB55_7 Depth=1
	s_or_b32 exec_lo, exec_lo, s5
	s_delay_alu instid0(SALU_CYCLE_1)
	s_mov_b32 s5, exec_lo
	v_cmpx_gt_u32_e64 s1, v40
	s_cbranch_execnz .LBB55_39
.LBB55_12:                              ;   in Loop: Header=BB55_7 Depth=1
	s_or_b32 exec_lo, exec_lo, s5
	s_delay_alu instid0(SALU_CYCLE_1)
	s_mov_b32 s5, exec_lo
	v_cmpx_gt_u32_e64 s1, v41
	s_cbranch_execnz .LBB55_40
.LBB55_13:                              ;   in Loop: Header=BB55_7 Depth=1
	s_or_b32 exec_lo, exec_lo, s5
	s_delay_alu instid0(SALU_CYCLE_1)
	s_mov_b32 s5, exec_lo
	v_cmpx_gt_u32_e64 s1, v42
	s_cbranch_execnz .LBB55_41
.LBB55_14:                              ;   in Loop: Header=BB55_7 Depth=1
	s_or_b32 exec_lo, exec_lo, s5
	s_delay_alu instid0(SALU_CYCLE_1)
	s_mov_b32 s5, exec_lo
	v_cmpx_gt_u32_e64 s1, v43
	s_cbranch_execnz .LBB55_42
.LBB55_15:                              ;   in Loop: Header=BB55_7 Depth=1
	s_or_b32 exec_lo, exec_lo, s5
	s_delay_alu instid0(SALU_CYCLE_1)
	s_mov_b32 s5, exec_lo
	v_cmpx_gt_u32_e64 s1, v44
	s_cbranch_execnz .LBB55_43
.LBB55_16:                              ;   in Loop: Header=BB55_7 Depth=1
	s_or_b32 exec_lo, exec_lo, s5
	s_delay_alu instid0(SALU_CYCLE_1)
	s_mov_b32 s5, exec_lo
	v_cmpx_gt_u32_e64 s1, v45
	s_cbranch_execnz .LBB55_44
.LBB55_17:                              ;   in Loop: Header=BB55_7 Depth=1
	s_or_b32 exec_lo, exec_lo, s5
	s_delay_alu instid0(SALU_CYCLE_1)
	s_mov_b32 s5, exec_lo
	v_cmpx_gt_u32_e64 s1, v46
	s_cbranch_execnz .LBB55_45
.LBB55_18:                              ;   in Loop: Header=BB55_7 Depth=1
	s_or_b32 exec_lo, exec_lo, s5
	s_delay_alu instid0(SALU_CYCLE_1)
	s_mov_b32 s5, exec_lo
	v_cmpx_gt_u32_e64 s1, v47
	s_cbranch_execnz .LBB55_46
.LBB55_19:                              ;   in Loop: Header=BB55_7 Depth=1
	s_or_b32 exec_lo, exec_lo, s5
	s_delay_alu instid0(SALU_CYCLE_1)
	s_mov_b32 s5, exec_lo
	v_cmpx_gt_u32_e64 s1, v48
	s_cbranch_execnz .LBB55_47
.LBB55_20:                              ;   in Loop: Header=BB55_7 Depth=1
	s_or_b32 exec_lo, exec_lo, s5
	s_delay_alu instid0(SALU_CYCLE_1)
	s_mov_b32 s5, exec_lo
	v_cmpx_gt_u32_e64 s1, v49
	s_cbranch_execnz .LBB55_48
.LBB55_21:                              ;   in Loop: Header=BB55_7 Depth=1
	s_or_b32 exec_lo, exec_lo, s5
	s_delay_alu instid0(SALU_CYCLE_1)
	s_mov_b32 s5, exec_lo
	v_cmpx_gt_u32_e64 s1, v50
	s_cbranch_execnz .LBB55_49
.LBB55_22:                              ;   in Loop: Header=BB55_7 Depth=1
	s_or_b32 exec_lo, exec_lo, s5
	s_delay_alu instid0(SALU_CYCLE_1)
	s_mov_b32 s5, exec_lo
	v_cmpx_gt_u32_e64 s1, v51
	s_cbranch_execnz .LBB55_50
.LBB55_23:                              ;   in Loop: Header=BB55_7 Depth=1
	s_or_b32 exec_lo, exec_lo, s5
	s_delay_alu instid0(SALU_CYCLE_1)
	s_mov_b32 s5, exec_lo
	v_cmpx_gt_u32_e64 s1, v52
	s_cbranch_execnz .LBB55_51
.LBB55_24:                              ;   in Loop: Header=BB55_7 Depth=1
	s_or_b32 exec_lo, exec_lo, s5
	s_delay_alu instid0(SALU_CYCLE_1)
	s_mov_b32 s5, exec_lo
	v_cmpx_gt_u32_e64 s1, v53
	s_cbranch_execnz .LBB55_52
.LBB55_25:                              ;   in Loop: Header=BB55_7 Depth=1
	s_or_b32 exec_lo, exec_lo, s5
	s_delay_alu instid0(SALU_CYCLE_1)
	s_mov_b32 s5, exec_lo
	v_cmpx_gt_u32_e64 s1, v54
	s_cbranch_execz .LBB55_27
.LBB55_26:                              ;   in Loop: Header=BB55_7 Depth=1
	v_add_co_u32 v1, vcc_lo, 0x7000, v38
	v_add_co_ci_u32_e32 v2, vcc_lo, 0, v39, vcc_lo
	global_load_b64 v[34:35], v[1:2], off offset:2048
.LBB55_27:                              ;   in Loop: Header=BB55_7 Depth=1
	s_or_b32 exec_lo, exec_lo, s5
	s_waitcnt vmcnt(0)
	v_add_f64 v[1:2], v[4:5], v[6:7]
	s_mov_b32 s5, exec_lo
	s_barrier
	buffer_gl0_inv
	v_add_f64 v[1:2], v[8:9], v[1:2]
	s_delay_alu instid0(VALU_DEP_1) | instskip(NEXT) | instid1(VALU_DEP_1)
	v_add_f64 v[1:2], v[10:11], v[1:2]
	v_add_f64 v[1:2], v[12:13], v[1:2]
	s_delay_alu instid0(VALU_DEP_1) | instskip(NEXT) | instid1(VALU_DEP_1)
	v_add_f64 v[1:2], v[14:15], v[1:2]
	;; [unrolled: 3-line block ×7, first 2 shown]
	v_mov_b32_dpp v4, v1 quad_perm:[1,0,3,2] row_mask:0xf bank_mask:0xf
	s_delay_alu instid0(VALU_DEP_2) | instskip(NEXT) | instid1(VALU_DEP_1)
	v_mov_b32_dpp v5, v2 quad_perm:[1,0,3,2] row_mask:0xf bank_mask:0xf
	v_add_f64 v[1:2], v[1:2], v[4:5]
	s_delay_alu instid0(VALU_DEP_1) | instskip(NEXT) | instid1(VALU_DEP_2)
	v_mov_b32_dpp v4, v1 quad_perm:[2,3,0,1] row_mask:0xf bank_mask:0xf
	v_mov_b32_dpp v5, v2 quad_perm:[2,3,0,1] row_mask:0xf bank_mask:0xf
	s_delay_alu instid0(VALU_DEP_1) | instskip(NEXT) | instid1(VALU_DEP_1)
	v_add_f64 v[1:2], v[1:2], v[4:5]
	v_mov_b32_dpp v4, v1 row_ror:4 row_mask:0xf bank_mask:0xf
	s_delay_alu instid0(VALU_DEP_2) | instskip(NEXT) | instid1(VALU_DEP_1)
	v_mov_b32_dpp v5, v2 row_ror:4 row_mask:0xf bank_mask:0xf
	v_add_f64 v[1:2], v[1:2], v[4:5]
	s_delay_alu instid0(VALU_DEP_1) | instskip(NEXT) | instid1(VALU_DEP_2)
	v_mov_b32_dpp v4, v1 row_ror:8 row_mask:0xf bank_mask:0xf
	v_mov_b32_dpp v5, v2 row_ror:8 row_mask:0xf bank_mask:0xf
	s_delay_alu instid0(VALU_DEP_1)
	v_add_f64 v[1:2], v[1:2], v[4:5]
	ds_swizzle_b32 v4, v1 offset:swizzle(BROADCAST,32,15)
	ds_swizzle_b32 v5, v2 offset:swizzle(BROADCAST,32,15)
	s_waitcnt lgkmcnt(0)
	v_add_f64 v[1:2], v[1:2], v[4:5]
	ds_bpermute_b32 v1, v3, v1 offset:124
	ds_bpermute_b32 v2, v3, v2 offset:124
	v_cmpx_eq_u32_e32 0, v56
	s_cbranch_execz .LBB55_29
; %bb.28:                               ;   in Loop: Header=BB55_7 Depth=1
	s_waitcnt lgkmcnt(0)
	ds_store_b64 v55, v[1:2]
.LBB55_29:                              ;   in Loop: Header=BB55_7 Depth=1
	s_or_b32 exec_lo, exec_lo, s5
	s_waitcnt lgkmcnt(0)
	s_barrier
	buffer_gl0_inv
	s_and_saveexec_b32 s5, s0
	s_cbranch_execz .LBB55_31
; %bb.30:                               ;   in Loop: Header=BB55_7 Depth=1
	v_and_b32_e32 v6, 7, v56
	s_delay_alu instid0(VALU_DEP_1) | instskip(SKIP_4) | instid1(VALU_DEP_2)
	v_lshlrev_b32_e32 v1, 3, v6
	v_cmp_ne_u32_e32 vcc_lo, 7, v6
	ds_load_b64 v[1:2], v1
	v_add_co_ci_u32_e32 v4, vcc_lo, 0, v56, vcc_lo
	v_cmp_gt_u32_e32 vcc_lo, 6, v6
	v_lshlrev_b32_e32 v5, 2, v4
	s_waitcnt lgkmcnt(0)
	ds_bpermute_b32 v4, v5, v1
	ds_bpermute_b32 v5, v5, v2
	s_waitcnt lgkmcnt(0)
	v_add_f64 v[1:2], v[1:2], v[4:5]
	v_cndmask_b32_e64 v4, 0, 1, vcc_lo
	v_cmp_gt_u32_e32 vcc_lo, 4, v6
	s_delay_alu instid0(VALU_DEP_2) | instskip(NEXT) | instid1(VALU_DEP_1)
	v_lshlrev_b32_e32 v4, 1, v4
	v_add_lshl_u32 v5, v4, v56, 2
	ds_bpermute_b32 v4, v5, v1
	ds_bpermute_b32 v5, v5, v2
	s_waitcnt lgkmcnt(0)
	v_add_f64 v[1:2], v[1:2], v[4:5]
	v_cndmask_b32_e64 v4, 0, 1, vcc_lo
	s_delay_alu instid0(VALU_DEP_1) | instskip(NEXT) | instid1(VALU_DEP_1)
	v_lshlrev_b32_e32 v4, 2, v4
	v_add_lshl_u32 v5, v4, v56, 2
	ds_bpermute_b32 v4, v5, v1
	ds_bpermute_b32 v5, v5, v2
	s_waitcnt lgkmcnt(0)
	v_add_f64 v[1:2], v[1:2], v[4:5]
.LBB55_31:                              ;   in Loop: Header=BB55_7 Depth=1
	s_or_b32 exec_lo, exec_lo, s5
	s_branch .LBB55_9
.LBB55_32:                              ;   in Loop: Header=BB55_7 Depth=1
	s_clause 0x1
	global_load_b64 v[1:2], v[38:39], off
	global_load_b64 v[4:5], v[38:39], off offset:2048
	v_add_co_u32 v6, vcc_lo, v38, 0x2000
	v_add_co_ci_u32_e32 v7, vcc_lo, 0, v39, vcc_lo
	v_add_co_u32 v10, vcc_lo, 0x1000, v38
	v_add_co_ci_u32_e32 v11, vcc_lo, 0, v39, vcc_lo
	s_clause 0x2
	global_load_b64 v[8:9], v[6:7], off offset:-4096
	global_load_b64 v[10:11], v[10:11], off offset:2048
	global_load_b64 v[6:7], v[6:7], off
	v_add_co_u32 v12, vcc_lo, 0x2000, v38
	v_add_co_ci_u32_e32 v13, vcc_lo, 0, v39, vcc_lo
	v_add_co_u32 v14, vcc_lo, v38, 0x4000
	v_add_co_ci_u32_e32 v15, vcc_lo, 0, v39, vcc_lo
	global_load_b64 v[12:13], v[12:13], off offset:2048
	v_add_co_u32 v18, vcc_lo, 0x3000, v38
	global_load_b64 v[16:17], v[14:15], off offset:-4096
	v_add_co_ci_u32_e32 v19, vcc_lo, 0, v39, vcc_lo
	s_clause 0x1
	global_load_b64 v[18:19], v[18:19], off offset:2048
	global_load_b64 v[14:15], v[14:15], off
	v_add_co_u32 v20, vcc_lo, 0x4000, v38
	v_add_co_ci_u32_e32 v21, vcc_lo, 0, v39, vcc_lo
	v_add_co_u32 v22, vcc_lo, v38, 0x6000
	v_add_co_ci_u32_e32 v23, vcc_lo, 0, v39, vcc_lo
	global_load_b64 v[20:21], v[20:21], off offset:2048
	s_mov_b32 s5, exec_lo
	global_load_b64 v[24:25], v[22:23], off
	s_waitcnt vmcnt(9)
	v_add_f64 v[1:2], v[1:2], v[4:5]
	global_load_b64 v[4:5], v[22:23], off offset:-4096
	s_waitcnt vmcnt(9)
	v_add_f64 v[1:2], v[1:2], v[8:9]
	v_add_co_u32 v8, vcc_lo, 0x5000, v38
	v_add_co_ci_u32_e32 v9, vcc_lo, 0, v39, vcc_lo
	global_load_b64 v[8:9], v[8:9], off offset:2048
	s_waitcnt vmcnt(9)
	v_add_f64 v[1:2], v[1:2], v[10:11]
	s_waitcnt vmcnt(8)
	s_delay_alu instid0(VALU_DEP_1)
	v_add_f64 v[1:2], v[1:2], v[6:7]
	v_add_co_u32 v6, vcc_lo, 0x6000, v38
	v_add_co_ci_u32_e32 v7, vcc_lo, 0, v39, vcc_lo
	v_add_co_u32 v10, vcc_lo, 0x7000, v38
	v_add_co_ci_u32_e32 v11, vcc_lo, 0, v39, vcc_lo
	s_waitcnt vmcnt(7)
	v_add_f64 v[1:2], v[1:2], v[12:13]
	s_clause 0x2
	global_load_b64 v[12:13], v[10:11], off
	global_load_b64 v[6:7], v[6:7], off offset:2048
	global_load_b64 v[10:11], v[10:11], off offset:2048
	s_waitcnt vmcnt(0)
	s_barrier
	buffer_gl0_inv
	v_add_f64 v[1:2], v[1:2], v[16:17]
	s_delay_alu instid0(VALU_DEP_1) | instskip(NEXT) | instid1(VALU_DEP_1)
	v_add_f64 v[1:2], v[1:2], v[18:19]
	v_add_f64 v[1:2], v[1:2], v[14:15]
	s_delay_alu instid0(VALU_DEP_1) | instskip(NEXT) | instid1(VALU_DEP_1)
	v_add_f64 v[1:2], v[1:2], v[20:21]
	v_add_f64 v[1:2], v[1:2], v[4:5]
	s_delay_alu instid0(VALU_DEP_1) | instskip(NEXT) | instid1(VALU_DEP_1)
	v_add_f64 v[1:2], v[1:2], v[8:9]
	v_add_f64 v[1:2], v[1:2], v[24:25]
	s_delay_alu instid0(VALU_DEP_1) | instskip(NEXT) | instid1(VALU_DEP_1)
	v_add_f64 v[1:2], v[1:2], v[6:7]
	v_add_f64 v[1:2], v[1:2], v[12:13]
	s_delay_alu instid0(VALU_DEP_1) | instskip(NEXT) | instid1(VALU_DEP_1)
	v_add_f64 v[1:2], v[1:2], v[10:11]
	v_mov_b32_dpp v4, v1 quad_perm:[1,0,3,2] row_mask:0xf bank_mask:0xf
	s_delay_alu instid0(VALU_DEP_2) | instskip(NEXT) | instid1(VALU_DEP_1)
	v_mov_b32_dpp v5, v2 quad_perm:[1,0,3,2] row_mask:0xf bank_mask:0xf
	v_add_f64 v[1:2], v[1:2], v[4:5]
	s_delay_alu instid0(VALU_DEP_1) | instskip(NEXT) | instid1(VALU_DEP_2)
	v_mov_b32_dpp v4, v1 quad_perm:[2,3,0,1] row_mask:0xf bank_mask:0xf
	v_mov_b32_dpp v5, v2 quad_perm:[2,3,0,1] row_mask:0xf bank_mask:0xf
	s_delay_alu instid0(VALU_DEP_1) | instskip(NEXT) | instid1(VALU_DEP_1)
	v_add_f64 v[1:2], v[1:2], v[4:5]
	v_mov_b32_dpp v4, v1 row_ror:4 row_mask:0xf bank_mask:0xf
	s_delay_alu instid0(VALU_DEP_2) | instskip(NEXT) | instid1(VALU_DEP_1)
	v_mov_b32_dpp v5, v2 row_ror:4 row_mask:0xf bank_mask:0xf
	v_add_f64 v[1:2], v[1:2], v[4:5]
	s_delay_alu instid0(VALU_DEP_1) | instskip(NEXT) | instid1(VALU_DEP_2)
	v_mov_b32_dpp v4, v1 row_ror:8 row_mask:0xf bank_mask:0xf
	v_mov_b32_dpp v5, v2 row_ror:8 row_mask:0xf bank_mask:0xf
	s_delay_alu instid0(VALU_DEP_1)
	v_add_f64 v[1:2], v[1:2], v[4:5]
	ds_swizzle_b32 v4, v1 offset:swizzle(BROADCAST,32,15)
	ds_swizzle_b32 v5, v2 offset:swizzle(BROADCAST,32,15)
	s_waitcnt lgkmcnt(0)
	v_add_f64 v[1:2], v[1:2], v[4:5]
	ds_bpermute_b32 v1, v3, v1 offset:124
	ds_bpermute_b32 v2, v3, v2 offset:124
	v_cmpx_eq_u32_e32 0, v56
	s_cbranch_execz .LBB55_34
; %bb.33:                               ;   in Loop: Header=BB55_7 Depth=1
	s_waitcnt lgkmcnt(0)
	ds_store_b64 v55, v[1:2]
.LBB55_34:                              ;   in Loop: Header=BB55_7 Depth=1
	s_or_b32 exec_lo, exec_lo, s5
	s_waitcnt lgkmcnt(0)
	s_barrier
	buffer_gl0_inv
	s_and_saveexec_b32 s5, s0
	s_cbranch_execz .LBB55_36
; %bb.35:                               ;   in Loop: Header=BB55_7 Depth=1
	v_and_b32_e32 v6, 7, v56
	s_delay_alu instid0(VALU_DEP_1) | instskip(SKIP_4) | instid1(VALU_DEP_2)
	v_lshlrev_b32_e32 v1, 3, v6
	v_cmp_ne_u32_e32 vcc_lo, 7, v6
	ds_load_b64 v[1:2], v1
	v_add_co_ci_u32_e32 v4, vcc_lo, 0, v56, vcc_lo
	v_cmp_gt_u32_e32 vcc_lo, 6, v6
	v_lshlrev_b32_e32 v5, 2, v4
	s_waitcnt lgkmcnt(0)
	ds_bpermute_b32 v4, v5, v1
	ds_bpermute_b32 v5, v5, v2
	s_waitcnt lgkmcnt(0)
	v_add_f64 v[1:2], v[1:2], v[4:5]
	v_cndmask_b32_e64 v4, 0, 1, vcc_lo
	v_cmp_gt_u32_e32 vcc_lo, 4, v6
	s_delay_alu instid0(VALU_DEP_2) | instskip(NEXT) | instid1(VALU_DEP_1)
	v_lshlrev_b32_e32 v4, 1, v4
	v_add_lshl_u32 v5, v4, v56, 2
	ds_bpermute_b32 v4, v5, v1
	ds_bpermute_b32 v5, v5, v2
	s_waitcnt lgkmcnt(0)
	v_add_f64 v[1:2], v[1:2], v[4:5]
	v_cndmask_b32_e64 v4, 0, 1, vcc_lo
	s_delay_alu instid0(VALU_DEP_1) | instskip(NEXT) | instid1(VALU_DEP_1)
	v_lshlrev_b32_e32 v4, 2, v4
	v_add_lshl_u32 v5, v4, v56, 2
	ds_bpermute_b32 v4, v5, v1
	ds_bpermute_b32 v5, v5, v2
	s_waitcnt lgkmcnt(0)
	v_add_f64 v[1:2], v[1:2], v[4:5]
.LBB55_36:                              ;   in Loop: Header=BB55_7 Depth=1
	s_or_b32 exec_lo, exec_lo, s5
	s_delay_alu instid0(VALU_DEP_1) | instskip(SKIP_1) | instid1(VALU_DEP_1)
	v_add_f64 v[36:37], v[36:37], v[1:2]
	v_cmp_gt_i64_e64 s5, 0x1001, s[8:9]
	s_and_b32 vcc_lo, exec_lo, s5
	s_cbranch_vccz .LBB55_6
.LBB55_37:
                                        ; implicit-def: $sgpr4
                                        ; implicit-def: $sgpr8_sgpr9
                                        ; implicit-def: $sgpr1
                                        ; implicit-def: $vgpr38_vgpr39
	s_branch .LBB55_53
.LBB55_38:                              ;   in Loop: Header=BB55_7 Depth=1
	global_load_b64 v[1:2], v[38:39], off
	v_mov_b32_e32 v32, v3
	v_mov_b32_e32 v4, v3
	;; [unrolled: 1-line block ×29, first 2 shown]
	s_waitcnt vmcnt(0)
	v_mov_b32_e32 v35, v32
	s_delay_alu instid0(VALU_DEP_2)
	v_dual_mov_b32 v34, v31 :: v_dual_mov_b32 v33, v30
	v_mov_b32_e32 v32, v29
	v_mov_b32_e32 v31, v28
	;; [unrolled: 1-line block ×29, first 2 shown]
	s_or_b32 exec_lo, exec_lo, s5
	s_delay_alu instid0(SALU_CYCLE_1)
	s_mov_b32 s5, exec_lo
	v_cmpx_gt_u32_e64 s1, v40
	s_cbranch_execz .LBB55_12
.LBB55_39:                              ;   in Loop: Header=BB55_7 Depth=1
	global_load_b64 v[6:7], v[38:39], off offset:2048
	s_or_b32 exec_lo, exec_lo, s5
	s_delay_alu instid0(SALU_CYCLE_1)
	s_mov_b32 s5, exec_lo
	v_cmpx_gt_u32_e64 s1, v41
	s_cbranch_execz .LBB55_13
.LBB55_40:                              ;   in Loop: Header=BB55_7 Depth=1
	v_add_co_u32 v1, vcc_lo, 0x1000, v38
	v_add_co_ci_u32_e32 v2, vcc_lo, 0, v39, vcc_lo
	global_load_b64 v[8:9], v[1:2], off
	s_or_b32 exec_lo, exec_lo, s5
	s_delay_alu instid0(SALU_CYCLE_1)
	s_mov_b32 s5, exec_lo
	v_cmpx_gt_u32_e64 s1, v42
	s_cbranch_execz .LBB55_14
.LBB55_41:                              ;   in Loop: Header=BB55_7 Depth=1
	v_add_co_u32 v1, vcc_lo, 0x1000, v38
	v_add_co_ci_u32_e32 v2, vcc_lo, 0, v39, vcc_lo
	global_load_b64 v[10:11], v[1:2], off offset:2048
	s_or_b32 exec_lo, exec_lo, s5
	s_delay_alu instid0(SALU_CYCLE_1)
	s_mov_b32 s5, exec_lo
	v_cmpx_gt_u32_e64 s1, v43
	s_cbranch_execz .LBB55_15
.LBB55_42:                              ;   in Loop: Header=BB55_7 Depth=1
	v_add_co_u32 v1, vcc_lo, 0x2000, v38
	v_add_co_ci_u32_e32 v2, vcc_lo, 0, v39, vcc_lo
	global_load_b64 v[12:13], v[1:2], off
	s_or_b32 exec_lo, exec_lo, s5
	s_delay_alu instid0(SALU_CYCLE_1)
	s_mov_b32 s5, exec_lo
	v_cmpx_gt_u32_e64 s1, v44
	s_cbranch_execz .LBB55_16
.LBB55_43:                              ;   in Loop: Header=BB55_7 Depth=1
	v_add_co_u32 v1, vcc_lo, 0x2000, v38
	v_add_co_ci_u32_e32 v2, vcc_lo, 0, v39, vcc_lo
	global_load_b64 v[14:15], v[1:2], off offset:2048
	s_or_b32 exec_lo, exec_lo, s5
	s_delay_alu instid0(SALU_CYCLE_1)
	s_mov_b32 s5, exec_lo
	v_cmpx_gt_u32_e64 s1, v45
	s_cbranch_execz .LBB55_17
.LBB55_44:                              ;   in Loop: Header=BB55_7 Depth=1
	v_add_co_u32 v1, vcc_lo, 0x3000, v38
	v_add_co_ci_u32_e32 v2, vcc_lo, 0, v39, vcc_lo
	global_load_b64 v[16:17], v[1:2], off
	s_or_b32 exec_lo, exec_lo, s5
	s_delay_alu instid0(SALU_CYCLE_1)
	s_mov_b32 s5, exec_lo
	v_cmpx_gt_u32_e64 s1, v46
	s_cbranch_execz .LBB55_18
.LBB55_45:                              ;   in Loop: Header=BB55_7 Depth=1
	v_add_co_u32 v1, vcc_lo, 0x3000, v38
	v_add_co_ci_u32_e32 v2, vcc_lo, 0, v39, vcc_lo
	global_load_b64 v[18:19], v[1:2], off offset:2048
	s_or_b32 exec_lo, exec_lo, s5
	s_delay_alu instid0(SALU_CYCLE_1)
	s_mov_b32 s5, exec_lo
	v_cmpx_gt_u32_e64 s1, v47
	s_cbranch_execz .LBB55_19
.LBB55_46:                              ;   in Loop: Header=BB55_7 Depth=1
	v_add_co_u32 v1, vcc_lo, 0x4000, v38
	v_add_co_ci_u32_e32 v2, vcc_lo, 0, v39, vcc_lo
	global_load_b64 v[20:21], v[1:2], off
	s_or_b32 exec_lo, exec_lo, s5
	s_delay_alu instid0(SALU_CYCLE_1)
	s_mov_b32 s5, exec_lo
	v_cmpx_gt_u32_e64 s1, v48
	s_cbranch_execz .LBB55_20
.LBB55_47:                              ;   in Loop: Header=BB55_7 Depth=1
	v_add_co_u32 v1, vcc_lo, 0x4000, v38
	v_add_co_ci_u32_e32 v2, vcc_lo, 0, v39, vcc_lo
	global_load_b64 v[22:23], v[1:2], off offset:2048
	s_or_b32 exec_lo, exec_lo, s5
	s_delay_alu instid0(SALU_CYCLE_1)
	s_mov_b32 s5, exec_lo
	v_cmpx_gt_u32_e64 s1, v49
	s_cbranch_execz .LBB55_21
.LBB55_48:                              ;   in Loop: Header=BB55_7 Depth=1
	v_add_co_u32 v1, vcc_lo, 0x5000, v38
	v_add_co_ci_u32_e32 v2, vcc_lo, 0, v39, vcc_lo
	global_load_b64 v[24:25], v[1:2], off
	s_or_b32 exec_lo, exec_lo, s5
	s_delay_alu instid0(SALU_CYCLE_1)
	s_mov_b32 s5, exec_lo
	v_cmpx_gt_u32_e64 s1, v50
	s_cbranch_execz .LBB55_22
.LBB55_49:                              ;   in Loop: Header=BB55_7 Depth=1
	v_add_co_u32 v1, vcc_lo, 0x5000, v38
	v_add_co_ci_u32_e32 v2, vcc_lo, 0, v39, vcc_lo
	global_load_b64 v[26:27], v[1:2], off offset:2048
	s_or_b32 exec_lo, exec_lo, s5
	s_delay_alu instid0(SALU_CYCLE_1)
	s_mov_b32 s5, exec_lo
	v_cmpx_gt_u32_e64 s1, v51
	s_cbranch_execz .LBB55_23
.LBB55_50:                              ;   in Loop: Header=BB55_7 Depth=1
	v_add_co_u32 v1, vcc_lo, 0x6000, v38
	v_add_co_ci_u32_e32 v2, vcc_lo, 0, v39, vcc_lo
	global_load_b64 v[28:29], v[1:2], off
	s_or_b32 exec_lo, exec_lo, s5
	s_delay_alu instid0(SALU_CYCLE_1)
	s_mov_b32 s5, exec_lo
	v_cmpx_gt_u32_e64 s1, v52
	s_cbranch_execz .LBB55_24
.LBB55_51:                              ;   in Loop: Header=BB55_7 Depth=1
	v_add_co_u32 v1, vcc_lo, 0x6000, v38
	v_add_co_ci_u32_e32 v2, vcc_lo, 0, v39, vcc_lo
	global_load_b64 v[30:31], v[1:2], off offset:2048
	s_or_b32 exec_lo, exec_lo, s5
	s_delay_alu instid0(SALU_CYCLE_1)
	s_mov_b32 s5, exec_lo
	v_cmpx_gt_u32_e64 s1, v53
	s_cbranch_execz .LBB55_25
.LBB55_52:                              ;   in Loop: Header=BB55_7 Depth=1
	v_add_co_u32 v1, vcc_lo, 0x7000, v38
	v_add_co_ci_u32_e32 v2, vcc_lo, 0, v39, vcc_lo
	global_load_b64 v[32:33], v[1:2], off
	s_or_b32 exec_lo, exec_lo, s5
	s_delay_alu instid0(SALU_CYCLE_1)
	s_mov_b32 s5, exec_lo
	v_cmpx_gt_u32_e64 s1, v54
	s_cbranch_execnz .LBB55_26
	s_branch .LBB55_27
.LBB55_53:
	v_cmp_eq_u32_e32 vcc_lo, 0, v0
	s_xor_b32 s0, s11, -1
	s_delay_alu instid0(SALU_CYCLE_1) | instskip(NEXT) | instid1(SALU_CYCLE_1)
	s_and_b32 s0, vcc_lo, s0
	s_and_saveexec_b32 s1, s0
	s_cbranch_execz .LBB55_55
; %bb.54:
	s_lshl_b64 s[0:1], s[2:3], 3
	v_mov_b32_e32 v0, 0
	s_waitcnt lgkmcnt(0)
	s_add_u32 s0, s6, s0
	s_addc_u32 s1, s7, s1
	global_store_b64 v0, v[36:37], s[0:1]
.LBB55_55:
	s_nop 0
	s_sendmsg sendmsg(MSG_DEALLOC_VGPRS)
	s_endpgm
	.section	.rodata,"a",@progbits
	.p2align	6, 0x0
	.amdhsa_kernel _ZN2at4cuda3cub15calc_block_sumsILi256ELi16ELb0EddEEvPKT2_PT3_li
		.amdhsa_group_segment_fixed_size 64
		.amdhsa_private_segment_fixed_size 0
		.amdhsa_kernarg_size 28
		.amdhsa_user_sgpr_count 15
		.amdhsa_user_sgpr_dispatch_ptr 0
		.amdhsa_user_sgpr_queue_ptr 0
		.amdhsa_user_sgpr_kernarg_segment_ptr 1
		.amdhsa_user_sgpr_dispatch_id 0
		.amdhsa_user_sgpr_private_segment_size 0
		.amdhsa_wavefront_size32 1
		.amdhsa_uses_dynamic_stack 0
		.amdhsa_enable_private_segment 0
		.amdhsa_system_sgpr_workgroup_id_x 1
		.amdhsa_system_sgpr_workgroup_id_y 0
		.amdhsa_system_sgpr_workgroup_id_z 0
		.amdhsa_system_sgpr_workgroup_info 0
		.amdhsa_system_vgpr_workitem_id 0
		.amdhsa_next_free_vgpr 57
		.amdhsa_next_free_sgpr 68
		.amdhsa_reserve_vcc 1
		.amdhsa_float_round_mode_32 0
		.amdhsa_float_round_mode_16_64 0
		.amdhsa_float_denorm_mode_32 3
		.amdhsa_float_denorm_mode_16_64 3
		.amdhsa_dx10_clamp 1
		.amdhsa_ieee_mode 1
		.amdhsa_fp16_overflow 0
		.amdhsa_workgroup_processor_mode 1
		.amdhsa_memory_ordered 1
		.amdhsa_forward_progress 0
		.amdhsa_shared_vgpr_count 0
		.amdhsa_exception_fp_ieee_invalid_op 0
		.amdhsa_exception_fp_denorm_src 0
		.amdhsa_exception_fp_ieee_div_zero 0
		.amdhsa_exception_fp_ieee_overflow 0
		.amdhsa_exception_fp_ieee_underflow 0
		.amdhsa_exception_fp_ieee_inexact 0
		.amdhsa_exception_int_div_zero 0
	.end_amdhsa_kernel
	.section	.text._ZN2at4cuda3cub15calc_block_sumsILi256ELi16ELb0EddEEvPKT2_PT3_li,"axG",@progbits,_ZN2at4cuda3cub15calc_block_sumsILi256ELi16ELb0EddEEvPKT2_PT3_li,comdat
.Lfunc_end55:
	.size	_ZN2at4cuda3cub15calc_block_sumsILi256ELi16ELb0EddEEvPKT2_PT3_li, .Lfunc_end55-_ZN2at4cuda3cub15calc_block_sumsILi256ELi16ELb0EddEEvPKT2_PT3_li
                                        ; -- End function
	.section	.AMDGPU.csdata,"",@progbits
; Kernel info:
; codeLenInByte = 3656
; NumSgprs: 70
; NumVgprs: 57
; ScratchSize: 0
; MemoryBound: 1
; FloatMode: 240
; IeeeMode: 1
; LDSByteSize: 64 bytes/workgroup (compile time only)
; SGPRBlocks: 8
; VGPRBlocks: 7
; NumSGPRsForWavesPerEU: 70
; NumVGPRsForWavesPerEU: 57
; Occupancy: 16
; WaveLimiterHint : 1
; COMPUTE_PGM_RSRC2:SCRATCH_EN: 0
; COMPUTE_PGM_RSRC2:USER_SGPR: 15
; COMPUTE_PGM_RSRC2:TRAP_HANDLER: 0
; COMPUTE_PGM_RSRC2:TGID_X_EN: 1
; COMPUTE_PGM_RSRC2:TGID_Y_EN: 0
; COMPUTE_PGM_RSRC2:TGID_Z_EN: 0
; COMPUTE_PGM_RSRC2:TIDIG_COMP_CNT: 0
	.section	.text._ZN2at4cuda3cub17final_scan_kernelILi256ELi16EdEEvPKT1_PS3_S6_li,"axG",@progbits,_ZN2at4cuda3cub17final_scan_kernelILi256ELi16EdEEvPKT1_PS3_S6_li,comdat
	.protected	_ZN2at4cuda3cub17final_scan_kernelILi256ELi16EdEEvPKT1_PS3_S6_li ; -- Begin function _ZN2at4cuda3cub17final_scan_kernelILi256ELi16EdEEvPKT1_PS3_S6_li
	.globl	_ZN2at4cuda3cub17final_scan_kernelILi256ELi16EdEEvPKT1_PS3_S6_li
	.p2align	8
	.type	_ZN2at4cuda3cub17final_scan_kernelILi256ELi16EdEEvPKT1_PS3_S6_li,@function
_ZN2at4cuda3cub17final_scan_kernelILi256ELi16EdEEvPKT1_PS3_S6_li: ; @_ZN2at4cuda3cub17final_scan_kernelILi256ELi16EdEEvPKT1_PS3_S6_li
; %bb.0:
	s_clause 0x1
	s_load_b32 s26, s[0:1], 0x20
	s_load_b256 s[16:23], s[0:1], 0x0
	s_waitcnt lgkmcnt(0)
	s_lshl_b32 s2, s26, 12
	s_delay_alu instid0(SALU_CYCLE_1)
	s_ashr_i32 s3, s2, 31
	s_mul_hi_u32 s4, s2, s15
	s_mul_i32 s3, s3, s15
	s_mul_i32 s24, s2, s15
	s_add_i32 s25, s4, s3
	s_sub_u32 s22, s22, s24
	s_subb_u32 s23, s23, s25
	s_delay_alu instid0(SALU_CYCLE_1) | instskip(NEXT) | instid1(VALU_DEP_1)
	v_cmp_lt_i64_e64 s2, s[22:23], 1
	s_and_b32 vcc_lo, exec_lo, s2
	s_cbranch_vccnz .LBB56_114
; %bb.1:
	v_mov_b32_e32 v1, 0
	v_dual_mov_b32 v2, 0 :: v_dual_lshlrev_b32 v73, 3, v0
	s_mov_b32 s2, exec_lo
	v_cmpx_gt_u32_e64 s15, v0
	s_cbranch_execz .LBB56_3
; %bb.2:
	global_load_b64 v[1:2], v73, s[20:21]
.LBB56_3:
	s_or_b32 exec_lo, exec_lo, s2
	s_load_b32 s0, s[0:1], 0x34
	s_waitcnt lgkmcnt(0)
	s_and_b32 s1, s0, 0xffff
	s_mov_b32 s0, exec_lo
	v_add_nc_u32_e32 v3, s1, v0
	s_delay_alu instid0(VALU_DEP_1)
	v_cmpx_gt_u32_e64 s15, v3
	s_cbranch_execz .LBB56_7
; %bb.4:
	v_mov_b32_e32 v4, 0
	s_mov_b32 s2, 0
.LBB56_5:                               ; =>This Inner Loop Header: Depth=1
	s_delay_alu instid0(VALU_DEP_1) | instskip(SKIP_1) | instid1(VALU_DEP_2)
	v_lshlrev_b64 v[5:6], 3, v[3:4]
	v_add_nc_u32_e32 v3, s1, v3
	v_add_co_u32 v5, vcc_lo, s20, v5
	s_delay_alu instid0(VALU_DEP_3) | instskip(NEXT) | instid1(VALU_DEP_3)
	v_add_co_ci_u32_e32 v6, vcc_lo, s21, v6, vcc_lo
	v_cmp_le_u32_e32 vcc_lo, s15, v3
	global_load_b64 v[5:6], v[5:6], off
	s_or_b32 s2, vcc_lo, s2
	s_waitcnt vmcnt(0)
	v_add_f64 v[1:2], v[1:2], v[5:6]
	s_and_not1_b32 exec_lo, exec_lo, s2
	s_cbranch_execnz .LBB56_5
; %bb.6:
	s_or_b32 exec_lo, exec_lo, s2
.LBB56_7:
	s_delay_alu instid0(SALU_CYCLE_1) | instskip(SKIP_1) | instid1(VALU_DEP_1)
	s_or_b32 exec_lo, exec_lo, s0
	s_waitcnt vmcnt(0)
	v_mov_b32_dpp v3, v1 quad_perm:[1,0,3,2] row_mask:0xf bank_mask:0xf
	s_delay_alu instid0(VALU_DEP_2) | instskip(NEXT) | instid1(VALU_DEP_1)
	v_mov_b32_dpp v4, v2 quad_perm:[1,0,3,2] row_mask:0xf bank_mask:0xf
	v_add_f64 v[1:2], v[1:2], v[3:4]
	s_delay_alu instid0(VALU_DEP_1) | instskip(NEXT) | instid1(VALU_DEP_2)
	v_mov_b32_dpp v3, v1 quad_perm:[2,3,0,1] row_mask:0xf bank_mask:0xf
	v_mov_b32_dpp v4, v2 quad_perm:[2,3,0,1] row_mask:0xf bank_mask:0xf
	s_delay_alu instid0(VALU_DEP_1) | instskip(NEXT) | instid1(VALU_DEP_1)
	v_add_f64 v[1:2], v[1:2], v[3:4]
	v_mov_b32_dpp v3, v1 row_ror:4 row_mask:0xf bank_mask:0xf
	s_delay_alu instid0(VALU_DEP_2) | instskip(NEXT) | instid1(VALU_DEP_1)
	v_mov_b32_dpp v4, v2 row_ror:4 row_mask:0xf bank_mask:0xf
	v_add_f64 v[1:2], v[1:2], v[3:4]
	s_delay_alu instid0(VALU_DEP_1) | instskip(NEXT) | instid1(VALU_DEP_2)
	v_mov_b32_dpp v3, v1 row_ror:8 row_mask:0xf bank_mask:0xf
	v_mov_b32_dpp v4, v2 row_ror:8 row_mask:0xf bank_mask:0xf
	s_delay_alu instid0(VALU_DEP_1)
	v_add_f64 v[1:2], v[1:2], v[3:4]
	ds_swizzle_b32 v3, v1 offset:swizzle(BROADCAST,32,15)
	ds_swizzle_b32 v4, v2 offset:swizzle(BROADCAST,32,15)
	s_waitcnt lgkmcnt(0)
	v_add_f64 v[1:2], v[1:2], v[3:4]
	v_mov_b32_e32 v3, 0
	ds_bpermute_b32 v35, v3, v1 offset:124
	ds_bpermute_b32 v36, v3, v2 offset:124
	v_mbcnt_lo_u32_b32 v1, -1, 0
	s_delay_alu instid0(VALU_DEP_1) | instskip(NEXT) | instid1(VALU_DEP_1)
	v_cmp_eq_u32_e64 s0, 0, v1
	s_and_saveexec_b32 s1, s0
	s_cbranch_execz .LBB56_9
; %bb.8:
	v_lshrrev_b32_e32 v2, 2, v0
	s_delay_alu instid0(VALU_DEP_1)
	v_and_b32_e32 v2, 0xf8, v2
	s_waitcnt lgkmcnt(0)
	ds_store_b64 v2, v[35:36]
.LBB56_9:
	s_or_b32 exec_lo, exec_lo, s1
	v_cmp_lt_u32_e64 s1, 31, v0
	v_cmp_gt_u32_e64 s2, 32, v0
	v_and_b32_e32 v2, 7, v1
	s_waitcnt lgkmcnt(0)
	s_barrier
	buffer_gl0_inv
	s_and_saveexec_b32 s3, s2
	s_cbranch_execz .LBB56_11
; %bb.10:
	v_lshlrev_b32_e32 v3, 3, v2
	v_cmp_ne_u32_e32 vcc_lo, 7, v2
	ds_load_b64 v[3:4], v3
	v_add_co_ci_u32_e32 v5, vcc_lo, 0, v1, vcc_lo
	v_cmp_gt_u32_e32 vcc_lo, 6, v2
	s_delay_alu instid0(VALU_DEP_2)
	v_lshlrev_b32_e32 v6, 2, v5
	s_waitcnt lgkmcnt(0)
	ds_bpermute_b32 v5, v6, v3
	ds_bpermute_b32 v6, v6, v4
	s_waitcnt lgkmcnt(0)
	v_add_f64 v[3:4], v[3:4], v[5:6]
	v_cndmask_b32_e64 v5, 0, 1, vcc_lo
	v_cmp_gt_u32_e32 vcc_lo, 4, v2
	s_delay_alu instid0(VALU_DEP_2) | instskip(NEXT) | instid1(VALU_DEP_1)
	v_lshlrev_b32_e32 v5, 1, v5
	v_add_lshl_u32 v6, v5, v1, 2
	ds_bpermute_b32 v5, v6, v3
	ds_bpermute_b32 v6, v6, v4
	s_waitcnt lgkmcnt(0)
	v_add_f64 v[3:4], v[3:4], v[5:6]
	v_cndmask_b32_e64 v5, 0, 1, vcc_lo
	s_delay_alu instid0(VALU_DEP_1) | instskip(NEXT) | instid1(VALU_DEP_1)
	v_lshlrev_b32_e32 v5, 2, v5
	v_add_lshl_u32 v6, v5, v1, 2
	ds_bpermute_b32 v5, v6, v3
	ds_bpermute_b32 v6, v6, v4
	s_waitcnt lgkmcnt(0)
	v_add_f64 v[35:36], v[3:4], v[5:6]
.LBB56_11:
	s_or_b32 exec_lo, exec_lo, s3
	s_cmp_lt_i32 s26, 1
	s_barrier
	buffer_gl0_inv
	s_cbranch_scc1 .LBB56_114
; %bb.12:
	v_lshlrev_b32_e32 v3, 4, v0
	v_cmp_ne_u32_e64 s10, 0, v2
	v_cmp_lt_u32_e64 s11, 1, v2
	v_cmp_lt_u32_e64 s12, 3, v2
	s_lshl_b64 s[14:15], s[24:25], 3
	v_and_b32_e32 v3, 0x3e00, v3
	v_cmp_gt_u32_e64 s9, 8, v0
	v_cmp_eq_u32_e64 s13, 0, v0
	v_lshlrev_b32_e32 v110, 3, v1
	s_mov_b32 s36, 0
	v_or_b32_e32 v74, v1, v3
	v_lshrrev_b32_e32 v3, 5, v3
	s_delay_alu instid0(VALU_DEP_2)
	v_or_b32_e32 v75, 32, v74
	v_or_b32_e32 v79, 0xa0, v74
	;; [unrolled: 1-line block ×5, first 2 shown]
	v_lshrrev_b32_e32 v4, 5, v75
	v_or_b32_e32 v78, 0x80, v74
	v_or_b32_e32 v81, 0xe0, v74
	;; [unrolled: 1-line block ×3, first 2 shown]
	v_lshrrev_b32_e32 v6, 5, v77
	v_add_lshl_u32 v91, v4, v75, 3
	v_lshrrev_b32_e32 v4, 5, v79
	v_add_lshl_u32 v90, v3, v74, 3
	;; [unrolled: 2-line block ×6, first 2 shown]
	v_or_b32_e32 v76, 64, v74
	v_add_lshl_u32 v100, v4, v84, 3
	v_lshrrev_b32_e32 v4, 5, v87
	v_add_lshl_u32 v99, v3, v83, 3
	v_or_b32_e32 v80, 0xc0, v74
	v_lshrrev_b32_e32 v5, 5, v76
	v_or_b32_e32 v85, 0x160, v74
	v_add_lshl_u32 v103, v4, v87, 3
	v_and_b32_e32 v4, 15, v1
	v_or_b32_e32 v82, 0x100, v74
	v_add_lshl_u32 v92, v5, v76, 3
	v_lshrrev_b32_e32 v5, 5, v80
	v_or_b32_e32 v88, 0x1c0, v74
	v_cmp_ne_u32_e64 s3, 0, v4
	v_cmp_lt_u32_e64 s4, 1, v4
	v_cmp_lt_u32_e64 s5, 3, v4
	;; [unrolled: 1-line block ×3, first 2 shown]
	v_add_nc_u32_e32 v4, -1, v1
	v_add_lshl_u32 v96, v5, v80, 3
	v_lshrrev_b32_e32 v5, 5, v85
	v_or_b32_e32 v86, 0x180, v74
	v_lshrrev_b32_e32 v7, 5, v82
	v_cmp_gt_i32_e32 vcc_lo, 0, v4
	v_and_b32_e32 v6, 0x3e0, v0
	v_add_lshl_u32 v101, v5, v85, 3
	v_lshrrev_b32_e32 v5, 5, v88
	v_or_b32_e32 v89, 0x1e0, v74
	v_add_lshl_u32 v98, v7, v82, 3
	v_or_b32_e32 v3, v1, v6
	v_lshrrev_b32_e32 v7, 5, v86
	v_add_lshl_u32 v104, v5, v88, 3
	v_and_b32_e32 v5, 16, v1
	s_delay_alu instid0(VALU_DEP_4) | instskip(SKIP_4) | instid1(VALU_DEP_4)
	v_lshlrev_b32_e32 v8, 4, v3
	v_bfe_u32 v3, v3, 1, 27
	v_add_lshl_u32 v102, v7, v86, 3
	v_lshrrev_b32_e32 v7, 5, v89
	v_cmp_ne_u32_e64 s7, 0, v5
	v_add_lshl_u32 v106, v3, v8, 3
	v_min_u32_e32 v3, 0xe0, v6
	v_lshrrev_b32_e32 v6, 5, v0
	v_add_lshl_u32 v105, v7, v89, 3
	s_delay_alu instid0(VALU_DEP_3) | instskip(NEXT) | instid1(VALU_DEP_3)
	v_or_b32_e32 v3, 31, v3
	v_lshlrev_b32_e32 v2, 12, v6
	v_lshlrev_b32_e32 v107, 3, v6
	s_delay_alu instid0(VALU_DEP_3) | instskip(SKIP_1) | instid1(VALU_DEP_4)
	v_cmp_eq_u32_e64 s8, v3, v0
	v_cndmask_b32_e32 v3, v4, v1, vcc_lo
	v_add_co_u32 v0, s14, s14, v2
	s_delay_alu instid0(VALU_DEP_4) | instskip(NEXT) | instid1(VALU_DEP_3)
	v_add_nc_u32_e32 v108, -8, v107
	v_dual_mov_b32 v2, 0 :: v_dual_lshlrev_b32 v109, 2, v3
	v_add_co_ci_u32_e64 v3, null, s15, 0, s14
	s_delay_alu instid0(VALU_DEP_4) | instskip(NEXT) | instid1(VALU_DEP_2)
	v_add_co_u32 v1, vcc_lo, v0, s18
	v_add_co_ci_u32_e32 v4, vcc_lo, s19, v3, vcc_lo
	s_delay_alu instid0(VALU_DEP_2) | instskip(NEXT) | instid1(VALU_DEP_2)
	v_add_co_u32 v37, vcc_lo, 0xf00, v1
	v_add_co_ci_u32_e32 v38, vcc_lo, 0, v4, vcc_lo
	v_add_co_u32 v39, vcc_lo, s16, v0
	v_add_co_ci_u32_e32 v40, vcc_lo, s17, v3, vcc_lo
	s_branch .LBB56_14
.LBB56_13:                              ;   in Loop: Header=BB56_14 Depth=1
	v_add_co_u32 v37, vcc_lo, 0x8000, v37
	v_add_co_ci_u32_e32 v38, vcc_lo, 0, v38, vcc_lo
	s_add_u32 s22, s22, 0xfffff000
	v_add_co_u32 v39, vcc_lo, 0x8000, v39
	s_addc_u32 s23, s23, -1
	s_add_i32 s26, s26, -1
	v_add_co_ci_u32_e32 v40, vcc_lo, 0, v40, vcc_lo
	s_cmp_eq_u32 s26, 0
	s_waitcnt lgkmcnt(0)
	s_waitcnt_vscnt null, 0x0
	s_cselect_b32 s14, -1, 0
	s_barrier
	buffer_gl0_inv
	s_and_not1_b32 vcc_lo, exec_lo, s14
	s_cbranch_vccz .LBB56_114
.LBB56_14:                              ; =>This Inner Loop Header: Depth=1
	v_cmp_lt_i64_e64 s14, 0xfff, s[22:23]
	v_cmp_gt_i64_e64 s15, 0x1000, s[22:23]
	s_mov_b32 s16, -1
	s_delay_alu instid0(VALU_DEP_2)
	s_and_b32 vcc_lo, exec_lo, s14
	v_cmp_gt_u32_e64 s14, s22, v74
	s_cbranch_vccnz .LBB56_33
; %bb.15:                               ;   in Loop: Header=BB56_14 Depth=1
	s_mov_b32 s37, s36
	s_mov_b32 s38, s36
	;; [unrolled: 1-line block ×31, first 2 shown]
	v_add_co_u32 v41, vcc_lo, v39, v110
	s_waitcnt lgkmcnt(0)
	v_dual_mov_b32 v3, s36 :: v_dual_mov_b32 v4, s37
	v_dual_mov_b32 v5, s38 :: v_dual_mov_b32 v6, s39
	;; [unrolled: 1-line block ×16, first 2 shown]
	v_add_co_ci_u32_e32 v42, vcc_lo, 0, v40, vcc_lo
	s_and_saveexec_b32 s16, s14
	s_cbranch_execnz .LBB56_99
; %bb.16:                               ;   in Loop: Header=BB56_14 Depth=1
	s_or_b32 exec_lo, exec_lo, s16
	s_delay_alu instid0(SALU_CYCLE_1)
	s_mov_b32 s14, exec_lo
	v_cmpx_gt_u32_e64 s22, v75
	s_cbranch_execnz .LBB56_100
.LBB56_17:                              ;   in Loop: Header=BB56_14 Depth=1
	s_or_b32 exec_lo, exec_lo, s14
	s_delay_alu instid0(SALU_CYCLE_1)
	s_mov_b32 s14, exec_lo
	v_cmpx_gt_u32_e64 s22, v76
	s_cbranch_execnz .LBB56_101
.LBB56_18:                              ;   in Loop: Header=BB56_14 Depth=1
	s_or_b32 exec_lo, exec_lo, s14
	s_delay_alu instid0(SALU_CYCLE_1)
	s_mov_b32 s14, exec_lo
	v_cmpx_gt_u32_e64 s22, v77
	s_cbranch_execnz .LBB56_102
.LBB56_19:                              ;   in Loop: Header=BB56_14 Depth=1
	s_or_b32 exec_lo, exec_lo, s14
	s_delay_alu instid0(SALU_CYCLE_1)
	s_mov_b32 s14, exec_lo
	v_cmpx_gt_u32_e64 s22, v78
	s_cbranch_execnz .LBB56_103
.LBB56_20:                              ;   in Loop: Header=BB56_14 Depth=1
	s_or_b32 exec_lo, exec_lo, s14
	s_delay_alu instid0(SALU_CYCLE_1)
	s_mov_b32 s14, exec_lo
	v_cmpx_gt_u32_e64 s22, v79
	s_cbranch_execnz .LBB56_104
.LBB56_21:                              ;   in Loop: Header=BB56_14 Depth=1
	s_or_b32 exec_lo, exec_lo, s14
	s_delay_alu instid0(SALU_CYCLE_1)
	s_mov_b32 s14, exec_lo
	v_cmpx_gt_u32_e64 s22, v80
	s_cbranch_execnz .LBB56_105
.LBB56_22:                              ;   in Loop: Header=BB56_14 Depth=1
	s_or_b32 exec_lo, exec_lo, s14
	s_delay_alu instid0(SALU_CYCLE_1)
	s_mov_b32 s14, exec_lo
	v_cmpx_gt_u32_e64 s22, v81
	s_cbranch_execnz .LBB56_106
.LBB56_23:                              ;   in Loop: Header=BB56_14 Depth=1
	s_or_b32 exec_lo, exec_lo, s14
	s_delay_alu instid0(SALU_CYCLE_1)
	s_mov_b32 s14, exec_lo
	v_cmpx_gt_u32_e64 s22, v82
	s_cbranch_execnz .LBB56_107
.LBB56_24:                              ;   in Loop: Header=BB56_14 Depth=1
	s_or_b32 exec_lo, exec_lo, s14
	s_delay_alu instid0(SALU_CYCLE_1)
	s_mov_b32 s14, exec_lo
	v_cmpx_gt_u32_e64 s22, v83
	s_cbranch_execnz .LBB56_108
.LBB56_25:                              ;   in Loop: Header=BB56_14 Depth=1
	s_or_b32 exec_lo, exec_lo, s14
	s_delay_alu instid0(SALU_CYCLE_1)
	s_mov_b32 s14, exec_lo
	v_cmpx_gt_u32_e64 s22, v84
	s_cbranch_execnz .LBB56_109
.LBB56_26:                              ;   in Loop: Header=BB56_14 Depth=1
	s_or_b32 exec_lo, exec_lo, s14
	s_delay_alu instid0(SALU_CYCLE_1)
	s_mov_b32 s14, exec_lo
	v_cmpx_gt_u32_e64 s22, v85
	s_cbranch_execnz .LBB56_110
.LBB56_27:                              ;   in Loop: Header=BB56_14 Depth=1
	s_or_b32 exec_lo, exec_lo, s14
	s_delay_alu instid0(SALU_CYCLE_1)
	s_mov_b32 s14, exec_lo
	v_cmpx_gt_u32_e64 s22, v86
	s_cbranch_execnz .LBB56_111
.LBB56_28:                              ;   in Loop: Header=BB56_14 Depth=1
	s_or_b32 exec_lo, exec_lo, s14
	s_delay_alu instid0(SALU_CYCLE_1)
	s_mov_b32 s14, exec_lo
	v_cmpx_gt_u32_e64 s22, v87
	s_cbranch_execnz .LBB56_112
.LBB56_29:                              ;   in Loop: Header=BB56_14 Depth=1
	s_or_b32 exec_lo, exec_lo, s14
	s_delay_alu instid0(SALU_CYCLE_1)
	s_mov_b32 s14, exec_lo
	v_cmpx_gt_u32_e64 s22, v88
	s_cbranch_execnz .LBB56_113
.LBB56_30:                              ;   in Loop: Header=BB56_14 Depth=1
	s_or_b32 exec_lo, exec_lo, s14
	s_delay_alu instid0(SALU_CYCLE_1)
	s_mov_b32 s14, exec_lo
	v_cmpx_gt_u32_e64 s22, v89
	s_cbranch_execz .LBB56_32
.LBB56_31:                              ;   in Loop: Header=BB56_14 Depth=1
	global_load_b64 v[33:34], v[41:42], off offset:3840
.LBB56_32:                              ;   in Loop: Header=BB56_14 Depth=1
	s_or_b32 exec_lo, exec_lo, s14
	s_mov_b32 s16, 0
	ds_store_b64 v90, v[3:4]
	s_waitcnt vmcnt(0)
	ds_store_b64 v91, v[5:6]
	ds_store_b64 v92, v[7:8]
	;; [unrolled: 1-line block ×15, first 2 shown]
	; wave barrier
.LBB56_33:                              ;   in Loop: Header=BB56_14 Depth=1
	s_and_b32 vcc_lo, exec_lo, s16
	s_cbranch_vccz .LBB56_35
; %bb.34:                               ;   in Loop: Header=BB56_14 Depth=1
	v_add_co_u32 v0, vcc_lo, v39, v110
	v_add_co_ci_u32_e32 v1, vcc_lo, 0, v40, vcc_lo
	s_clause 0x7
	global_load_b64 v[3:4], v[0:1], off
	global_load_b64 v[5:6], v[0:1], off offset:256
	global_load_b64 v[7:8], v[0:1], off offset:512
	;; [unrolled: 1-line block ×7, first 2 shown]
	s_waitcnt lgkmcnt(0)
	s_clause 0x7
	global_load_b64 v[19:20], v[0:1], off offset:2048
	global_load_b64 v[21:22], v[0:1], off offset:2304
	global_load_b64 v[23:24], v[0:1], off offset:2560
	global_load_b64 v[25:26], v[0:1], off offset:2816
	global_load_b64 v[27:28], v[0:1], off offset:3072
	global_load_b64 v[29:30], v[0:1], off offset:3328
	global_load_b64 v[31:32], v[0:1], off offset:3584
	global_load_b64 v[0:1], v[0:1], off offset:3840
	s_waitcnt vmcnt(15)
	ds_store_b64 v90, v[3:4]
	s_waitcnt vmcnt(14)
	ds_store_b64 v91, v[5:6]
	;; [unrolled: 2-line block ×16, first 2 shown]
	; wave barrier
.LBB56_35:                              ;   in Loop: Header=BB56_14 Depth=1
	ds_load_2addr_b64 v[3:6], v106 offset1:1
	ds_load_2addr_b64 v[7:10], v106 offset0:2 offset1:3
	ds_load_2addr_b64 v[15:18], v106 offset0:4 offset1:5
	;; [unrolled: 1-line block ×3, first 2 shown]
	s_waitcnt lgkmcnt(6)
	ds_load_2addr_b64 v[23:26], v106 offset0:8 offset1:9
	s_waitcnt lgkmcnt(5)
	ds_load_2addr_b64 v[19:22], v106 offset0:10 offset1:11
	ds_load_2addr_b64 v[31:34], v106 offset0:12 offset1:13
	;; [unrolled: 1-line block ×3, first 2 shown]
	s_waitcnt lgkmcnt(0)
	s_waitcnt_vscnt null, 0x0
	s_barrier
	buffer_gl0_inv
	v_add_f64 v[0:1], v[3:4], v[5:6]
	s_delay_alu instid0(VALU_DEP_1) | instskip(NEXT) | instid1(VALU_DEP_1)
	v_add_f64 v[0:1], v[7:8], v[0:1]
	v_add_f64 v[0:1], v[9:10], v[0:1]
	s_delay_alu instid0(VALU_DEP_1) | instskip(NEXT) | instid1(VALU_DEP_1)
	v_add_f64 v[0:1], v[15:16], v[0:1]
	;; [unrolled: 3-line block ×7, first 2 shown]
	v_add_f64 v[0:1], v[29:30], v[0:1]
	s_delay_alu instid0(VALU_DEP_1) | instskip(NEXT) | instid1(VALU_DEP_2)
	v_mov_b32_dpp v41, v0 row_shr:1 row_mask:0xf bank_mask:0xf
	v_mov_b32_dpp v42, v1 row_shr:1 row_mask:0xf bank_mask:0xf
	s_and_saveexec_b32 s14, s3
; %bb.36:                               ;   in Loop: Header=BB56_14 Depth=1
	s_delay_alu instid0(VALU_DEP_1)
	v_add_f64 v[0:1], v[0:1], v[41:42]
; %bb.37:                               ;   in Loop: Header=BB56_14 Depth=1
	s_or_b32 exec_lo, exec_lo, s14
	s_delay_alu instid0(VALU_DEP_1) | instskip(NEXT) | instid1(VALU_DEP_2)
	v_mov_b32_dpp v41, v0 row_shr:2 row_mask:0xf bank_mask:0xf
	v_mov_b32_dpp v42, v1 row_shr:2 row_mask:0xf bank_mask:0xf
	s_and_saveexec_b32 s14, s4
; %bb.38:                               ;   in Loop: Header=BB56_14 Depth=1
	s_delay_alu instid0(VALU_DEP_1)
	v_add_f64 v[0:1], v[0:1], v[41:42]
; %bb.39:                               ;   in Loop: Header=BB56_14 Depth=1
	s_or_b32 exec_lo, exec_lo, s14
	;; [unrolled: 9-line block ×4, first 2 shown]
	ds_swizzle_b32 v41, v0 offset:swizzle(BROADCAST,32,15)
	ds_swizzle_b32 v42, v1 offset:swizzle(BROADCAST,32,15)
	s_and_saveexec_b32 s14, s7
	s_cbranch_execz .LBB56_45
; %bb.44:                               ;   in Loop: Header=BB56_14 Depth=1
	s_waitcnt lgkmcnt(0)
	v_add_f64 v[0:1], v[0:1], v[41:42]
.LBB56_45:                              ;   in Loop: Header=BB56_14 Depth=1
	s_or_b32 exec_lo, exec_lo, s14
	s_and_saveexec_b32 s14, s8
	s_cbranch_execz .LBB56_47
; %bb.46:                               ;   in Loop: Header=BB56_14 Depth=1
	ds_store_b64 v107, v[0:1]
.LBB56_47:                              ;   in Loop: Header=BB56_14 Depth=1
	s_or_b32 exec_lo, exec_lo, s14
	s_waitcnt lgkmcnt(0)
	s_barrier
	buffer_gl0_inv
	s_and_saveexec_b32 s14, s9
	s_cbranch_execz .LBB56_55
; %bb.48:                               ;   in Loop: Header=BB56_14 Depth=1
	ds_load_b64 v[41:42], v73
	s_waitcnt lgkmcnt(0)
	v_mov_b32_dpp v43, v41 row_shr:1 row_mask:0xf bank_mask:0xf
	v_mov_b32_dpp v44, v42 row_shr:1 row_mask:0xf bank_mask:0xf
	s_and_saveexec_b32 s16, s10
; %bb.49:                               ;   in Loop: Header=BB56_14 Depth=1
	s_delay_alu instid0(VALU_DEP_1)
	v_add_f64 v[41:42], v[41:42], v[43:44]
; %bb.50:                               ;   in Loop: Header=BB56_14 Depth=1
	s_or_b32 exec_lo, exec_lo, s16
	s_delay_alu instid0(VALU_DEP_1) | instskip(NEXT) | instid1(VALU_DEP_2)
	v_mov_b32_dpp v43, v41 row_shr:2 row_mask:0xf bank_mask:0xf
	v_mov_b32_dpp v44, v42 row_shr:2 row_mask:0xf bank_mask:0xf
	s_and_saveexec_b32 s16, s11
; %bb.51:                               ;   in Loop: Header=BB56_14 Depth=1
	s_delay_alu instid0(VALU_DEP_1)
	v_add_f64 v[41:42], v[41:42], v[43:44]
; %bb.52:                               ;   in Loop: Header=BB56_14 Depth=1
	s_or_b32 exec_lo, exec_lo, s16
	s_delay_alu instid0(VALU_DEP_1) | instskip(NEXT) | instid1(VALU_DEP_2)
	v_mov_b32_dpp v43, v41 row_shr:4 row_mask:0xf bank_mask:0xf
	v_mov_b32_dpp v44, v42 row_shr:4 row_mask:0xf bank_mask:0xf
	s_and_saveexec_b32 s16, s12
; %bb.53:                               ;   in Loop: Header=BB56_14 Depth=1
	s_delay_alu instid0(VALU_DEP_1)
	v_add_f64 v[41:42], v[41:42], v[43:44]
; %bb.54:                               ;   in Loop: Header=BB56_14 Depth=1
	s_or_b32 exec_lo, exec_lo, s16
	ds_store_b64 v73, v[41:42]
.LBB56_55:                              ;   in Loop: Header=BB56_14 Depth=1
	s_or_b32 exec_lo, exec_lo, s14
	s_waitcnt lgkmcnt(0)
	s_barrier
	buffer_gl0_inv
                                        ; implicit-def: $vgpr41_vgpr42
	s_and_saveexec_b32 s14, s1
	s_cbranch_execz .LBB56_57
; %bb.56:                               ;   in Loop: Header=BB56_14 Depth=1
	ds_load_b64 v[41:42], v108
	s_waitcnt lgkmcnt(0)
	v_add_f64 v[0:1], v[0:1], v[41:42]
.LBB56_57:                              ;   in Loop: Header=BB56_14 Depth=1
	s_or_b32 exec_lo, exec_lo, s14
	ds_bpermute_b32 v43, v109, v0
	ds_bpermute_b32 v44, v109, v1
	s_and_saveexec_b32 s14, s2
	s_cbranch_execz .LBB56_61
; %bb.58:                               ;   in Loop: Header=BB56_14 Depth=1
	ds_load_b64 v[0:1], v2 offset:56
	s_and_saveexec_b32 s16, s13
	s_cbranch_execz .LBB56_60
; %bb.59:                               ;   in Loop: Header=BB56_14 Depth=1
	ds_store_b64 v2, v[35:36] offset:56
.LBB56_60:                              ;   in Loop: Header=BB56_14 Depth=1
	s_or_b32 exec_lo, exec_lo, s16
	s_waitcnt lgkmcnt(0)
	v_add_f64 v[35:36], v[35:36], v[0:1]
.LBB56_61:                              ;   in Loop: Header=BB56_14 Depth=1
	s_or_b32 exec_lo, exec_lo, s14
	s_waitcnt lgkmcnt(0)
	v_cndmask_b32_e64 v1, v44, v42, s0
	v_cndmask_b32_e64 v0, v43, v41, s0
	s_barrier
	buffer_gl0_inv
	ds_load_b64 v[41:42], v2 offset:56
	v_add_f64 v[0:1], v[3:4], v[0:1]
	s_and_b32 vcc_lo, exec_lo, s15
	s_waitcnt lgkmcnt(0)
	s_barrier
	buffer_gl0_inv
	v_cndmask_b32_e64 v1, v1, v4, s13
	v_cndmask_b32_e64 v0, v0, v3, s13
	s_delay_alu instid0(VALU_DEP_1) | instskip(NEXT) | instid1(VALU_DEP_1)
	v_add_f64 v[51:52], v[0:1], v[41:42]
	v_add_f64 v[53:54], v[5:6], v[51:52]
	s_delay_alu instid0(VALU_DEP_1) | instskip(NEXT) | instid1(VALU_DEP_1)
	v_add_f64 v[47:48], v[7:8], v[53:54]
	v_add_f64 v[49:50], v[9:10], v[47:48]
	;; [unrolled: 3-line block ×8, first 2 shown]
	s_cbranch_vccz .LBB56_82
; %bb.62:                               ;   in Loop: Header=BB56_14 Depth=1
	ds_store_2addr_b64 v106, v[51:52], v[53:54] offset1:1
	ds_store_2addr_b64 v106, v[47:48], v[49:50] offset0:2 offset1:3
	ds_store_2addr_b64 v106, v[43:44], v[45:46] offset0:4 offset1:5
	;; [unrolled: 1-line block ×7, first 2 shown]
	; wave barrier
	ds_load_b64 v[71:72], v90
	ds_load_b64 v[69:70], v91
	;; [unrolled: 1-line block ×16, first 2 shown]
	v_add_co_u32 v23, vcc_lo, v37, v110
	v_add_co_ci_u32_e32 v24, vcc_lo, 0, v38, vcc_lo
	s_mov_b32 s14, exec_lo
	v_cmpx_gt_u32_e64 s22, v74
	s_cbranch_execnz .LBB56_85
; %bb.63:                               ;   in Loop: Header=BB56_14 Depth=1
	s_or_b32 exec_lo, exec_lo, s14
	s_delay_alu instid0(SALU_CYCLE_1)
	s_mov_b32 s14, exec_lo
	v_cmpx_gt_u32_e64 s22, v75
	s_cbranch_execnz .LBB56_86
.LBB56_64:                              ;   in Loop: Header=BB56_14 Depth=1
	s_or_b32 exec_lo, exec_lo, s14
	s_delay_alu instid0(SALU_CYCLE_1)
	s_mov_b32 s14, exec_lo
	v_cmpx_gt_u32_e64 s22, v76
	s_cbranch_execnz .LBB56_87
.LBB56_65:                              ;   in Loop: Header=BB56_14 Depth=1
	s_or_b32 exec_lo, exec_lo, s14
	s_delay_alu instid0(SALU_CYCLE_1)
	s_mov_b32 s14, exec_lo
	v_cmpx_gt_u32_e64 s22, v77
	s_cbranch_execnz .LBB56_88
.LBB56_66:                              ;   in Loop: Header=BB56_14 Depth=1
	s_or_b32 exec_lo, exec_lo, s14
	s_delay_alu instid0(SALU_CYCLE_1)
	s_mov_b32 s14, exec_lo
	v_cmpx_gt_u32_e64 s22, v78
	s_cbranch_execnz .LBB56_89
.LBB56_67:                              ;   in Loop: Header=BB56_14 Depth=1
	s_or_b32 exec_lo, exec_lo, s14
	s_delay_alu instid0(SALU_CYCLE_1)
	s_mov_b32 s14, exec_lo
	v_cmpx_gt_u32_e64 s22, v79
	s_cbranch_execnz .LBB56_90
.LBB56_68:                              ;   in Loop: Header=BB56_14 Depth=1
	s_or_b32 exec_lo, exec_lo, s14
	s_delay_alu instid0(SALU_CYCLE_1)
	s_mov_b32 s14, exec_lo
	v_cmpx_gt_u32_e64 s22, v80
	s_cbranch_execnz .LBB56_91
.LBB56_69:                              ;   in Loop: Header=BB56_14 Depth=1
	s_or_b32 exec_lo, exec_lo, s14
	s_delay_alu instid0(SALU_CYCLE_1)
	s_mov_b32 s14, exec_lo
	v_cmpx_gt_u32_e64 s22, v81
	s_cbranch_execnz .LBB56_92
.LBB56_70:                              ;   in Loop: Header=BB56_14 Depth=1
	s_or_b32 exec_lo, exec_lo, s14
	s_delay_alu instid0(SALU_CYCLE_1)
	s_mov_b32 s14, exec_lo
	v_cmpx_gt_u32_e64 s22, v82
	s_cbranch_execnz .LBB56_93
.LBB56_71:                              ;   in Loop: Header=BB56_14 Depth=1
	s_or_b32 exec_lo, exec_lo, s14
	s_delay_alu instid0(SALU_CYCLE_1)
	s_mov_b32 s14, exec_lo
	v_cmpx_gt_u32_e64 s22, v83
	s_cbranch_execnz .LBB56_94
.LBB56_72:                              ;   in Loop: Header=BB56_14 Depth=1
	s_or_b32 exec_lo, exec_lo, s14
	s_delay_alu instid0(SALU_CYCLE_1)
	s_mov_b32 s14, exec_lo
	v_cmpx_gt_u32_e64 s22, v84
	s_cbranch_execnz .LBB56_95
.LBB56_73:                              ;   in Loop: Header=BB56_14 Depth=1
	s_or_b32 exec_lo, exec_lo, s14
	s_delay_alu instid0(SALU_CYCLE_1)
	s_mov_b32 s14, exec_lo
	v_cmpx_gt_u32_e64 s22, v85
	s_cbranch_execnz .LBB56_96
.LBB56_74:                              ;   in Loop: Header=BB56_14 Depth=1
	s_or_b32 exec_lo, exec_lo, s14
	s_delay_alu instid0(SALU_CYCLE_1)
	s_mov_b32 s14, exec_lo
	v_cmpx_gt_u32_e64 s22, v86
	s_cbranch_execnz .LBB56_97
.LBB56_75:                              ;   in Loop: Header=BB56_14 Depth=1
	s_or_b32 exec_lo, exec_lo, s14
	s_delay_alu instid0(SALU_CYCLE_1)
	s_mov_b32 s14, exec_lo
	v_cmpx_gt_u32_e64 s22, v87
	s_cbranch_execnz .LBB56_98
.LBB56_76:                              ;   in Loop: Header=BB56_14 Depth=1
	s_or_b32 exec_lo, exec_lo, s14
	s_delay_alu instid0(SALU_CYCLE_1)
	s_mov_b32 s14, exec_lo
	v_cmpx_gt_u32_e64 s22, v88
	s_cbranch_execz .LBB56_78
.LBB56_77:                              ;   in Loop: Header=BB56_14 Depth=1
	s_waitcnt lgkmcnt(1)
	global_store_b64 v[23:24], v[21:22], off offset:-256
.LBB56_78:                              ;   in Loop: Header=BB56_14 Depth=1
	s_or_b32 exec_lo, exec_lo, s14
	v_cmp_gt_u32_e64 s14, s22, v89
	s_branch .LBB56_80
.LBB56_79:                              ;   in Loop: Header=BB56_14 Depth=1
	ds_store_2addr_b64 v106, v[51:52], v[53:54] offset1:1
	ds_store_2addr_b64 v106, v[47:48], v[49:50] offset0:2 offset1:3
	ds_store_2addr_b64 v106, v[43:44], v[45:46] offset0:4 offset1:5
	;; [unrolled: 1-line block ×7, first 2 shown]
	; wave barrier
	ds_load_b64 v[0:1], v90
	ds_load_b64 v[3:4], v91
	;; [unrolled: 1-line block ×9, first 2 shown]
	s_waitcnt lgkmcnt(18)
	ds_load_b64 v[21:22], v99
	ds_load_b64 v[23:24], v100
	;; [unrolled: 1-line block ×6, first 2 shown]
	s_waitcnt lgkmcnt(23)
	ds_load_b64 v[19:20], v105
	v_add_co_u32 v27, vcc_lo, v37, v110
	v_add_co_ci_u32_e32 v28, vcc_lo, 0, v38, vcc_lo
	s_or_b32 s14, s14, exec_lo
	s_waitcnt lgkmcnt(15)
	global_store_b64 v[27:28], v[0:1], off offset:-3840
	s_waitcnt lgkmcnt(14)
	global_store_b64 v[27:28], v[3:4], off offset:-3584
	;; [unrolled: 2-line block ×15, first 2 shown]
.LBB56_80:                              ;   in Loop: Header=BB56_14 Depth=1
	s_delay_alu instid0(VALU_DEP_1)
	s_and_saveexec_b32 s15, s14
	s_cbranch_execnz .LBB56_83
; %bb.81:                               ;   in Loop: Header=BB56_14 Depth=1
	s_or_b32 exec_lo, exec_lo, s15
	v_cmp_gt_i64_e64 s14, 0x1001, s[22:23]
	s_delay_alu instid0(VALU_DEP_1)
	s_and_b32 vcc_lo, exec_lo, s14
	s_cbranch_vccz .LBB56_13
	s_branch .LBB56_84
.LBB56_82:                              ;   in Loop: Header=BB56_14 Depth=1
	s_mov_b32 s14, 0
                                        ; implicit-def: $vgpr19_vgpr20
	s_cbranch_execnz .LBB56_79
	s_branch .LBB56_80
.LBB56_83:                              ;   in Loop: Header=BB56_14 Depth=1
	v_add_co_u32 v0, vcc_lo, v37, v110
	v_add_co_ci_u32_e32 v1, vcc_lo, 0, v38, vcc_lo
	s_waitcnt lgkmcnt(0)
	global_store_b64 v[0:1], v[19:20], off
	s_or_b32 exec_lo, exec_lo, s15
	v_cmp_gt_i64_e64 s14, 0x1001, s[22:23]
	s_delay_alu instid0(VALU_DEP_1)
	s_and_b32 vcc_lo, exec_lo, s14
	s_cbranch_vccz .LBB56_13
.LBB56_84:
                                        ; implicit-def: $vgpr35_vgpr36
                                        ; implicit-def: $sgpr22_sgpr23
                                        ; implicit-def: $sgpr26
                                        ; implicit-def: $vgpr37_vgpr38
                                        ; implicit-def: $vgpr39_vgpr40
	s_branch .LBB56_114
.LBB56_85:                              ;   in Loop: Header=BB56_14 Depth=1
	s_waitcnt lgkmcnt(15)
	global_store_b64 v[23:24], v[71:72], off offset:-3840
	s_or_b32 exec_lo, exec_lo, s14
	s_delay_alu instid0(SALU_CYCLE_1)
	s_mov_b32 s14, exec_lo
	v_cmpx_gt_u32_e64 s22, v75
	s_cbranch_execz .LBB56_64
.LBB56_86:                              ;   in Loop: Header=BB56_14 Depth=1
	s_waitcnt lgkmcnt(14)
	global_store_b64 v[23:24], v[69:70], off offset:-3584
	s_or_b32 exec_lo, exec_lo, s14
	s_delay_alu instid0(SALU_CYCLE_1)
	s_mov_b32 s14, exec_lo
	v_cmpx_gt_u32_e64 s22, v76
	s_cbranch_execz .LBB56_65
.LBB56_87:                              ;   in Loop: Header=BB56_14 Depth=1
	s_waitcnt lgkmcnt(13)
	global_store_b64 v[23:24], v[67:68], off offset:-3328
	s_or_b32 exec_lo, exec_lo, s14
	s_delay_alu instid0(SALU_CYCLE_1)
	s_mov_b32 s14, exec_lo
	v_cmpx_gt_u32_e64 s22, v77
	s_cbranch_execz .LBB56_66
.LBB56_88:                              ;   in Loop: Header=BB56_14 Depth=1
	s_waitcnt lgkmcnt(12)
	global_store_b64 v[23:24], v[65:66], off offset:-3072
	s_or_b32 exec_lo, exec_lo, s14
	s_delay_alu instid0(SALU_CYCLE_1)
	s_mov_b32 s14, exec_lo
	v_cmpx_gt_u32_e64 s22, v78
	s_cbranch_execz .LBB56_67
.LBB56_89:                              ;   in Loop: Header=BB56_14 Depth=1
	s_waitcnt lgkmcnt(11)
	global_store_b64 v[23:24], v[63:64], off offset:-2816
	s_or_b32 exec_lo, exec_lo, s14
	s_delay_alu instid0(SALU_CYCLE_1)
	s_mov_b32 s14, exec_lo
	v_cmpx_gt_u32_e64 s22, v79
	s_cbranch_execz .LBB56_68
.LBB56_90:                              ;   in Loop: Header=BB56_14 Depth=1
	s_waitcnt lgkmcnt(10)
	global_store_b64 v[23:24], v[61:62], off offset:-2560
	s_or_b32 exec_lo, exec_lo, s14
	s_delay_alu instid0(SALU_CYCLE_1)
	s_mov_b32 s14, exec_lo
	v_cmpx_gt_u32_e64 s22, v80
	s_cbranch_execz .LBB56_69
.LBB56_91:                              ;   in Loop: Header=BB56_14 Depth=1
	s_waitcnt lgkmcnt(9)
	global_store_b64 v[23:24], v[59:60], off offset:-2304
	s_or_b32 exec_lo, exec_lo, s14
	s_delay_alu instid0(SALU_CYCLE_1)
	s_mov_b32 s14, exec_lo
	v_cmpx_gt_u32_e64 s22, v81
	s_cbranch_execz .LBB56_70
.LBB56_92:                              ;   in Loop: Header=BB56_14 Depth=1
	s_waitcnt lgkmcnt(8)
	global_store_b64 v[23:24], v[57:58], off offset:-2048
	s_or_b32 exec_lo, exec_lo, s14
	s_delay_alu instid0(SALU_CYCLE_1)
	s_mov_b32 s14, exec_lo
	v_cmpx_gt_u32_e64 s22, v82
	s_cbranch_execz .LBB56_71
.LBB56_93:                              ;   in Loop: Header=BB56_14 Depth=1
	s_waitcnt lgkmcnt(7)
	global_store_b64 v[23:24], v[55:56], off offset:-1792
	s_or_b32 exec_lo, exec_lo, s14
	s_delay_alu instid0(SALU_CYCLE_1)
	s_mov_b32 s14, exec_lo
	v_cmpx_gt_u32_e64 s22, v83
	s_cbranch_execz .LBB56_72
.LBB56_94:                              ;   in Loop: Header=BB56_14 Depth=1
	s_waitcnt lgkmcnt(6)
	global_store_b64 v[23:24], v[33:34], off offset:-1536
	s_or_b32 exec_lo, exec_lo, s14
	s_delay_alu instid0(SALU_CYCLE_1)
	s_mov_b32 s14, exec_lo
	v_cmpx_gt_u32_e64 s22, v84
	s_cbranch_execz .LBB56_73
.LBB56_95:                              ;   in Loop: Header=BB56_14 Depth=1
	s_waitcnt lgkmcnt(5)
	global_store_b64 v[23:24], v[31:32], off offset:-1280
	s_or_b32 exec_lo, exec_lo, s14
	s_delay_alu instid0(SALU_CYCLE_1)
	s_mov_b32 s14, exec_lo
	v_cmpx_gt_u32_e64 s22, v85
	s_cbranch_execz .LBB56_74
.LBB56_96:                              ;   in Loop: Header=BB56_14 Depth=1
	s_waitcnt lgkmcnt(4)
	global_store_b64 v[23:24], v[29:30], off offset:-1024
	s_or_b32 exec_lo, exec_lo, s14
	s_delay_alu instid0(SALU_CYCLE_1)
	s_mov_b32 s14, exec_lo
	v_cmpx_gt_u32_e64 s22, v86
	s_cbranch_execz .LBB56_75
.LBB56_97:                              ;   in Loop: Header=BB56_14 Depth=1
	s_waitcnt lgkmcnt(3)
	global_store_b64 v[23:24], v[27:28], off offset:-768
	s_or_b32 exec_lo, exec_lo, s14
	s_delay_alu instid0(SALU_CYCLE_1)
	s_mov_b32 s14, exec_lo
	v_cmpx_gt_u32_e64 s22, v87
	s_cbranch_execz .LBB56_76
.LBB56_98:                              ;   in Loop: Header=BB56_14 Depth=1
	s_waitcnt lgkmcnt(2)
	global_store_b64 v[23:24], v[25:26], off offset:-512
	s_or_b32 exec_lo, exec_lo, s14
	s_delay_alu instid0(SALU_CYCLE_1)
	s_mov_b32 s14, exec_lo
	v_cmpx_gt_u32_e64 s22, v88
	s_cbranch_execnz .LBB56_77
	s_branch .LBB56_78
.LBB56_99:                              ;   in Loop: Header=BB56_14 Depth=1
	global_load_b64 v[0:1], v[41:42], off
	v_mov_b32_e32 v31, v2
	v_mov_b32_e32 v3, v2
	v_mov_b32_e32 v4, v2
	v_mov_b32_e32 v5, v2
	v_mov_b32_e32 v6, v2
	v_mov_b32_e32 v7, v2
	v_mov_b32_e32 v8, v2
	v_mov_b32_e32 v9, v2
	v_mov_b32_e32 v10, v2
	v_mov_b32_e32 v11, v2
	v_mov_b32_e32 v12, v2
	v_mov_b32_e32 v13, v2
	v_mov_b32_e32 v14, v2
	v_mov_b32_e32 v15, v2
	v_mov_b32_e32 v16, v2
	v_mov_b32_e32 v17, v2
	v_mov_b32_e32 v18, v2
	v_mov_b32_e32 v19, v2
	v_mov_b32_e32 v20, v2
	v_mov_b32_e32 v21, v2
	v_mov_b32_e32 v22, v2
	v_mov_b32_e32 v23, v2
	v_mov_b32_e32 v24, v2
	v_mov_b32_e32 v25, v2
	v_mov_b32_e32 v26, v2
	v_mov_b32_e32 v27, v2
	v_mov_b32_e32 v28, v2
	v_mov_b32_e32 v29, v2
	v_mov_b32_e32 v30, v2
	s_waitcnt vmcnt(0)
	v_mov_b32_e32 v34, v31
	s_delay_alu instid0(VALU_DEP_2)
	v_dual_mov_b32 v33, v30 :: v_dual_mov_b32 v32, v29
	v_mov_b32_e32 v31, v28
	v_mov_b32_e32 v30, v27
	;; [unrolled: 1-line block ×29, first 2 shown]
	s_or_b32 exec_lo, exec_lo, s16
	s_delay_alu instid0(SALU_CYCLE_1)
	s_mov_b32 s14, exec_lo
	v_cmpx_gt_u32_e64 s22, v75
	s_cbranch_execz .LBB56_17
.LBB56_100:                             ;   in Loop: Header=BB56_14 Depth=1
	global_load_b64 v[5:6], v[41:42], off offset:256
	s_or_b32 exec_lo, exec_lo, s14
	s_delay_alu instid0(SALU_CYCLE_1)
	s_mov_b32 s14, exec_lo
	v_cmpx_gt_u32_e64 s22, v76
	s_cbranch_execz .LBB56_18
.LBB56_101:                             ;   in Loop: Header=BB56_14 Depth=1
	global_load_b64 v[7:8], v[41:42], off offset:512
	s_or_b32 exec_lo, exec_lo, s14
	s_delay_alu instid0(SALU_CYCLE_1)
	s_mov_b32 s14, exec_lo
	v_cmpx_gt_u32_e64 s22, v77
	s_cbranch_execz .LBB56_19
.LBB56_102:                             ;   in Loop: Header=BB56_14 Depth=1
	global_load_b64 v[9:10], v[41:42], off offset:768
	s_or_b32 exec_lo, exec_lo, s14
	s_delay_alu instid0(SALU_CYCLE_1)
	s_mov_b32 s14, exec_lo
	v_cmpx_gt_u32_e64 s22, v78
	s_cbranch_execz .LBB56_20
.LBB56_103:                             ;   in Loop: Header=BB56_14 Depth=1
	global_load_b64 v[11:12], v[41:42], off offset:1024
	s_or_b32 exec_lo, exec_lo, s14
	s_delay_alu instid0(SALU_CYCLE_1)
	s_mov_b32 s14, exec_lo
	v_cmpx_gt_u32_e64 s22, v79
	s_cbranch_execz .LBB56_21
.LBB56_104:                             ;   in Loop: Header=BB56_14 Depth=1
	global_load_b64 v[13:14], v[41:42], off offset:1280
	s_or_b32 exec_lo, exec_lo, s14
	s_delay_alu instid0(SALU_CYCLE_1)
	s_mov_b32 s14, exec_lo
	v_cmpx_gt_u32_e64 s22, v80
	s_cbranch_execz .LBB56_22
.LBB56_105:                             ;   in Loop: Header=BB56_14 Depth=1
	global_load_b64 v[15:16], v[41:42], off offset:1536
	s_or_b32 exec_lo, exec_lo, s14
	s_delay_alu instid0(SALU_CYCLE_1)
	s_mov_b32 s14, exec_lo
	v_cmpx_gt_u32_e64 s22, v81
	s_cbranch_execz .LBB56_23
.LBB56_106:                             ;   in Loop: Header=BB56_14 Depth=1
	global_load_b64 v[17:18], v[41:42], off offset:1792
	s_or_b32 exec_lo, exec_lo, s14
	s_delay_alu instid0(SALU_CYCLE_1)
	s_mov_b32 s14, exec_lo
	v_cmpx_gt_u32_e64 s22, v82
	s_cbranch_execz .LBB56_24
.LBB56_107:                             ;   in Loop: Header=BB56_14 Depth=1
	global_load_b64 v[19:20], v[41:42], off offset:2048
	s_or_b32 exec_lo, exec_lo, s14
	s_delay_alu instid0(SALU_CYCLE_1)
	s_mov_b32 s14, exec_lo
	v_cmpx_gt_u32_e64 s22, v83
	s_cbranch_execz .LBB56_25
.LBB56_108:                             ;   in Loop: Header=BB56_14 Depth=1
	global_load_b64 v[21:22], v[41:42], off offset:2304
	s_or_b32 exec_lo, exec_lo, s14
	s_delay_alu instid0(SALU_CYCLE_1)
	s_mov_b32 s14, exec_lo
	v_cmpx_gt_u32_e64 s22, v84
	s_cbranch_execz .LBB56_26
.LBB56_109:                             ;   in Loop: Header=BB56_14 Depth=1
	global_load_b64 v[23:24], v[41:42], off offset:2560
	s_or_b32 exec_lo, exec_lo, s14
	s_delay_alu instid0(SALU_CYCLE_1)
	s_mov_b32 s14, exec_lo
	v_cmpx_gt_u32_e64 s22, v85
	s_cbranch_execz .LBB56_27
.LBB56_110:                             ;   in Loop: Header=BB56_14 Depth=1
	global_load_b64 v[25:26], v[41:42], off offset:2816
	s_or_b32 exec_lo, exec_lo, s14
	s_delay_alu instid0(SALU_CYCLE_1)
	s_mov_b32 s14, exec_lo
	v_cmpx_gt_u32_e64 s22, v86
	s_cbranch_execz .LBB56_28
.LBB56_111:                             ;   in Loop: Header=BB56_14 Depth=1
	global_load_b64 v[27:28], v[41:42], off offset:3072
	s_or_b32 exec_lo, exec_lo, s14
	s_delay_alu instid0(SALU_CYCLE_1)
	s_mov_b32 s14, exec_lo
	v_cmpx_gt_u32_e64 s22, v87
	s_cbranch_execz .LBB56_29
.LBB56_112:                             ;   in Loop: Header=BB56_14 Depth=1
	global_load_b64 v[29:30], v[41:42], off offset:3328
	s_or_b32 exec_lo, exec_lo, s14
	s_delay_alu instid0(SALU_CYCLE_1)
	s_mov_b32 s14, exec_lo
	v_cmpx_gt_u32_e64 s22, v88
	s_cbranch_execz .LBB56_30
.LBB56_113:                             ;   in Loop: Header=BB56_14 Depth=1
	global_load_b64 v[31:32], v[41:42], off offset:3584
	s_or_b32 exec_lo, exec_lo, s14
	s_delay_alu instid0(SALU_CYCLE_1)
	s_mov_b32 s14, exec_lo
	v_cmpx_gt_u32_e64 s22, v89
	s_cbranch_execnz .LBB56_31
	s_branch .LBB56_32
.LBB56_114:
	s_nop 0
	s_sendmsg sendmsg(MSG_DEALLOC_VGPRS)
	s_endpgm
	.section	.rodata,"a",@progbits
	.p2align	6, 0x0
	.amdhsa_kernel _ZN2at4cuda3cub17final_scan_kernelILi256ELi16EdEEvPKT1_PS3_S6_li
		.amdhsa_group_segment_fixed_size 33792
		.amdhsa_private_segment_fixed_size 0
		.amdhsa_kernarg_size 296
		.amdhsa_user_sgpr_count 15
		.amdhsa_user_sgpr_dispatch_ptr 0
		.amdhsa_user_sgpr_queue_ptr 0
		.amdhsa_user_sgpr_kernarg_segment_ptr 1
		.amdhsa_user_sgpr_dispatch_id 0
		.amdhsa_user_sgpr_private_segment_size 0
		.amdhsa_wavefront_size32 1
		.amdhsa_uses_dynamic_stack 0
		.amdhsa_enable_private_segment 0
		.amdhsa_system_sgpr_workgroup_id_x 1
		.amdhsa_system_sgpr_workgroup_id_y 0
		.amdhsa_system_sgpr_workgroup_id_z 0
		.amdhsa_system_sgpr_workgroup_info 0
		.amdhsa_system_vgpr_workitem_id 0
		.amdhsa_next_free_vgpr 111
		.amdhsa_next_free_sgpr 68
		.amdhsa_reserve_vcc 1
		.amdhsa_float_round_mode_32 0
		.amdhsa_float_round_mode_16_64 0
		.amdhsa_float_denorm_mode_32 3
		.amdhsa_float_denorm_mode_16_64 3
		.amdhsa_dx10_clamp 1
		.amdhsa_ieee_mode 1
		.amdhsa_fp16_overflow 0
		.amdhsa_workgroup_processor_mode 1
		.amdhsa_memory_ordered 1
		.amdhsa_forward_progress 0
		.amdhsa_shared_vgpr_count 0
		.amdhsa_exception_fp_ieee_invalid_op 0
		.amdhsa_exception_fp_denorm_src 0
		.amdhsa_exception_fp_ieee_div_zero 0
		.amdhsa_exception_fp_ieee_overflow 0
		.amdhsa_exception_fp_ieee_underflow 0
		.amdhsa_exception_fp_ieee_inexact 0
		.amdhsa_exception_int_div_zero 0
	.end_amdhsa_kernel
	.section	.text._ZN2at4cuda3cub17final_scan_kernelILi256ELi16EdEEvPKT1_PS3_S6_li,"axG",@progbits,_ZN2at4cuda3cub17final_scan_kernelILi256ELi16EdEEvPKT1_PS3_S6_li,comdat
.Lfunc_end56:
	.size	_ZN2at4cuda3cub17final_scan_kernelILi256ELi16EdEEvPKT1_PS3_S6_li, .Lfunc_end56-_ZN2at4cuda3cub17final_scan_kernelILi256ELi16EdEEvPKT1_PS3_S6_li
                                        ; -- End function
	.section	.AMDGPU.csdata,"",@progbits
; Kernel info:
; codeLenInByte = 5924
; NumSgprs: 70
; NumVgprs: 111
; ScratchSize: 0
; MemoryBound: 1
; FloatMode: 240
; IeeeMode: 1
; LDSByteSize: 33792 bytes/workgroup (compile time only)
; SGPRBlocks: 8
; VGPRBlocks: 13
; NumSGPRsForWavesPerEU: 70
; NumVGPRsForWavesPerEU: 111
; Occupancy: 12
; WaveLimiterHint : 1
; COMPUTE_PGM_RSRC2:SCRATCH_EN: 0
; COMPUTE_PGM_RSRC2:USER_SGPR: 15
; COMPUTE_PGM_RSRC2:TRAP_HANDLER: 0
; COMPUTE_PGM_RSRC2:TGID_X_EN: 1
; COMPUTE_PGM_RSRC2:TGID_Y_EN: 0
; COMPUTE_PGM_RSRC2:TGID_Z_EN: 0
; COMPUTE_PGM_RSRC2:TIDIG_COMP_CNT: 0
	.section	.text._ZN7rocprim17ROCPRIM_304000_NS6detail31init_lookback_scan_state_kernelINS1_19lookback_scan_stateIdLb1ELb1EEEEEvT_jjPNS5_10value_typeE,"axG",@progbits,_ZN7rocprim17ROCPRIM_304000_NS6detail31init_lookback_scan_state_kernelINS1_19lookback_scan_stateIdLb1ELb1EEEEEvT_jjPNS5_10value_typeE,comdat
	.protected	_ZN7rocprim17ROCPRIM_304000_NS6detail31init_lookback_scan_state_kernelINS1_19lookback_scan_stateIdLb1ELb1EEEEEvT_jjPNS5_10value_typeE ; -- Begin function _ZN7rocprim17ROCPRIM_304000_NS6detail31init_lookback_scan_state_kernelINS1_19lookback_scan_stateIdLb1ELb1EEEEEvT_jjPNS5_10value_typeE
	.globl	_ZN7rocprim17ROCPRIM_304000_NS6detail31init_lookback_scan_state_kernelINS1_19lookback_scan_stateIdLb1ELb1EEEEEvT_jjPNS5_10value_typeE
	.p2align	8
	.type	_ZN7rocprim17ROCPRIM_304000_NS6detail31init_lookback_scan_state_kernelINS1_19lookback_scan_stateIdLb1ELb1EEEEEvT_jjPNS5_10value_typeE,@function
_ZN7rocprim17ROCPRIM_304000_NS6detail31init_lookback_scan_state_kernelINS1_19lookback_scan_stateIdLb1ELb1EEEEEvT_jjPNS5_10value_typeE: ; @_ZN7rocprim17ROCPRIM_304000_NS6detail31init_lookback_scan_state_kernelINS1_19lookback_scan_stateIdLb1ELb1EEEEEvT_jjPNS5_10value_typeE
; %bb.0:
	s_clause 0x2
	s_load_b32 s6, s[0:1], 0x24
	s_load_b64 s[4:5], s[0:1], 0x10
	s_load_b128 s[0:3], s[0:1], 0x0
	s_waitcnt lgkmcnt(0)
	s_and_b32 s6, s6, 0xffff
	s_cmp_eq_u64 s[4:5], 0
	v_mad_u64_u32 v[1:2], null, s15, s6, v[0:1]
	s_cbranch_scc1 .LBB57_10
; %bb.1:
	s_cmp_lt_u32 s3, s2
	s_mov_b32 s7, 0
	s_cselect_b32 s6, s3, 0
	s_mov_b32 s8, exec_lo
	s_delay_alu instid0(VALU_DEP_1)
	v_cmpx_eq_u32_e64 s6, v1
	s_cbranch_execz .LBB57_9
; %bb.2:
	s_add_i32 s6, s3, 32
	s_mov_b32 s3, exec_lo
	s_lshl_b64 s[6:7], s[6:7], 4
	v_mov_b32_e32 v6, 0
	s_add_u32 s6, s0, s6
	s_addc_u32 s7, s1, s7
	s_delay_alu instid0(SALU_CYCLE_1) | instskip(SKIP_2) | instid1(VALU_DEP_1)
	v_dual_mov_b32 v2, s6 :: v_dual_mov_b32 v3, s7
	;;#ASMSTART
	global_load_dwordx4 v[2:5], v[2:3] off glc	
s_waitcnt vmcnt(0)
	;;#ASMEND
	v_and_b32_e32 v5, 0xff, v4
	v_cmpx_eq_u64_e32 0, v[5:6]
	s_cbranch_execz .LBB57_8
; %bb.3:
	v_dual_mov_b32 v8, s7 :: v_dual_mov_b32 v7, s6
	s_mov_b32 s7, 1
	s_mov_b32 s6, 0
	.p2align	6
.LBB57_4:                               ; =>This Loop Header: Depth=1
                                        ;     Child Loop BB57_5 Depth 2
	s_max_u32 s9, s7, 1
.LBB57_5:                               ;   Parent Loop BB57_4 Depth=1
                                        ; =>  This Inner Loop Header: Depth=2
	s_delay_alu instid0(SALU_CYCLE_1)
	s_add_i32 s9, s9, -1
	s_sleep 1
	s_cmp_eq_u32 s9, 0
	s_cbranch_scc0 .LBB57_5
; %bb.6:                                ;   in Loop: Header=BB57_4 Depth=1
	;;#ASMSTART
	global_load_dwordx4 v[2:5], v[7:8] off glc	
s_waitcnt vmcnt(0)
	;;#ASMEND
	v_and_b32_e32 v5, 0xff, v4
	s_cmp_lt_u32 s7, 32
	s_cselect_b32 s9, -1, 0
	s_delay_alu instid0(SALU_CYCLE_1) | instskip(NEXT) | instid1(VALU_DEP_1)
	s_cmp_lg_u32 s9, 0
	v_cmp_ne_u64_e32 vcc_lo, 0, v[5:6]
	s_addc_u32 s7, s7, 0
	s_or_b32 s6, vcc_lo, s6
	s_delay_alu instid0(SALU_CYCLE_1)
	s_and_not1_b32 exec_lo, exec_lo, s6
	s_cbranch_execnz .LBB57_4
; %bb.7:
	s_or_b32 exec_lo, exec_lo, s6
.LBB57_8:
	s_delay_alu instid0(SALU_CYCLE_1)
	s_or_b32 exec_lo, exec_lo, s3
	v_mov_b32_e32 v0, 0
	global_store_b64 v0, v[2:3], s[4:5]
.LBB57_9:
	s_or_b32 exec_lo, exec_lo, s8
.LBB57_10:
	s_delay_alu instid0(VALU_DEP_1)
	v_cmp_gt_u32_e32 vcc_lo, s2, v1
	s_and_saveexec_b32 s2, vcc_lo
	s_cbranch_execz .LBB57_12
; %bb.11:
	v_dual_mov_b32 v3, 0 :: v_dual_add_nc_u32 v2, 32, v1
	s_delay_alu instid0(VALU_DEP_1) | instskip(SKIP_2) | instid1(VALU_DEP_3)
	v_lshlrev_b64 v[5:6], 4, v[2:3]
	v_mov_b32_e32 v2, v3
	v_mov_b32_e32 v4, v3
	v_add_co_u32 v7, vcc_lo, s0, v5
	s_delay_alu instid0(VALU_DEP_4)
	v_add_co_ci_u32_e32 v8, vcc_lo, s1, v6, vcc_lo
	v_mov_b32_e32 v5, v3
	global_store_b128 v[7:8], v[2:5], off
.LBB57_12:
	s_or_b32 exec_lo, exec_lo, s2
	s_delay_alu instid0(SALU_CYCLE_1)
	s_mov_b32 s2, exec_lo
	v_cmpx_gt_u32_e32 32, v1
	s_cbranch_execz .LBB57_14
; %bb.13:
	v_dual_mov_b32 v2, 0 :: v_dual_mov_b32 v3, 0xff
	s_delay_alu instid0(VALU_DEP_1) | instskip(SKIP_1) | instid1(VALU_DEP_2)
	v_lshlrev_b64 v[4:5], 4, v[1:2]
	v_mov_b32_e32 v1, v2
	v_add_co_u32 v6, vcc_lo, s0, v4
	s_delay_alu instid0(VALU_DEP_3)
	v_add_co_ci_u32_e32 v7, vcc_lo, s1, v5, vcc_lo
	v_mov_b32_e32 v4, v2
	global_store_b128 v[6:7], v[1:4], off
.LBB57_14:
	s_nop 0
	s_sendmsg sendmsg(MSG_DEALLOC_VGPRS)
	s_endpgm
	.section	.rodata,"a",@progbits
	.p2align	6, 0x0
	.amdhsa_kernel _ZN7rocprim17ROCPRIM_304000_NS6detail31init_lookback_scan_state_kernelINS1_19lookback_scan_stateIdLb1ELb1EEEEEvT_jjPNS5_10value_typeE
		.amdhsa_group_segment_fixed_size 0
		.amdhsa_private_segment_fixed_size 0
		.amdhsa_kernarg_size 280
		.amdhsa_user_sgpr_count 15
		.amdhsa_user_sgpr_dispatch_ptr 0
		.amdhsa_user_sgpr_queue_ptr 0
		.amdhsa_user_sgpr_kernarg_segment_ptr 1
		.amdhsa_user_sgpr_dispatch_id 0
		.amdhsa_user_sgpr_private_segment_size 0
		.amdhsa_wavefront_size32 1
		.amdhsa_uses_dynamic_stack 0
		.amdhsa_enable_private_segment 0
		.amdhsa_system_sgpr_workgroup_id_x 1
		.amdhsa_system_sgpr_workgroup_id_y 0
		.amdhsa_system_sgpr_workgroup_id_z 0
		.amdhsa_system_sgpr_workgroup_info 0
		.amdhsa_system_vgpr_workitem_id 0
		.amdhsa_next_free_vgpr 9
		.amdhsa_next_free_sgpr 16
		.amdhsa_reserve_vcc 1
		.amdhsa_float_round_mode_32 0
		.amdhsa_float_round_mode_16_64 0
		.amdhsa_float_denorm_mode_32 3
		.amdhsa_float_denorm_mode_16_64 3
		.amdhsa_dx10_clamp 1
		.amdhsa_ieee_mode 1
		.amdhsa_fp16_overflow 0
		.amdhsa_workgroup_processor_mode 1
		.amdhsa_memory_ordered 1
		.amdhsa_forward_progress 0
		.amdhsa_shared_vgpr_count 0
		.amdhsa_exception_fp_ieee_invalid_op 0
		.amdhsa_exception_fp_denorm_src 0
		.amdhsa_exception_fp_ieee_div_zero 0
		.amdhsa_exception_fp_ieee_overflow 0
		.amdhsa_exception_fp_ieee_underflow 0
		.amdhsa_exception_fp_ieee_inexact 0
		.amdhsa_exception_int_div_zero 0
	.end_amdhsa_kernel
	.section	.text._ZN7rocprim17ROCPRIM_304000_NS6detail31init_lookback_scan_state_kernelINS1_19lookback_scan_stateIdLb1ELb1EEEEEvT_jjPNS5_10value_typeE,"axG",@progbits,_ZN7rocprim17ROCPRIM_304000_NS6detail31init_lookback_scan_state_kernelINS1_19lookback_scan_stateIdLb1ELb1EEEEEvT_jjPNS5_10value_typeE,comdat
.Lfunc_end57:
	.size	_ZN7rocprim17ROCPRIM_304000_NS6detail31init_lookback_scan_state_kernelINS1_19lookback_scan_stateIdLb1ELb1EEEEEvT_jjPNS5_10value_typeE, .Lfunc_end57-_ZN7rocprim17ROCPRIM_304000_NS6detail31init_lookback_scan_state_kernelINS1_19lookback_scan_stateIdLb1ELb1EEEEEvT_jjPNS5_10value_typeE
                                        ; -- End function
	.section	.AMDGPU.csdata,"",@progbits
; Kernel info:
; codeLenInByte = 496
; NumSgprs: 18
; NumVgprs: 9
; ScratchSize: 0
; MemoryBound: 0
; FloatMode: 240
; IeeeMode: 1
; LDSByteSize: 0 bytes/workgroup (compile time only)
; SGPRBlocks: 2
; VGPRBlocks: 1
; NumSGPRsForWavesPerEU: 18
; NumVGPRsForWavesPerEU: 9
; Occupancy: 16
; WaveLimiterHint : 0
; COMPUTE_PGM_RSRC2:SCRATCH_EN: 0
; COMPUTE_PGM_RSRC2:USER_SGPR: 15
; COMPUTE_PGM_RSRC2:TRAP_HANDLER: 0
; COMPUTE_PGM_RSRC2:TGID_X_EN: 1
; COMPUTE_PGM_RSRC2:TGID_Y_EN: 0
; COMPUTE_PGM_RSRC2:TGID_Z_EN: 0
; COMPUTE_PGM_RSRC2:TIDIG_COMP_CNT: 0
	.section	.text._ZN7rocprim17ROCPRIM_304000_NS6detail31init_lookback_scan_state_kernelINS1_19lookback_scan_stateIdLb0ELb1EEEEEvT_jjPNS5_10value_typeE,"axG",@progbits,_ZN7rocprim17ROCPRIM_304000_NS6detail31init_lookback_scan_state_kernelINS1_19lookback_scan_stateIdLb0ELb1EEEEEvT_jjPNS5_10value_typeE,comdat
	.protected	_ZN7rocprim17ROCPRIM_304000_NS6detail31init_lookback_scan_state_kernelINS1_19lookback_scan_stateIdLb0ELb1EEEEEvT_jjPNS5_10value_typeE ; -- Begin function _ZN7rocprim17ROCPRIM_304000_NS6detail31init_lookback_scan_state_kernelINS1_19lookback_scan_stateIdLb0ELb1EEEEEvT_jjPNS5_10value_typeE
	.globl	_ZN7rocprim17ROCPRIM_304000_NS6detail31init_lookback_scan_state_kernelINS1_19lookback_scan_stateIdLb0ELb1EEEEEvT_jjPNS5_10value_typeE
	.p2align	8
	.type	_ZN7rocprim17ROCPRIM_304000_NS6detail31init_lookback_scan_state_kernelINS1_19lookback_scan_stateIdLb0ELb1EEEEEvT_jjPNS5_10value_typeE,@function
_ZN7rocprim17ROCPRIM_304000_NS6detail31init_lookback_scan_state_kernelINS1_19lookback_scan_stateIdLb0ELb1EEEEEvT_jjPNS5_10value_typeE: ; @_ZN7rocprim17ROCPRIM_304000_NS6detail31init_lookback_scan_state_kernelINS1_19lookback_scan_stateIdLb0ELb1EEEEEvT_jjPNS5_10value_typeE
; %bb.0:
	s_clause 0x2
	s_load_b32 s6, s[0:1], 0x24
	s_load_b64 s[4:5], s[0:1], 0x10
	s_load_b128 s[0:3], s[0:1], 0x0
	s_waitcnt lgkmcnt(0)
	s_and_b32 s6, s6, 0xffff
	s_cmp_eq_u64 s[4:5], 0
	v_mad_u64_u32 v[1:2], null, s15, s6, v[0:1]
	s_cbranch_scc1 .LBB58_8
; %bb.1:
	s_cmp_lt_u32 s3, s2
	s_mov_b32 s7, 0
	s_cselect_b32 s6, s3, 0
	s_mov_b32 s8, exec_lo
	s_delay_alu instid0(VALU_DEP_1)
	v_cmpx_eq_u32_e64 s6, v1
	s_cbranch_execz .LBB58_7
; %bb.2:
	s_add_i32 s6, s3, 32
	s_mov_b32 s3, exec_lo
	s_lshl_b64 s[6:7], s[6:7], 4
	v_mov_b32_e32 v6, 0
	s_add_u32 s6, s0, s6
	s_addc_u32 s7, s1, s7
	s_delay_alu instid0(SALU_CYCLE_1) | instskip(SKIP_2) | instid1(VALU_DEP_1)
	v_dual_mov_b32 v2, s6 :: v_dual_mov_b32 v3, s7
	;;#ASMSTART
	global_load_dwordx4 v[2:5], v[2:3] off glc	
s_waitcnt vmcnt(0)
	;;#ASMEND
	v_and_b32_e32 v5, 0xff, v4
	v_cmpx_eq_u64_e32 0, v[5:6]
	s_cbranch_execz .LBB58_6
; %bb.3:
	v_dual_mov_b32 v8, s7 :: v_dual_mov_b32 v7, s6
	s_mov_b32 s6, 0
.LBB58_4:                               ; =>This Inner Loop Header: Depth=1
	;;#ASMSTART
	global_load_dwordx4 v[2:5], v[7:8] off glc	
s_waitcnt vmcnt(0)
	;;#ASMEND
	v_and_b32_e32 v5, 0xff, v4
	s_delay_alu instid0(VALU_DEP_1) | instskip(SKIP_1) | instid1(SALU_CYCLE_1)
	v_cmp_ne_u64_e32 vcc_lo, 0, v[5:6]
	s_or_b32 s6, vcc_lo, s6
	s_and_not1_b32 exec_lo, exec_lo, s6
	s_cbranch_execnz .LBB58_4
; %bb.5:
	s_or_b32 exec_lo, exec_lo, s6
.LBB58_6:
	s_delay_alu instid0(SALU_CYCLE_1)
	s_or_b32 exec_lo, exec_lo, s3
	v_mov_b32_e32 v0, 0
	global_store_b64 v0, v[2:3], s[4:5]
.LBB58_7:
	s_or_b32 exec_lo, exec_lo, s8
.LBB58_8:
	s_delay_alu instid0(VALU_DEP_1)
	v_cmp_gt_u32_e32 vcc_lo, s2, v1
	s_and_saveexec_b32 s2, vcc_lo
	s_cbranch_execz .LBB58_10
; %bb.9:
	v_dual_mov_b32 v3, 0 :: v_dual_add_nc_u32 v2, 32, v1
	s_delay_alu instid0(VALU_DEP_1) | instskip(SKIP_2) | instid1(VALU_DEP_3)
	v_lshlrev_b64 v[5:6], 4, v[2:3]
	v_mov_b32_e32 v2, v3
	v_mov_b32_e32 v4, v3
	v_add_co_u32 v7, vcc_lo, s0, v5
	s_delay_alu instid0(VALU_DEP_4)
	v_add_co_ci_u32_e32 v8, vcc_lo, s1, v6, vcc_lo
	v_mov_b32_e32 v5, v3
	global_store_b128 v[7:8], v[2:5], off
.LBB58_10:
	s_or_b32 exec_lo, exec_lo, s2
	s_delay_alu instid0(SALU_CYCLE_1)
	s_mov_b32 s2, exec_lo
	v_cmpx_gt_u32_e32 32, v1
	s_cbranch_execz .LBB58_12
; %bb.11:
	v_dual_mov_b32 v2, 0 :: v_dual_mov_b32 v3, 0xff
	s_delay_alu instid0(VALU_DEP_1) | instskip(SKIP_1) | instid1(VALU_DEP_2)
	v_lshlrev_b64 v[4:5], 4, v[1:2]
	v_mov_b32_e32 v1, v2
	v_add_co_u32 v6, vcc_lo, s0, v4
	s_delay_alu instid0(VALU_DEP_3)
	v_add_co_ci_u32_e32 v7, vcc_lo, s1, v5, vcc_lo
	v_mov_b32_e32 v4, v2
	global_store_b128 v[6:7], v[1:4], off
.LBB58_12:
	s_nop 0
	s_sendmsg sendmsg(MSG_DEALLOC_VGPRS)
	s_endpgm
	.section	.rodata,"a",@progbits
	.p2align	6, 0x0
	.amdhsa_kernel _ZN7rocprim17ROCPRIM_304000_NS6detail31init_lookback_scan_state_kernelINS1_19lookback_scan_stateIdLb0ELb1EEEEEvT_jjPNS5_10value_typeE
		.amdhsa_group_segment_fixed_size 0
		.amdhsa_private_segment_fixed_size 0
		.amdhsa_kernarg_size 280
		.amdhsa_user_sgpr_count 15
		.amdhsa_user_sgpr_dispatch_ptr 0
		.amdhsa_user_sgpr_queue_ptr 0
		.amdhsa_user_sgpr_kernarg_segment_ptr 1
		.amdhsa_user_sgpr_dispatch_id 0
		.amdhsa_user_sgpr_private_segment_size 0
		.amdhsa_wavefront_size32 1
		.amdhsa_uses_dynamic_stack 0
		.amdhsa_enable_private_segment 0
		.amdhsa_system_sgpr_workgroup_id_x 1
		.amdhsa_system_sgpr_workgroup_id_y 0
		.amdhsa_system_sgpr_workgroup_id_z 0
		.amdhsa_system_sgpr_workgroup_info 0
		.amdhsa_system_vgpr_workitem_id 0
		.amdhsa_next_free_vgpr 9
		.amdhsa_next_free_sgpr 16
		.amdhsa_reserve_vcc 1
		.amdhsa_float_round_mode_32 0
		.amdhsa_float_round_mode_16_64 0
		.amdhsa_float_denorm_mode_32 3
		.amdhsa_float_denorm_mode_16_64 3
		.amdhsa_dx10_clamp 1
		.amdhsa_ieee_mode 1
		.amdhsa_fp16_overflow 0
		.amdhsa_workgroup_processor_mode 1
		.amdhsa_memory_ordered 1
		.amdhsa_forward_progress 0
		.amdhsa_shared_vgpr_count 0
		.amdhsa_exception_fp_ieee_invalid_op 0
		.amdhsa_exception_fp_denorm_src 0
		.amdhsa_exception_fp_ieee_div_zero 0
		.amdhsa_exception_fp_ieee_overflow 0
		.amdhsa_exception_fp_ieee_underflow 0
		.amdhsa_exception_fp_ieee_inexact 0
		.amdhsa_exception_int_div_zero 0
	.end_amdhsa_kernel
	.section	.text._ZN7rocprim17ROCPRIM_304000_NS6detail31init_lookback_scan_state_kernelINS1_19lookback_scan_stateIdLb0ELb1EEEEEvT_jjPNS5_10value_typeE,"axG",@progbits,_ZN7rocprim17ROCPRIM_304000_NS6detail31init_lookback_scan_state_kernelINS1_19lookback_scan_stateIdLb0ELb1EEEEEvT_jjPNS5_10value_typeE,comdat
.Lfunc_end58:
	.size	_ZN7rocprim17ROCPRIM_304000_NS6detail31init_lookback_scan_state_kernelINS1_19lookback_scan_stateIdLb0ELb1EEEEEvT_jjPNS5_10value_typeE, .Lfunc_end58-_ZN7rocprim17ROCPRIM_304000_NS6detail31init_lookback_scan_state_kernelINS1_19lookback_scan_stateIdLb0ELb1EEEEEvT_jjPNS5_10value_typeE
                                        ; -- End function
	.section	.AMDGPU.csdata,"",@progbits
; Kernel info:
; codeLenInByte = 448
; NumSgprs: 18
; NumVgprs: 9
; ScratchSize: 0
; MemoryBound: 0
; FloatMode: 240
; IeeeMode: 1
; LDSByteSize: 0 bytes/workgroup (compile time only)
; SGPRBlocks: 2
; VGPRBlocks: 1
; NumSGPRsForWavesPerEU: 18
; NumVGPRsForWavesPerEU: 9
; Occupancy: 16
; WaveLimiterHint : 0
; COMPUTE_PGM_RSRC2:SCRATCH_EN: 0
; COMPUTE_PGM_RSRC2:USER_SGPR: 15
; COMPUTE_PGM_RSRC2:TRAP_HANDLER: 0
; COMPUTE_PGM_RSRC2:TGID_X_EN: 1
; COMPUTE_PGM_RSRC2:TGID_Y_EN: 0
; COMPUTE_PGM_RSRC2:TGID_Z_EN: 0
; COMPUTE_PGM_RSRC2:TIDIG_COMP_CNT: 0
	.section	.text._ZN7rocprim17ROCPRIM_304000_NS6detail20lookback_scan_kernelILNS1_25lookback_scan_determinismE0ELb0ENS1_19wrapped_scan_configINS0_14default_configEdEEPKdPdSt4plusIdEddNS1_19lookback_scan_stateIdLb1ELb1EEEEEvT2_T3_mT5_T4_T7_jPT6_SK_bb,"axG",@progbits,_ZN7rocprim17ROCPRIM_304000_NS6detail20lookback_scan_kernelILNS1_25lookback_scan_determinismE0ELb0ENS1_19wrapped_scan_configINS0_14default_configEdEEPKdPdSt4plusIdEddNS1_19lookback_scan_stateIdLb1ELb1EEEEEvT2_T3_mT5_T4_T7_jPT6_SK_bb,comdat
	.protected	_ZN7rocprim17ROCPRIM_304000_NS6detail20lookback_scan_kernelILNS1_25lookback_scan_determinismE0ELb0ENS1_19wrapped_scan_configINS0_14default_configEdEEPKdPdSt4plusIdEddNS1_19lookback_scan_stateIdLb1ELb1EEEEEvT2_T3_mT5_T4_T7_jPT6_SK_bb ; -- Begin function _ZN7rocprim17ROCPRIM_304000_NS6detail20lookback_scan_kernelILNS1_25lookback_scan_determinismE0ELb0ENS1_19wrapped_scan_configINS0_14default_configEdEEPKdPdSt4plusIdEddNS1_19lookback_scan_stateIdLb1ELb1EEEEEvT2_T3_mT5_T4_T7_jPT6_SK_bb
	.globl	_ZN7rocprim17ROCPRIM_304000_NS6detail20lookback_scan_kernelILNS1_25lookback_scan_determinismE0ELb0ENS1_19wrapped_scan_configINS0_14default_configEdEEPKdPdSt4plusIdEddNS1_19lookback_scan_stateIdLb1ELb1EEEEEvT2_T3_mT5_T4_T7_jPT6_SK_bb
	.p2align	8
	.type	_ZN7rocprim17ROCPRIM_304000_NS6detail20lookback_scan_kernelILNS1_25lookback_scan_determinismE0ELb0ENS1_19wrapped_scan_configINS0_14default_configEdEEPKdPdSt4plusIdEddNS1_19lookback_scan_stateIdLb1ELb1EEEEEvT2_T3_mT5_T4_T7_jPT6_SK_bb,@function
_ZN7rocprim17ROCPRIM_304000_NS6detail20lookback_scan_kernelILNS1_25lookback_scan_determinismE0ELb0ENS1_19wrapped_scan_configINS0_14default_configEdEEPKdPdSt4plusIdEddNS1_19lookback_scan_stateIdLb1ELb1EEEEEvT2_T3_mT5_T4_T7_jPT6_SK_bb: ; @_ZN7rocprim17ROCPRIM_304000_NS6detail20lookback_scan_kernelILNS1_25lookback_scan_determinismE0ELb0ENS1_19wrapped_scan_configINS0_14default_configEdEEPKdPdSt4plusIdEddNS1_19lookback_scan_stateIdLb1ELb1EEEEEvT2_T3_mT5_T4_T7_jPT6_SK_bb
; %bb.0:
	s_endpgm
	.section	.rodata,"a",@progbits
	.p2align	6, 0x0
	.amdhsa_kernel _ZN7rocprim17ROCPRIM_304000_NS6detail20lookback_scan_kernelILNS1_25lookback_scan_determinismE0ELb0ENS1_19wrapped_scan_configINS0_14default_configEdEEPKdPdSt4plusIdEddNS1_19lookback_scan_stateIdLb1ELb1EEEEEvT2_T3_mT5_T4_T7_jPT6_SK_bb
		.amdhsa_group_segment_fixed_size 0
		.amdhsa_private_segment_fixed_size 0
		.amdhsa_kernarg_size 76
		.amdhsa_user_sgpr_count 15
		.amdhsa_user_sgpr_dispatch_ptr 0
		.amdhsa_user_sgpr_queue_ptr 0
		.amdhsa_user_sgpr_kernarg_segment_ptr 1
		.amdhsa_user_sgpr_dispatch_id 0
		.amdhsa_user_sgpr_private_segment_size 0
		.amdhsa_wavefront_size32 1
		.amdhsa_uses_dynamic_stack 0
		.amdhsa_enable_private_segment 0
		.amdhsa_system_sgpr_workgroup_id_x 1
		.amdhsa_system_sgpr_workgroup_id_y 0
		.amdhsa_system_sgpr_workgroup_id_z 0
		.amdhsa_system_sgpr_workgroup_info 0
		.amdhsa_system_vgpr_workitem_id 0
		.amdhsa_next_free_vgpr 1
		.amdhsa_next_free_sgpr 1
		.amdhsa_reserve_vcc 0
		.amdhsa_float_round_mode_32 0
		.amdhsa_float_round_mode_16_64 0
		.amdhsa_float_denorm_mode_32 3
		.amdhsa_float_denorm_mode_16_64 3
		.amdhsa_dx10_clamp 1
		.amdhsa_ieee_mode 1
		.amdhsa_fp16_overflow 0
		.amdhsa_workgroup_processor_mode 1
		.amdhsa_memory_ordered 1
		.amdhsa_forward_progress 0
		.amdhsa_shared_vgpr_count 0
		.amdhsa_exception_fp_ieee_invalid_op 0
		.amdhsa_exception_fp_denorm_src 0
		.amdhsa_exception_fp_ieee_div_zero 0
		.amdhsa_exception_fp_ieee_overflow 0
		.amdhsa_exception_fp_ieee_underflow 0
		.amdhsa_exception_fp_ieee_inexact 0
		.amdhsa_exception_int_div_zero 0
	.end_amdhsa_kernel
	.section	.text._ZN7rocprim17ROCPRIM_304000_NS6detail20lookback_scan_kernelILNS1_25lookback_scan_determinismE0ELb0ENS1_19wrapped_scan_configINS0_14default_configEdEEPKdPdSt4plusIdEddNS1_19lookback_scan_stateIdLb1ELb1EEEEEvT2_T3_mT5_T4_T7_jPT6_SK_bb,"axG",@progbits,_ZN7rocprim17ROCPRIM_304000_NS6detail20lookback_scan_kernelILNS1_25lookback_scan_determinismE0ELb0ENS1_19wrapped_scan_configINS0_14default_configEdEEPKdPdSt4plusIdEddNS1_19lookback_scan_stateIdLb1ELb1EEEEEvT2_T3_mT5_T4_T7_jPT6_SK_bb,comdat
.Lfunc_end59:
	.size	_ZN7rocprim17ROCPRIM_304000_NS6detail20lookback_scan_kernelILNS1_25lookback_scan_determinismE0ELb0ENS1_19wrapped_scan_configINS0_14default_configEdEEPKdPdSt4plusIdEddNS1_19lookback_scan_stateIdLb1ELb1EEEEEvT2_T3_mT5_T4_T7_jPT6_SK_bb, .Lfunc_end59-_ZN7rocprim17ROCPRIM_304000_NS6detail20lookback_scan_kernelILNS1_25lookback_scan_determinismE0ELb0ENS1_19wrapped_scan_configINS0_14default_configEdEEPKdPdSt4plusIdEddNS1_19lookback_scan_stateIdLb1ELb1EEEEEvT2_T3_mT5_T4_T7_jPT6_SK_bb
                                        ; -- End function
	.section	.AMDGPU.csdata,"",@progbits
; Kernel info:
; codeLenInByte = 4
; NumSgprs: 0
; NumVgprs: 0
; ScratchSize: 0
; MemoryBound: 0
; FloatMode: 240
; IeeeMode: 1
; LDSByteSize: 0 bytes/workgroup (compile time only)
; SGPRBlocks: 0
; VGPRBlocks: 0
; NumSGPRsForWavesPerEU: 1
; NumVGPRsForWavesPerEU: 1
; Occupancy: 16
; WaveLimiterHint : 0
; COMPUTE_PGM_RSRC2:SCRATCH_EN: 0
; COMPUTE_PGM_RSRC2:USER_SGPR: 15
; COMPUTE_PGM_RSRC2:TRAP_HANDLER: 0
; COMPUTE_PGM_RSRC2:TGID_X_EN: 1
; COMPUTE_PGM_RSRC2:TGID_Y_EN: 0
; COMPUTE_PGM_RSRC2:TGID_Z_EN: 0
; COMPUTE_PGM_RSRC2:TIDIG_COMP_CNT: 0
	.section	.text._ZN7rocprim17ROCPRIM_304000_NS6detail20lookback_scan_kernelILNS1_25lookback_scan_determinismE0ELb0ENS1_19wrapped_scan_configINS0_14default_configEdEEPKdPdSt4plusIdEddNS1_19lookback_scan_stateIdLb0ELb1EEEEEvT2_T3_mT5_T4_T7_jPT6_SK_bb,"axG",@progbits,_ZN7rocprim17ROCPRIM_304000_NS6detail20lookback_scan_kernelILNS1_25lookback_scan_determinismE0ELb0ENS1_19wrapped_scan_configINS0_14default_configEdEEPKdPdSt4plusIdEddNS1_19lookback_scan_stateIdLb0ELb1EEEEEvT2_T3_mT5_T4_T7_jPT6_SK_bb,comdat
	.protected	_ZN7rocprim17ROCPRIM_304000_NS6detail20lookback_scan_kernelILNS1_25lookback_scan_determinismE0ELb0ENS1_19wrapped_scan_configINS0_14default_configEdEEPKdPdSt4plusIdEddNS1_19lookback_scan_stateIdLb0ELb1EEEEEvT2_T3_mT5_T4_T7_jPT6_SK_bb ; -- Begin function _ZN7rocprim17ROCPRIM_304000_NS6detail20lookback_scan_kernelILNS1_25lookback_scan_determinismE0ELb0ENS1_19wrapped_scan_configINS0_14default_configEdEEPKdPdSt4plusIdEddNS1_19lookback_scan_stateIdLb0ELb1EEEEEvT2_T3_mT5_T4_T7_jPT6_SK_bb
	.globl	_ZN7rocprim17ROCPRIM_304000_NS6detail20lookback_scan_kernelILNS1_25lookback_scan_determinismE0ELb0ENS1_19wrapped_scan_configINS0_14default_configEdEEPKdPdSt4plusIdEddNS1_19lookback_scan_stateIdLb0ELb1EEEEEvT2_T3_mT5_T4_T7_jPT6_SK_bb
	.p2align	8
	.type	_ZN7rocprim17ROCPRIM_304000_NS6detail20lookback_scan_kernelILNS1_25lookback_scan_determinismE0ELb0ENS1_19wrapped_scan_configINS0_14default_configEdEEPKdPdSt4plusIdEddNS1_19lookback_scan_stateIdLb0ELb1EEEEEvT2_T3_mT5_T4_T7_jPT6_SK_bb,@function
_ZN7rocprim17ROCPRIM_304000_NS6detail20lookback_scan_kernelILNS1_25lookback_scan_determinismE0ELb0ENS1_19wrapped_scan_configINS0_14default_configEdEEPKdPdSt4plusIdEddNS1_19lookback_scan_stateIdLb0ELb1EEEEEvT2_T3_mT5_T4_T7_jPT6_SK_bb: ; @_ZN7rocprim17ROCPRIM_304000_NS6detail20lookback_scan_kernelILNS1_25lookback_scan_determinismE0ELb0ENS1_19wrapped_scan_configINS0_14default_configEdEEPKdPdSt4plusIdEddNS1_19lookback_scan_stateIdLb0ELb1EEEEEvT2_T3_mT5_T4_T7_jPT6_SK_bb
; %bb.0:
	s_clause 0x2
	s_load_b32 s10, s[0:1], 0x30
	s_load_b64 s[2:3], s[0:1], 0x10
	s_load_b128 s[4:7], s[0:1], 0x0
	s_lshl_b32 s8, s15, 12
	s_mov_b32 s9, 0
	v_lshlrev_b32_e32 v84, 3, v0
	v_lshrrev_b32_e32 v37, 2, v0
	v_or_b32_e32 v83, 0x100, v0
	v_or_b32_e32 v82, 0x200, v0
	;; [unrolled: 1-line block ×13, first 2 shown]
	s_waitcnt lgkmcnt(0)
	s_add_i32 s10, s10, -1
	v_or_b32_e32 v70, 0xe00, v0
	s_lshl_b32 s11, s10, 12
	v_or_b32_e32 v69, 0xf00, v0
	s_sub_u32 s14, s2, s11
	s_subb_u32 s16, s3, 0
	s_cmp_lg_u32 s15, s10
	s_mov_b32 s3, -1
	s_cselect_b32 s17, -1, 0
	s_lshl_b64 s[12:13], s[8:9], 3
	s_delay_alu instid0(SALU_CYCLE_1)
	s_add_u32 s4, s4, s12
	s_addc_u32 s5, s5, s13
	s_and_b32 vcc_lo, exec_lo, s17
	s_cbranch_vccz .LBB60_2
; %bb.1:
	v_add_co_u32 v27, s2, s4, v84
	s_delay_alu instid0(VALU_DEP_1)
	v_add_co_ci_u32_e64 v28, null, s5, 0, s2
	s_clause 0x1
	global_load_b64 v[1:2], v84, s[4:5]
	global_load_b64 v[3:4], v84, s[4:5] offset:2048
	v_add_co_u32 v5, vcc_lo, 0x1000, v27
	v_add_co_ci_u32_e32 v6, vcc_lo, 0, v28, vcc_lo
	v_add_co_u32 v7, vcc_lo, v27, 0x2000
	v_add_co_ci_u32_e32 v8, vcc_lo, 0, v28, vcc_lo
	;; [unrolled: 2-line block ×10, first 2 shown]
	s_clause 0xd
	global_load_b64 v[17:18], v[7:8], off offset:-4096
	global_load_b64 v[7:8], v[7:8], off
	global_load_b64 v[19:20], v[13:14], off offset:-4096
	global_load_b64 v[13:14], v[13:14], off
	global_load_b64 v[5:6], v[5:6], off offset:2048
	global_load_b64 v[9:10], v[9:10], off offset:2048
	;; [unrolled: 1-line block ×4, first 2 shown]
	global_load_b64 v[29:30], v[23:24], off offset:-4096
	global_load_b64 v[21:22], v[21:22], off offset:2048
	global_load_b64 v[23:24], v[23:24], off
	global_load_b64 v[25:26], v[25:26], off offset:2048
	global_load_b64 v[31:32], v[27:28], off
	global_load_b64 v[27:28], v[27:28], off offset:2048
	v_lshrrev_b32_e32 v34, 2, v83
	v_lshrrev_b32_e32 v35, 2, v82
	;; [unrolled: 1-line block ×4, first 2 shown]
	v_and_b32_e32 v33, 56, v37
	v_lshrrev_b32_e32 v39, 2, v79
	v_lshrrev_b32_e32 v40, 2, v78
	;; [unrolled: 1-line block ×11, first 2 shown]
	v_and_b32_e32 v34, 0x78, v34
	v_and_b32_e32 v35, 0xb8, v35
	;; [unrolled: 1-line block ×4, first 2 shown]
	v_add_nc_u32_e32 v33, v33, v84
	v_and_b32_e32 v39, 0x178, v39
	v_and_b32_e32 v40, 0x1b8, v40
	;; [unrolled: 1-line block ×11, first 2 shown]
	v_add_nc_u32_e32 v34, v34, v84
	v_add_nc_u32_e32 v35, v35, v84
	;; [unrolled: 1-line block ×4, first 2 shown]
	s_mov_b32 s3, 0
	v_add_nc_u32_e32 v39, v39, v84
	v_add_nc_u32_e32 v40, v40, v84
	;; [unrolled: 1-line block ×11, first 2 shown]
	s_waitcnt vmcnt(15)
	ds_store_b64 v33, v[1:2]
	s_waitcnt vmcnt(14)
	ds_store_b64 v34, v[3:4] offset:2048
	s_waitcnt vmcnt(13)
	ds_store_b64 v35, v[17:18] offset:4096
	;; [unrolled: 2-line block ×3, first 2 shown]
	ds_store_b64 v38, v[7:8] offset:8192
	s_waitcnt vmcnt(8)
	ds_store_b64 v39, v[9:10] offset:10240
	ds_store_b64 v40, v[19:20] offset:12288
	s_waitcnt vmcnt(7)
	ds_store_b64 v41, v[11:12] offset:14336
	;; [unrolled: 3-line block ×3, first 2 shown]
	s_waitcnt vmcnt(5)
	ds_store_b64 v44, v[29:30] offset:20480
	s_waitcnt vmcnt(4)
	ds_store_b64 v45, v[21:22] offset:22528
	;; [unrolled: 2-line block ×6, first 2 shown]
	s_waitcnt lgkmcnt(0)
	s_barrier
.LBB60_2:
	v_cmp_gt_u32_e64 s2, s14, v0
	s_and_not1_b32 vcc_lo, exec_lo, s3
	s_cbranch_vccnz .LBB60_21
; %bb.3:
	s_load_b64 s[36:37], s[4:5], 0x0
	v_add_co_u32 v35, s3, s4, v84
	s_delay_alu instid0(VALU_DEP_1)
	v_add_co_ci_u32_e64 v36, null, s5, 0, s3
	s_waitcnt lgkmcnt(0)
	s_mov_b32 s38, s36
	s_mov_b32 s39, s37
	;; [unrolled: 1-line block ×30, first 2 shown]
	v_dual_mov_b32 v1, s36 :: v_dual_mov_b32 v2, s37
	v_dual_mov_b32 v3, s38 :: v_dual_mov_b32 v4, s39
	;; [unrolled: 1-line block ×17, first 2 shown]
	s_and_saveexec_b32 s3, s2
	s_cbranch_execnz .LBB60_189
; %bb.4:
	s_or_b32 exec_lo, exec_lo, s3
	s_delay_alu instid0(SALU_CYCLE_1)
	s_mov_b32 s2, exec_lo
	v_cmpx_gt_u32_e64 s14, v83
	s_cbranch_execnz .LBB60_190
.LBB60_5:
	s_or_b32 exec_lo, exec_lo, s2
	s_delay_alu instid0(SALU_CYCLE_1)
	s_mov_b32 s2, exec_lo
	v_cmpx_gt_u32_e64 s14, v82
	s_cbranch_execnz .LBB60_191
.LBB60_6:
	s_or_b32 exec_lo, exec_lo, s2
	s_delay_alu instid0(SALU_CYCLE_1)
	s_mov_b32 s2, exec_lo
	v_cmpx_gt_u32_e64 s14, v81
	s_cbranch_execnz .LBB60_192
.LBB60_7:
	s_or_b32 exec_lo, exec_lo, s2
	s_delay_alu instid0(SALU_CYCLE_1)
	s_mov_b32 s2, exec_lo
	v_cmpx_gt_u32_e64 s14, v80
	s_cbranch_execnz .LBB60_193
.LBB60_8:
	s_or_b32 exec_lo, exec_lo, s2
	s_delay_alu instid0(SALU_CYCLE_1)
	s_mov_b32 s2, exec_lo
	v_cmpx_gt_u32_e64 s14, v79
	s_cbranch_execnz .LBB60_194
.LBB60_9:
	s_or_b32 exec_lo, exec_lo, s2
	s_delay_alu instid0(SALU_CYCLE_1)
	s_mov_b32 s2, exec_lo
	v_cmpx_gt_u32_e64 s14, v78
	s_cbranch_execnz .LBB60_195
.LBB60_10:
	s_or_b32 exec_lo, exec_lo, s2
	s_delay_alu instid0(SALU_CYCLE_1)
	s_mov_b32 s2, exec_lo
	v_cmpx_gt_u32_e64 s14, v77
	s_cbranch_execnz .LBB60_196
.LBB60_11:
	s_or_b32 exec_lo, exec_lo, s2
	s_delay_alu instid0(SALU_CYCLE_1)
	s_mov_b32 s2, exec_lo
	v_cmpx_gt_u32_e64 s14, v76
	s_cbranch_execnz .LBB60_197
.LBB60_12:
	s_or_b32 exec_lo, exec_lo, s2
	s_delay_alu instid0(SALU_CYCLE_1)
	s_mov_b32 s2, exec_lo
	v_cmpx_gt_u32_e64 s14, v75
	s_cbranch_execnz .LBB60_198
.LBB60_13:
	s_or_b32 exec_lo, exec_lo, s2
	s_delay_alu instid0(SALU_CYCLE_1)
	s_mov_b32 s2, exec_lo
	v_cmpx_gt_u32_e64 s14, v74
	s_cbranch_execnz .LBB60_199
.LBB60_14:
	s_or_b32 exec_lo, exec_lo, s2
	s_delay_alu instid0(SALU_CYCLE_1)
	s_mov_b32 s2, exec_lo
	v_cmpx_gt_u32_e64 s14, v73
	s_cbranch_execnz .LBB60_200
.LBB60_15:
	s_or_b32 exec_lo, exec_lo, s2
	s_delay_alu instid0(SALU_CYCLE_1)
	s_mov_b32 s2, exec_lo
	v_cmpx_gt_u32_e64 s14, v72
	s_cbranch_execnz .LBB60_201
.LBB60_16:
	s_or_b32 exec_lo, exec_lo, s2
	s_delay_alu instid0(SALU_CYCLE_1)
	s_mov_b32 s2, exec_lo
	v_cmpx_gt_u32_e64 s14, v71
	s_cbranch_execnz .LBB60_202
.LBB60_17:
	s_or_b32 exec_lo, exec_lo, s2
	s_delay_alu instid0(SALU_CYCLE_1)
	s_mov_b32 s2, exec_lo
	v_cmpx_gt_u32_e64 s14, v70
	s_cbranch_execnz .LBB60_203
.LBB60_18:
	s_or_b32 exec_lo, exec_lo, s2
	s_delay_alu instid0(SALU_CYCLE_1)
	s_mov_b32 s2, exec_lo
	v_cmpx_gt_u32_e64 s14, v69
	s_cbranch_execz .LBB60_20
.LBB60_19:
	v_add_co_u32 v1, vcc_lo, 0x7000, v35
	v_add_co_ci_u32_e32 v2, vcc_lo, 0, v36, vcc_lo
	global_load_b64 v[31:32], v[1:2], off offset:2048
.LBB60_20:
	s_or_b32 exec_lo, exec_lo, s2
	v_lshrrev_b32_e32 v1, 2, v83
	v_lshrrev_b32_e32 v2, 2, v82
	;; [unrolled: 1-line block ×3, first 2 shown]
	v_and_b32_e32 v36, 56, v37
	v_lshrrev_b32_e32 v37, 2, v80
	v_and_b32_e32 v1, 0x78, v1
	v_and_b32_e32 v2, 0xf8, v2
	;; [unrolled: 1-line block ×3, first 2 shown]
	v_lshrrev_b32_e32 v38, 2, v79
	v_add_nc_u32_e32 v36, v36, v84
	v_add_nc_u32_e32 v1, v1, v84
	v_lshrrev_b32_e32 v39, 2, v78
	v_add_nc_u32_e32 v2, v2, v84
	v_lshrrev_b32_e32 v40, 2, v77
	v_add_nc_u32_e32 v35, v35, v84
	v_and_b32_e32 v37, 0x1f8, v37
	v_and_b32_e32 v38, 0x1f8, v38
	s_waitcnt vmcnt(0)
	ds_store_b64 v36, v[33:34]
	ds_store_b64 v1, v[3:4] offset:2048
	ds_store_b64 v2, v[5:6] offset:4096
	;; [unrolled: 1-line block ×3, first 2 shown]
	v_lshrrev_b32_e32 v5, 2, v76
	v_and_b32_e32 v3, 0x1f8, v39
	v_lshrrev_b32_e32 v6, 2, v75
	v_lshrrev_b32_e32 v7, 2, v74
	v_and_b32_e32 v4, 0x1f8, v40
	v_add_nc_u32_e32 v1, v37, v84
	v_add_nc_u32_e32 v2, v38, v84
	v_and_b32_e32 v5, 0x3f8, v5
	v_add_nc_u32_e32 v3, v3, v84
	v_and_b32_e32 v6, 0x3f8, v6
	v_and_b32_e32 v7, 0x3f8, v7
	v_add_nc_u32_e32 v4, v4, v84
	ds_store_b64 v1, v[9:10] offset:8192
	ds_store_b64 v2, v[11:12] offset:10240
	;; [unrolled: 1-line block ×4, first 2 shown]
	v_lshrrev_b32_e32 v4, 2, v73
	v_add_nc_u32_e32 v1, v5, v84
	v_lshrrev_b32_e32 v5, 2, v72
	v_add_nc_u32_e32 v2, v6, v84
	v_add_nc_u32_e32 v3, v7, v84
	v_lshrrev_b32_e32 v6, 2, v71
	v_lshrrev_b32_e32 v7, 2, v70
	;; [unrolled: 1-line block ×3, first 2 shown]
	v_and_b32_e32 v4, 0x3f8, v4
	v_and_b32_e32 v5, 0x3f8, v5
	;; [unrolled: 1-line block ×5, first 2 shown]
	v_add_nc_u32_e32 v4, v4, v84
	v_add_nc_u32_e32 v5, v5, v84
	;; [unrolled: 1-line block ×5, first 2 shown]
	ds_store_b64 v1, v[17:18] offset:16384
	ds_store_b64 v2, v[19:20] offset:18432
	;; [unrolled: 1-line block ×8, first 2 shown]
	s_waitcnt lgkmcnt(0)
	s_barrier
.LBB60_21:
	v_lshlrev_b32_e32 v1, 4, v0
	v_lshrrev_b32_e32 v85, 1, v0
	buffer_gl0_inv
	s_load_b64 s[4:5], s[0:1], 0x28
	v_mbcnt_lo_u32_b32 v86, -1, 0
	s_cmp_lg_u32 s15, 0
	v_add_lshl_u32 v5, v85, v1, 3
	ds_load_2addr_b64 v[1:4], v5 offset1:1
	ds_load_2addr_b64 v[37:40], v5 offset0:2 offset1:3
	ds_load_2addr_b64 v[41:44], v5 offset0:4 offset1:5
	;; [unrolled: 1-line block ×7, first 2 shown]
	s_waitcnt lgkmcnt(0)
	s_barrier
	buffer_gl0_inv
	s_cbranch_scc0 .LBB60_83
; %bb.22:
	v_add_f64 v[5:6], v[1:2], v[3:4]
	v_and_b32_e32 v9, 15, v86
	s_mov_b32 s2, exec_lo
	s_delay_alu instid0(VALU_DEP_2) | instskip(NEXT) | instid1(VALU_DEP_1)
	v_add_f64 v[5:6], v[37:38], v[5:6]
	v_add_f64 v[5:6], v[39:40], v[5:6]
	s_delay_alu instid0(VALU_DEP_1) | instskip(NEXT) | instid1(VALU_DEP_1)
	v_add_f64 v[5:6], v[41:42], v[5:6]
	v_add_f64 v[5:6], v[43:44], v[5:6]
	s_delay_alu instid0(VALU_DEP_1) | instskip(NEXT) | instid1(VALU_DEP_1)
	;; [unrolled: 3-line block ×6, first 2 shown]
	v_add_f64 v[5:6], v[61:62], v[5:6]
	v_add_f64 v[5:6], v[63:64], v[5:6]
	s_delay_alu instid0(VALU_DEP_1) | instskip(NEXT) | instid1(VALU_DEP_2)
	v_mov_b32_dpp v7, v5 row_shr:1 row_mask:0xf bank_mask:0xf
	v_mov_b32_dpp v8, v6 row_shr:1 row_mask:0xf bank_mask:0xf
	v_cmpx_ne_u32_e32 0, v9
; %bb.23:
	s_delay_alu instid0(VALU_DEP_2)
	v_add_f64 v[5:6], v[5:6], v[7:8]
; %bb.24:
	s_or_b32 exec_lo, exec_lo, s2
	s_delay_alu instid0(VALU_DEP_1) | instskip(NEXT) | instid1(VALU_DEP_2)
	v_mov_b32_dpp v7, v5 row_shr:2 row_mask:0xf bank_mask:0xf
	v_mov_b32_dpp v8, v6 row_shr:2 row_mask:0xf bank_mask:0xf
	s_mov_b32 s2, exec_lo
	v_cmpx_lt_u32_e32 1, v9
; %bb.25:
	s_delay_alu instid0(VALU_DEP_2)
	v_add_f64 v[5:6], v[5:6], v[7:8]
; %bb.26:
	s_or_b32 exec_lo, exec_lo, s2
	s_delay_alu instid0(VALU_DEP_1) | instskip(NEXT) | instid1(VALU_DEP_2)
	v_mov_b32_dpp v7, v5 row_shr:4 row_mask:0xf bank_mask:0xf
	v_mov_b32_dpp v8, v6 row_shr:4 row_mask:0xf bank_mask:0xf
	s_mov_b32 s2, exec_lo
	v_cmpx_lt_u32_e32 3, v9
	;; [unrolled: 10-line block ×3, first 2 shown]
; %bb.29:
	s_delay_alu instid0(VALU_DEP_2)
	v_add_f64 v[5:6], v[5:6], v[7:8]
; %bb.30:
	s_or_b32 exec_lo, exec_lo, s2
	ds_swizzle_b32 v7, v5 offset:swizzle(BROADCAST,32,15)
	ds_swizzle_b32 v8, v6 offset:swizzle(BROADCAST,32,15)
	v_and_b32_e32 v9, 16, v86
	s_mov_b32 s2, exec_lo
	s_delay_alu instid0(VALU_DEP_1)
	v_cmpx_ne_u32_e32 0, v9
	s_cbranch_execz .LBB60_32
; %bb.31:
	s_waitcnt lgkmcnt(0)
	v_add_f64 v[5:6], v[5:6], v[7:8]
.LBB60_32:
	s_or_b32 exec_lo, exec_lo, s2
	s_waitcnt lgkmcnt(1)
	v_or_b32_e32 v7, 31, v0
	v_lshrrev_b32_e32 v13, 5, v0
	s_mov_b32 s2, exec_lo
	s_delay_alu instid0(VALU_DEP_2)
	v_cmpx_eq_u32_e64 v7, v0
	s_cbranch_execz .LBB60_34
; %bb.33:
	s_delay_alu instid0(VALU_DEP_2)
	v_lshlrev_b32_e32 v7, 3, v13
	ds_store_b64 v7, v[5:6]
.LBB60_34:
	s_or_b32 exec_lo, exec_lo, s2
	s_delay_alu instid0(SALU_CYCLE_1)
	s_mov_b32 s2, exec_lo
	s_waitcnt lgkmcnt(0)
	s_barrier
	buffer_gl0_inv
	v_cmpx_gt_u32_e32 8, v0
	s_cbranch_execz .LBB60_42
; %bb.35:
	ds_load_b64 v[7:8], v84
	v_and_b32_e32 v11, 7, v86
	s_mov_b32 s3, exec_lo
	s_waitcnt lgkmcnt(0)
	v_mov_b32_dpp v9, v7 row_shr:1 row_mask:0xf bank_mask:0xf
	v_mov_b32_dpp v10, v8 row_shr:1 row_mask:0xf bank_mask:0xf
	v_cmpx_ne_u32_e32 0, v11
; %bb.36:
	s_delay_alu instid0(VALU_DEP_2)
	v_add_f64 v[7:8], v[7:8], v[9:10]
; %bb.37:
	s_or_b32 exec_lo, exec_lo, s3
	s_delay_alu instid0(VALU_DEP_1) | instskip(NEXT) | instid1(VALU_DEP_2)
	v_mov_b32_dpp v9, v7 row_shr:2 row_mask:0xf bank_mask:0xf
	v_mov_b32_dpp v10, v8 row_shr:2 row_mask:0xf bank_mask:0xf
	s_mov_b32 s3, exec_lo
	v_cmpx_lt_u32_e32 1, v11
; %bb.38:
	s_delay_alu instid0(VALU_DEP_2)
	v_add_f64 v[7:8], v[7:8], v[9:10]
; %bb.39:
	s_or_b32 exec_lo, exec_lo, s3
	s_delay_alu instid0(VALU_DEP_1) | instskip(NEXT) | instid1(VALU_DEP_2)
	v_mov_b32_dpp v9, v7 row_shr:4 row_mask:0xf bank_mask:0xf
	v_mov_b32_dpp v10, v8 row_shr:4 row_mask:0xf bank_mask:0xf
	s_mov_b32 s3, exec_lo
	v_cmpx_lt_u32_e32 3, v11
; %bb.40:
	s_delay_alu instid0(VALU_DEP_2)
	v_add_f64 v[7:8], v[7:8], v[9:10]
; %bb.41:
	s_or_b32 exec_lo, exec_lo, s3
	ds_store_b64 v84, v[7:8]
.LBB60_42:
	s_or_b32 exec_lo, exec_lo, s2
	v_cmp_gt_u32_e32 vcc_lo, 32, v0
	s_mov_b32 s3, exec_lo
	s_waitcnt lgkmcnt(0)
	s_barrier
	buffer_gl0_inv
                                        ; implicit-def: $vgpr11_vgpr12
	v_cmpx_lt_u32_e32 31, v0
	s_cbranch_execz .LBB60_44
; %bb.43:
	v_lshl_add_u32 v7, v13, 3, -8
	ds_load_b64 v[11:12], v7
	s_waitcnt lgkmcnt(0)
	v_add_f64 v[5:6], v[5:6], v[11:12]
.LBB60_44:
	s_or_b32 exec_lo, exec_lo, s3
	v_add_nc_u32_e32 v7, -1, v86
	s_delay_alu instid0(VALU_DEP_1) | instskip(NEXT) | instid1(VALU_DEP_1)
	v_cmp_gt_i32_e64 s2, 0, v7
	v_cndmask_b32_e64 v7, v7, v86, s2
	v_cmp_eq_u32_e64 s2, 0, v86
	s_delay_alu instid0(VALU_DEP_2)
	v_lshlrev_b32_e32 v7, 2, v7
	ds_bpermute_b32 v19, v7, v5
	ds_bpermute_b32 v20, v7, v6
	s_and_saveexec_b32 s3, vcc_lo
	s_cbranch_execz .LBB60_82
; %bb.45:
	v_mov_b32_e32 v8, 0
	ds_load_b64 v[5:6], v8 offset:56
	s_and_saveexec_b32 s8, s2
	s_cbranch_execz .LBB60_47
; %bb.46:
	s_add_i32 s10, s15, 32
	s_mov_b32 s11, 0
	s_delay_alu instid0(SALU_CYCLE_1) | instskip(NEXT) | instid1(SALU_CYCLE_1)
	s_lshl_b64 s[10:11], s[10:11], 4
	s_add_u32 s10, s4, s10
	s_addc_u32 s11, s5, s11
	v_mov_b32_e32 v9, s10
	v_dual_mov_b32 v7, 1 :: v_dual_mov_b32 v10, s11
	s_waitcnt lgkmcnt(0)
	;;#ASMSTART
	global_store_dwordx4 v[9:10], v[5:8] off	
s_waitcnt vmcnt(0)
	;;#ASMEND
.LBB60_47:
	s_or_b32 exec_lo, exec_lo, s8
	v_xad_u32 v13, v86, -1, s15
	s_mov_b32 s8, exec_lo
	s_delay_alu instid0(VALU_DEP_1) | instskip(NEXT) | instid1(VALU_DEP_1)
	v_add_nc_u32_e32 v7, 32, v13
	v_lshlrev_b64 v[7:8], 4, v[7:8]
	s_delay_alu instid0(VALU_DEP_1) | instskip(NEXT) | instid1(VALU_DEP_2)
	v_add_co_u32 v14, vcc_lo, s4, v7
	v_add_co_ci_u32_e32 v15, vcc_lo, s5, v8, vcc_lo
	;;#ASMSTART
	global_load_dwordx4 v[7:10], v[14:15] off glc	
s_waitcnt vmcnt(0)
	;;#ASMEND
	v_and_b32_e32 v10, 0xff, v9
	s_delay_alu instid0(VALU_DEP_1)
	v_cmpx_eq_u16_e32 0, v10
	s_cbranch_execz .LBB60_50
.LBB60_48:                              ; =>This Inner Loop Header: Depth=1
	;;#ASMSTART
	global_load_dwordx4 v[7:10], v[14:15] off glc	
s_waitcnt vmcnt(0)
	;;#ASMEND
	v_and_b32_e32 v10, 0xff, v9
	s_delay_alu instid0(VALU_DEP_1) | instskip(SKIP_1) | instid1(SALU_CYCLE_1)
	v_cmp_ne_u16_e32 vcc_lo, 0, v10
	s_or_b32 s9, vcc_lo, s9
	s_and_not1_b32 exec_lo, exec_lo, s9
	s_cbranch_execnz .LBB60_48
; %bb.49:
	s_or_b32 exec_lo, exec_lo, s9
.LBB60_50:
	s_delay_alu instid0(SALU_CYCLE_1)
	s_or_b32 exec_lo, exec_lo, s8
	v_cmp_ne_u32_e32 vcc_lo, 31, v86
	v_and_b32_e32 v14, 0xff, v9
	v_lshlrev_b32_e64 v22, v86, -1
	v_add_nc_u32_e32 v23, 1, v86
	s_mov_b32 s8, exec_lo
	v_add_co_ci_u32_e32 v10, vcc_lo, 0, v86, vcc_lo
	v_cmp_eq_u16_e32 vcc_lo, 2, v14
	s_delay_alu instid0(VALU_DEP_2) | instskip(SKIP_4) | instid1(VALU_DEP_1)
	v_lshlrev_b32_e32 v21, 2, v10
	v_and_or_b32 v10, vcc_lo, v22, 0x80000000
	ds_bpermute_b32 v14, v21, v7
	ds_bpermute_b32 v15, v21, v8
	v_ctz_i32_b32_e32 v10, v10
	v_cmpx_le_u32_e64 v23, v10
	s_cbranch_execz .LBB60_52
; %bb.51:
	s_waitcnt lgkmcnt(0)
	v_add_f64 v[7:8], v[7:8], v[14:15]
.LBB60_52:
	s_or_b32 exec_lo, exec_lo, s8
	v_cmp_gt_u32_e32 vcc_lo, 30, v86
	v_add_nc_u32_e32 v25, 2, v86
	s_mov_b32 s8, exec_lo
	s_waitcnt lgkmcnt(1)
	v_cndmask_b32_e64 v14, 0, 1, vcc_lo
	s_delay_alu instid0(VALU_DEP_1) | instskip(NEXT) | instid1(VALU_DEP_1)
	v_lshlrev_b32_e32 v14, 1, v14
	v_add_lshl_u32 v24, v14, v86, 2
	ds_bpermute_b32 v14, v24, v7
	s_waitcnt lgkmcnt(1)
	ds_bpermute_b32 v15, v24, v8
	v_cmpx_le_u32_e64 v25, v10
	s_cbranch_execz .LBB60_54
; %bb.53:
	s_waitcnt lgkmcnt(0)
	v_add_f64 v[7:8], v[7:8], v[14:15]
.LBB60_54:
	s_or_b32 exec_lo, exec_lo, s8
	v_cmp_gt_u32_e32 vcc_lo, 28, v86
	v_add_nc_u32_e32 v27, 4, v86
	s_mov_b32 s8, exec_lo
	s_waitcnt lgkmcnt(1)
	v_cndmask_b32_e64 v14, 0, 1, vcc_lo
	s_delay_alu instid0(VALU_DEP_1) | instskip(NEXT) | instid1(VALU_DEP_1)
	v_lshlrev_b32_e32 v14, 2, v14
	v_add_lshl_u32 v26, v14, v86, 2
	ds_bpermute_b32 v14, v26, v7
	s_waitcnt lgkmcnt(1)
	ds_bpermute_b32 v15, v26, v8
	;; [unrolled: 18-line block ×4, first 2 shown]
	v_cmpx_le_u32_e64 v31, v10
	s_cbranch_execz .LBB60_60
; %bb.59:
	s_waitcnt lgkmcnt(0)
	v_add_f64 v[7:8], v[7:8], v[14:15]
.LBB60_60:
	s_or_b32 exec_lo, exec_lo, s8
	s_waitcnt lgkmcnt(1)
	v_mov_b32_e32 v14, 0
	s_branch .LBB60_62
.LBB60_61:                              ;   in Loop: Header=BB60_62 Depth=1
	s_or_b32 exec_lo, exec_lo, s8
	s_delay_alu instid0(VALU_DEP_1)
	v_add_f64 v[7:8], v[15:16], v[7:8]
	v_subrev_nc_u32_e32 v13, 32, v13
.LBB60_62:                              ; =>This Loop Header: Depth=1
                                        ;     Child Loop BB60_65 Depth 2
	s_waitcnt lgkmcnt(0)
	s_delay_alu instid0(VALU_DEP_2) | instskip(NEXT) | instid1(VALU_DEP_3)
	v_dual_mov_b32 v16, v8 :: v_dual_and_b32 v9, 0xff, v9
	v_mov_b32_e32 v15, v7
	s_delay_alu instid0(VALU_DEP_2) | instskip(SKIP_2) | instid1(VALU_DEP_1)
	v_cmp_ne_u16_e32 vcc_lo, 2, v9
	v_cndmask_b32_e64 v9, 0, 1, vcc_lo
	;;#ASMSTART
	;;#ASMEND
	v_cmp_ne_u32_e32 vcc_lo, 0, v9
	s_cmp_lg_u32 vcc_lo, exec_lo
	s_cbranch_scc1 .LBB60_77
; %bb.63:                               ;   in Loop: Header=BB60_62 Depth=1
	v_lshlrev_b64 v[7:8], 4, v[13:14]
	s_mov_b32 s8, exec_lo
	s_delay_alu instid0(VALU_DEP_1) | instskip(NEXT) | instid1(VALU_DEP_2)
	v_add_co_u32 v17, vcc_lo, s4, v7
	v_add_co_ci_u32_e32 v18, vcc_lo, s5, v8, vcc_lo
	;;#ASMSTART
	global_load_dwordx4 v[7:10], v[17:18] off glc	
s_waitcnt vmcnt(0)
	;;#ASMEND
	v_and_b32_e32 v10, 0xff, v9
	s_delay_alu instid0(VALU_DEP_1)
	v_cmpx_eq_u16_e32 0, v10
	s_cbranch_execz .LBB60_67
; %bb.64:                               ;   in Loop: Header=BB60_62 Depth=1
	s_mov_b32 s9, 0
.LBB60_65:                              ;   Parent Loop BB60_62 Depth=1
                                        ; =>  This Inner Loop Header: Depth=2
	;;#ASMSTART
	global_load_dwordx4 v[7:10], v[17:18] off glc	
s_waitcnt vmcnt(0)
	;;#ASMEND
	v_and_b32_e32 v10, 0xff, v9
	s_delay_alu instid0(VALU_DEP_1) | instskip(SKIP_1) | instid1(SALU_CYCLE_1)
	v_cmp_ne_u16_e32 vcc_lo, 0, v10
	s_or_b32 s9, vcc_lo, s9
	s_and_not1_b32 exec_lo, exec_lo, s9
	s_cbranch_execnz .LBB60_65
; %bb.66:                               ;   in Loop: Header=BB60_62 Depth=1
	s_or_b32 exec_lo, exec_lo, s9
.LBB60_67:                              ;   in Loop: Header=BB60_62 Depth=1
	s_delay_alu instid0(SALU_CYCLE_1)
	s_or_b32 exec_lo, exec_lo, s8
	v_and_b32_e32 v10, 0xff, v9
	ds_bpermute_b32 v17, v21, v7
	ds_bpermute_b32 v18, v21, v8
	s_mov_b32 s8, exec_lo
	v_cmp_eq_u16_e32 vcc_lo, 2, v10
	v_and_or_b32 v10, vcc_lo, v22, 0x80000000
	s_delay_alu instid0(VALU_DEP_1) | instskip(NEXT) | instid1(VALU_DEP_1)
	v_ctz_i32_b32_e32 v10, v10
	v_cmpx_le_u32_e64 v23, v10
	s_cbranch_execz .LBB60_69
; %bb.68:                               ;   in Loop: Header=BB60_62 Depth=1
	s_waitcnt lgkmcnt(0)
	v_add_f64 v[7:8], v[7:8], v[17:18]
.LBB60_69:                              ;   in Loop: Header=BB60_62 Depth=1
	s_or_b32 exec_lo, exec_lo, s8
	s_waitcnt lgkmcnt(1)
	ds_bpermute_b32 v17, v24, v7
	s_waitcnt lgkmcnt(1)
	ds_bpermute_b32 v18, v24, v8
	s_mov_b32 s8, exec_lo
	v_cmpx_le_u32_e64 v25, v10
	s_cbranch_execz .LBB60_71
; %bb.70:                               ;   in Loop: Header=BB60_62 Depth=1
	s_waitcnt lgkmcnt(0)
	v_add_f64 v[7:8], v[7:8], v[17:18]
.LBB60_71:                              ;   in Loop: Header=BB60_62 Depth=1
	s_or_b32 exec_lo, exec_lo, s8
	s_waitcnt lgkmcnt(1)
	ds_bpermute_b32 v17, v26, v7
	s_waitcnt lgkmcnt(1)
	ds_bpermute_b32 v18, v26, v8
	s_mov_b32 s8, exec_lo
	;; [unrolled: 12-line block ×4, first 2 shown]
	v_cmpx_le_u32_e64 v31, v10
	s_cbranch_execz .LBB60_61
; %bb.76:                               ;   in Loop: Header=BB60_62 Depth=1
	s_waitcnt lgkmcnt(0)
	v_add_f64 v[7:8], v[7:8], v[17:18]
	s_branch .LBB60_61
.LBB60_77:                              ;   in Loop: Header=BB60_62 Depth=1
                                        ; implicit-def: $vgpr7_vgpr8
	s_cbranch_execz .LBB60_62
; %bb.78:
	s_and_saveexec_b32 s8, s2
	s_cbranch_execz .LBB60_80
; %bb.79:
	s_add_i32 s10, s15, 32
	s_mov_b32 s11, 0
	v_add_f64 v[5:6], v[5:6], v[15:16]
	s_lshl_b64 s[10:11], s[10:11], 4
	v_dual_mov_b32 v7, 2 :: v_dual_mov_b32 v8, 0
	s_add_u32 s10, s4, s10
	s_addc_u32 s11, s5, s11
	s_delay_alu instid0(SALU_CYCLE_1)
	v_dual_mov_b32 v9, s10 :: v_dual_mov_b32 v10, s11
	;;#ASMSTART
	global_store_dwordx4 v[9:10], v[5:8] off	
s_waitcnt vmcnt(0)
	;;#ASMEND
.LBB60_80:
	s_or_b32 exec_lo, exec_lo, s8
	v_cmp_eq_u32_e32 vcc_lo, 0, v0
	s_and_b32 exec_lo, exec_lo, vcc_lo
	s_cbranch_execz .LBB60_82
; %bb.81:
	v_mov_b32_e32 v5, 0
	ds_store_b64 v5, v[15:16] offset:56
.LBB60_82:
	s_or_b32 exec_lo, exec_lo, s3
	s_waitcnt lgkmcnt(0)
	v_cndmask_b32_e64 v6, v20, v12, s2
	v_cndmask_b32_e64 v5, v19, v11, s2
	v_cmp_eq_u32_e32 vcc_lo, 0, v0
	s_barrier
	buffer_gl0_inv
	v_add_f64 v[5:6], v[1:2], v[5:6]
	v_mov_b32_e32 v7, 0
	s_delay_alu instid0(VALU_DEP_2) | instskip(SKIP_3) | instid1(VALU_DEP_1)
	v_cndmask_b32_e32 v6, v6, v2, vcc_lo
	ds_load_b64 v[7:8], v7 offset:56
	v_cndmask_b32_e32 v5, v5, v1, vcc_lo
	s_waitcnt lgkmcnt(0)
	v_add_f64 v[5:6], v[5:6], v[7:8]
	s_delay_alu instid0(VALU_DEP_1) | instskip(NEXT) | instid1(VALU_DEP_1)
	v_add_f64 v[7:8], v[3:4], v[5:6]
	v_add_f64 v[9:10], v[37:38], v[7:8]
	s_delay_alu instid0(VALU_DEP_1) | instskip(NEXT) | instid1(VALU_DEP_1)
	v_add_f64 v[11:12], v[39:40], v[9:10]
	;; [unrolled: 3-line block ×7, first 2 shown]
	v_add_f64 v[33:34], v[61:62], v[31:32]
	s_delay_alu instid0(VALU_DEP_1)
	v_add_f64 v[35:36], v[63:64], v[33:34]
	s_load_b128 s[8:11], s[0:1], 0x38
	s_branch .LBB60_113
.LBB60_83:
                                        ; implicit-def: $vgpr5_vgpr6_vgpr7_vgpr8_vgpr9_vgpr10_vgpr11_vgpr12_vgpr13_vgpr14_vgpr15_vgpr16_vgpr17_vgpr18_vgpr19_vgpr20_vgpr21_vgpr22_vgpr23_vgpr24_vgpr25_vgpr26_vgpr27_vgpr28_vgpr29_vgpr30_vgpr31_vgpr32_vgpr33_vgpr34_vgpr35_vgpr36
	s_load_b128 s[8:11], s[0:1], 0x38
	s_cbranch_execz .LBB60_113
; %bb.84:
	s_load_b32 s2, s[0:1], 0x48
	v_cmp_eq_u32_e32 vcc_lo, 0, v0
	s_waitcnt lgkmcnt(0)
	s_bitcmp1_b32 s2, 0
	v_cmp_ne_u32_e64 s2, 0, v0
	s_cselect_b32 s3, -1, 0
	s_delay_alu instid0(SALU_CYCLE_1) | instskip(NEXT) | instid1(SALU_CYCLE_1)
	s_and_b32 s15, vcc_lo, s3
	s_and_saveexec_b32 s3, s15
	s_cbranch_execz .LBB60_86
; %bb.85:
	s_load_b64 s[8:9], s[8:9], 0x0
	s_waitcnt lgkmcnt(0)
	v_add_f64 v[1:2], v[1:2], s[8:9]
.LBB60_86:
	s_or_b32 exec_lo, exec_lo, s3
	s_delay_alu instid0(VALU_DEP_1) | instskip(SKIP_1) | instid1(VALU_DEP_1)
	v_add_f64 v[33:34], v[1:2], v[3:4]
	s_mov_b32 s8, exec_lo
	v_add_f64 v[5:6], v[37:38], v[33:34]
	s_delay_alu instid0(VALU_DEP_1) | instskip(NEXT) | instid1(VALU_DEP_1)
	v_add_f64 v[7:8], v[39:40], v[5:6]
	v_add_f64 v[9:10], v[41:42], v[7:8]
	s_delay_alu instid0(VALU_DEP_1) | instskip(NEXT) | instid1(VALU_DEP_1)
	v_add_f64 v[11:12], v[43:44], v[9:10]
	;; [unrolled: 3-line block ×7, first 2 shown]
	v_dual_mov_b32 v36, v32 :: v_dual_and_b32 v87, 15, v86
	s_delay_alu instid0(VALU_DEP_2)
	v_mov_b32_dpp v67, v31 row_shr:1 row_mask:0xf bank_mask:0xf
	v_mov_b32_dpp v68, v32 row_shr:1 row_mask:0xf bank_mask:0xf
	v_dual_mov_b32 v35, v31 :: v_dual_mov_b32 v66, v32
	v_mov_b32_e32 v65, v31
	v_cmpx_ne_u32_e32 0, v87
; %bb.87:
	s_delay_alu instid0(VALU_DEP_4) | instskip(NEXT) | instid1(VALU_DEP_1)
	v_add_f64 v[35:36], v[31:32], v[67:68]
	v_dual_mov_b32 v66, v36 :: v_dual_mov_b32 v65, v35
; %bb.88:
	s_or_b32 exec_lo, exec_lo, s8
	s_delay_alu instid0(VALU_DEP_1) | instskip(NEXT) | instid1(VALU_DEP_2)
	v_mov_b32_dpp v67, v65 row_shr:2 row_mask:0xf bank_mask:0xf
	v_mov_b32_dpp v68, v66 row_shr:2 row_mask:0xf bank_mask:0xf
	s_mov_b32 s8, exec_lo
	v_cmpx_lt_u32_e32 1, v87
; %bb.89:
	s_delay_alu instid0(VALU_DEP_2) | instskip(NEXT) | instid1(VALU_DEP_1)
	v_add_f64 v[65:66], v[35:36], v[67:68]
	v_dual_mov_b32 v35, v65 :: v_dual_mov_b32 v36, v66
; %bb.90:
	s_or_b32 exec_lo, exec_lo, s8
	v_mov_b32_dpp v67, v65 row_shr:4 row_mask:0xf bank_mask:0xf
	v_mov_b32_dpp v68, v66 row_shr:4 row_mask:0xf bank_mask:0xf
	s_mov_b32 s8, exec_lo
	v_cmpx_lt_u32_e32 3, v87
; %bb.91:
	s_delay_alu instid0(VALU_DEP_2) | instskip(NEXT) | instid1(VALU_DEP_1)
	v_add_f64 v[65:66], v[35:36], v[67:68]
	v_dual_mov_b32 v35, v65 :: v_dual_mov_b32 v36, v66
; %bb.92:
	s_or_b32 exec_lo, exec_lo, s8
	;; [unrolled: 10-line block ×3, first 2 shown]
	ds_swizzle_b32 v65, v65 offset:swizzle(BROADCAST,32,15)
	ds_swizzle_b32 v66, v66 offset:swizzle(BROADCAST,32,15)
	v_and_b32_e32 v67, 16, v86
	s_mov_b32 s8, exec_lo
	s_delay_alu instid0(VALU_DEP_1)
	v_cmpx_ne_u32_e32 0, v67
	s_cbranch_execz .LBB60_96
; %bb.95:
	s_waitcnt lgkmcnt(0)
	v_add_f64 v[35:36], v[35:36], v[65:66]
.LBB60_96:
	s_or_b32 exec_lo, exec_lo, s8
	s_waitcnt lgkmcnt(1)
	v_or_b32_e32 v65, 31, v0
	v_lshrrev_b32_e32 v87, 5, v0
	s_mov_b32 s8, exec_lo
	s_delay_alu instid0(VALU_DEP_2)
	v_cmpx_eq_u32_e64 v65, v0
	s_cbranch_execz .LBB60_98
; %bb.97:
	s_delay_alu instid0(VALU_DEP_2)
	v_lshlrev_b32_e32 v65, 3, v87
	ds_store_b64 v65, v[35:36]
.LBB60_98:
	s_or_b32 exec_lo, exec_lo, s8
	s_delay_alu instid0(SALU_CYCLE_1)
	s_mov_b32 s8, exec_lo
	s_waitcnt lgkmcnt(0)
	s_barrier
	buffer_gl0_inv
	v_cmpx_gt_u32_e32 8, v0
	s_cbranch_execz .LBB60_106
; %bb.99:
	ds_load_b64 v[65:66], v84
	v_and_b32_e32 v88, 7, v86
	s_mov_b32 s9, exec_lo
	s_waitcnt lgkmcnt(0)
	v_mov_b32_dpp v67, v65 row_shr:1 row_mask:0xf bank_mask:0xf
	v_mov_b32_dpp v68, v66 row_shr:1 row_mask:0xf bank_mask:0xf
	v_cmpx_ne_u32_e32 0, v88
; %bb.100:
	s_delay_alu instid0(VALU_DEP_2)
	v_add_f64 v[65:66], v[65:66], v[67:68]
; %bb.101:
	s_or_b32 exec_lo, exec_lo, s9
	s_delay_alu instid0(VALU_DEP_1) | instskip(NEXT) | instid1(VALU_DEP_2)
	v_mov_b32_dpp v67, v65 row_shr:2 row_mask:0xf bank_mask:0xf
	v_mov_b32_dpp v68, v66 row_shr:2 row_mask:0xf bank_mask:0xf
	s_mov_b32 s9, exec_lo
	v_cmpx_lt_u32_e32 1, v88
; %bb.102:
	s_delay_alu instid0(VALU_DEP_2)
	v_add_f64 v[65:66], v[65:66], v[67:68]
; %bb.103:
	s_or_b32 exec_lo, exec_lo, s9
	s_delay_alu instid0(VALU_DEP_1) | instskip(NEXT) | instid1(VALU_DEP_2)
	v_mov_b32_dpp v67, v65 row_shr:4 row_mask:0xf bank_mask:0xf
	v_mov_b32_dpp v68, v66 row_shr:4 row_mask:0xf bank_mask:0xf
	s_mov_b32 s9, exec_lo
	v_cmpx_lt_u32_e32 3, v88
; %bb.104:
	s_delay_alu instid0(VALU_DEP_2)
	v_add_f64 v[65:66], v[65:66], v[67:68]
; %bb.105:
	s_or_b32 exec_lo, exec_lo, s9
	ds_store_b64 v84, v[65:66]
.LBB60_106:
	s_or_b32 exec_lo, exec_lo, s8
	s_delay_alu instid0(SALU_CYCLE_1)
	s_mov_b32 s8, exec_lo
	s_waitcnt lgkmcnt(0)
	s_barrier
	buffer_gl0_inv
                                        ; implicit-def: $vgpr65_vgpr66
	v_cmpx_lt_u32_e32 31, v0
	s_cbranch_execz .LBB60_108
; %bb.107:
	v_lshl_add_u32 v65, v87, 3, -8
	ds_load_b64 v[65:66], v65
	s_waitcnt lgkmcnt(0)
	v_add_f64 v[35:36], v[35:36], v[65:66]
.LBB60_108:
	s_or_b32 exec_lo, exec_lo, s8
	v_add_nc_u32_e32 v67, -1, v86
	s_delay_alu instid0(VALU_DEP_1) | instskip(NEXT) | instid1(VALU_DEP_1)
	v_cmp_gt_i32_e64 s3, 0, v67
	v_cndmask_b32_e64 v67, v67, v86, s3
	s_delay_alu instid0(VALU_DEP_1)
	v_lshlrev_b32_e32 v67, 2, v67
	ds_bpermute_b32 v35, v67, v35
	ds_bpermute_b32 v36, v67, v36
	s_and_saveexec_b32 s3, s2
	s_cbranch_execz .LBB60_110
; %bb.109:
	v_cmp_eq_u32_e64 s2, 0, v86
	s_waitcnt lgkmcnt(0)
	s_delay_alu instid0(VALU_DEP_1) | instskip(SKIP_1) | instid1(VALU_DEP_1)
	v_cndmask_b32_e64 v6, v36, v66, s2
	v_cndmask_b32_e64 v5, v35, v65, s2
	v_add_f64 v[1:2], v[1:2], v[5:6]
	s_delay_alu instid0(VALU_DEP_1) | instskip(NEXT) | instid1(VALU_DEP_1)
	v_add_f64 v[33:34], v[3:4], v[1:2]
	v_add_f64 v[5:6], v[37:38], v[33:34]
	s_delay_alu instid0(VALU_DEP_1) | instskip(NEXT) | instid1(VALU_DEP_1)
	v_add_f64 v[7:8], v[39:40], v[5:6]
	;; [unrolled: 3-line block ×7, first 2 shown]
	v_add_f64 v[29:30], v[61:62], v[27:28]
	s_delay_alu instid0(VALU_DEP_1)
	v_add_f64 v[31:32], v[63:64], v[29:30]
.LBB60_110:
	s_or_b32 exec_lo, exec_lo, s3
	s_and_saveexec_b32 s2, vcc_lo
	s_cbranch_execz .LBB60_112
; %bb.111:
	v_dual_mov_b32 v38, 0 :: v_dual_mov_b32 v37, 2
	s_add_u32 s4, s4, 0x200
	s_addc_u32 s5, s5, 0
	s_delay_alu instid0(SALU_CYCLE_1)
	v_dual_mov_b32 v3, s4 :: v_dual_mov_b32 v4, s5
	s_waitcnt lgkmcnt(0)
	ds_load_b64 v[35:36], v38 offset:56
	s_waitcnt lgkmcnt(0)
	;;#ASMSTART
	global_store_dwordx4 v[3:4], v[35:38] off	
s_waitcnt vmcnt(0)
	;;#ASMEND
.LBB60_112:
	s_or_b32 exec_lo, exec_lo, s2
	v_dual_mov_b32 v3, v33 :: v_dual_mov_b32 v4, v34
	s_waitcnt lgkmcnt(0)
	s_delay_alu instid0(VALU_DEP_2) | instskip(NEXT) | instid1(VALU_DEP_3)
	v_mov_b32_e32 v36, v32
	v_dual_mov_b32 v35, v31 :: v_dual_mov_b32 v34, v30
	v_dual_mov_b32 v33, v29 :: v_dual_mov_b32 v32, v28
	v_mov_b32_e32 v31, v27
	v_mov_b32_e32 v30, v26
	;; [unrolled: 1-line block ×27, first 2 shown]
.LBB60_113:
	v_lshlrev_b32_e32 v2, 7, v0
	v_lshrrev_b32_e32 v1, 5, v0
	s_add_u32 s2, s6, s12
	s_addc_u32 s3, s7, s13
	s_and_b32 vcc_lo, exec_lo, s17
	s_mov_b32 s4, -1
	s_waitcnt lgkmcnt(0)
	s_barrier
	buffer_gl0_inv
	s_cbranch_vccz .LBB60_115
; %bb.114:
	v_lshl_add_u32 v3, v85, 3, v2
	v_lshrrev_b32_e32 v4, 5, v82
	v_lshrrev_b32_e32 v37, 5, v81
	v_add_lshl_u32 v38, v1, v0, 3
	v_lshrrev_b32_e32 v43, 5, v80
	ds_store_2addr_b64 v3, v[5:6], v[7:8] offset1:1
	ds_store_2addr_b64 v3, v[9:10], v[11:12] offset0:2 offset1:3
	ds_store_2addr_b64 v3, v[13:14], v[15:16] offset0:4 offset1:5
	;; [unrolled: 1-line block ×7, first 2 shown]
	v_lshrrev_b32_e32 v3, 5, v83
	v_add_lshl_u32 v40, v4, v0, 3
	v_add_lshl_u32 v41, v37, v0, 3
	s_waitcnt lgkmcnt(0)
	s_barrier
	v_add_lshl_u32 v39, v3, v0, 3
	buffer_gl0_inv
	v_lshrrev_b32_e32 v52, 5, v75
	ds_load_b64 v[3:4], v38
	ds_load_b64 v[37:38], v39 offset:2048
	ds_load_b64 v[39:40], v40 offset:4096
	;; [unrolled: 1-line block ×3, first 2 shown]
	v_lshrrev_b32_e32 v44, 5, v79
	v_lshrrev_b32_e32 v53, 5, v74
	;; [unrolled: 1-line block ×5, first 2 shown]
	v_add_lshl_u32 v43, v43, v0, 3
	v_add_lshl_u32 v54, v52, v0, 3
	v_lshrrev_b32_e32 v52, 5, v73
	v_add_lshl_u32 v47, v44, v0, 3
	v_add_lshl_u32 v55, v53, v0, 3
	v_lshrrev_b32_e32 v53, 5, v72
	v_lshrrev_b32_e32 v56, 5, v71
	;; [unrolled: 1-line block ×4, first 2 shown]
	v_add_lshl_u32 v48, v45, v0, 3
	v_add_lshl_u32 v51, v51, v0, 3
	v_add_co_u32 v94, s5, s2, v84
	v_add_lshl_u32 v49, v46, v0, 3
	v_add_co_ci_u32_e64 v95, null, s3, 0, s5
	ds_load_b64 v[43:44], v43 offset:8192
	ds_load_b64 v[45:46], v47 offset:10240
	;; [unrolled: 1-line block ×4, first 2 shown]
	v_add_lshl_u32 v59, v52, v0, 3
	v_add_lshl_u32 v60, v53, v0, 3
	;; [unrolled: 1-line block ×5, first 2 shown]
	ds_load_b64 v[51:52], v51 offset:16384
	ds_load_b64 v[53:54], v54 offset:18432
	;; [unrolled: 1-line block ×8, first 2 shown]
	s_waitcnt lgkmcnt(14)
	global_store_b64 v84, v[37:38], s[2:3] offset:2048
	v_add_co_u32 v37, vcc_lo, 0x1000, v94
	v_add_co_ci_u32_e32 v38, vcc_lo, 0, v95, vcc_lo
	v_add_co_u32 v67, vcc_lo, v94, 0x2000
	v_add_co_ci_u32_e32 v68, vcc_lo, 0, v95, vcc_lo
	;; [unrolled: 2-line block ×6, first 2 shown]
	s_waitcnt lgkmcnt(13)
	global_store_b64 v[67:68], v[39:40], off offset:-4096
	s_waitcnt lgkmcnt(11)
	global_store_b64 v[67:68], v[43:44], off
	s_waitcnt lgkmcnt(9)
	global_store_b64 v[90:91], v[47:48], off offset:-4096
	s_waitcnt lgkmcnt(7)
	s_clause 0x3
	global_store_b64 v[90:91], v[51:52], off
	global_store_b64 v[37:38], v[41:42], off offset:2048
	global_store_b64 v[86:87], v[45:46], off offset:2048
	;; [unrolled: 1-line block ×3, first 2 shown]
	s_waitcnt lgkmcnt(6)
	global_store_b64 v[92:93], v[53:54], off offset:2048
	v_add_co_u32 v37, vcc_lo, v94, 0x6000
	v_add_co_ci_u32_e32 v38, vcc_lo, 0, v95, vcc_lo
	v_add_co_u32 v39, vcc_lo, 0x5000, v94
	v_add_co_ci_u32_e32 v40, vcc_lo, 0, v95, vcc_lo
	;; [unrolled: 2-line block ×4, first 2 shown]
	s_mov_b32 s4, 0
	s_waitcnt lgkmcnt(5)
	s_clause 0x1
	global_store_b64 v[37:38], v[55:56], off offset:-4096
	global_store_b64 v84, v[3:4], s[2:3]
	s_waitcnt lgkmcnt(3)
	s_clause 0x1
	global_store_b64 v[37:38], v[59:60], off
	global_store_b64 v[39:40], v[57:58], off offset:2048
	s_waitcnt lgkmcnt(2)
	global_store_b64 v[41:42], v[61:62], off offset:2048
	s_waitcnt lgkmcnt(1)
	global_store_b64 v[43:44], v[63:64], off
	s_waitcnt lgkmcnt(0)
	global_store_b64 v[43:44], v[65:66], off offset:2048
.LBB60_115:
	s_and_not1_b32 vcc_lo, exec_lo, s4
	s_cbranch_vccnz .LBB60_188
; %bb.116:
	v_lshl_add_u32 v2, v85, 3, v2
	v_lshrrev_b32_e32 v3, 5, v82
	v_lshrrev_b32_e32 v4, 5, v81
	v_add_lshl_u32 v1, v1, v0, 3
	ds_store_2addr_b64 v2, v[5:6], v[7:8] offset1:1
	ds_store_2addr_b64 v2, v[9:10], v[11:12] offset0:2 offset1:3
	ds_store_2addr_b64 v2, v[13:14], v[15:16] offset0:4 offset1:5
	;; [unrolled: 1-line block ×7, first 2 shown]
	v_lshrrev_b32_e32 v2, 5, v83
	v_lshrrev_b32_e32 v10, 5, v80
	;; [unrolled: 1-line block ×3, first 2 shown]
	v_add_lshl_u32 v6, v3, v0, 3
	v_lshrrev_b32_e32 v12, 5, v78
	v_add_lshl_u32 v2, v2, v0, 3
	v_add_lshl_u32 v8, v4, v0, 3
	v_lshrrev_b32_e32 v13, 5, v77
	s_waitcnt lgkmcnt(0)
	s_waitcnt_vscnt null, 0x0
	s_barrier
	buffer_gl0_inv
	ds_load_b64 v[4:5], v1
	ds_load_b64 v[2:3], v2 offset:2048
	ds_load_b64 v[6:7], v6 offset:4096
	;; [unrolled: 1-line block ×3, first 2 shown]
	v_add_lshl_u32 v1, v10, v0, 3
	v_lshrrev_b32_e32 v18, 5, v76
	v_add_lshl_u32 v14, v11, v0, 3
	v_lshrrev_b32_e32 v19, 5, v75
	v_lshrrev_b32_e32 v20, 5, v74
	v_add_lshl_u32 v15, v12, v0, 3
	v_add_lshl_u32 v16, v13, v0, 3
	ds_load_b64 v[10:11], v1 offset:8192
	ds_load_b64 v[12:13], v14 offset:10240
	;; [unrolled: 1-line block ×4, first 2 shown]
	v_add_lshl_u32 v1, v18, v0, 3
	v_lshrrev_b32_e32 v18, 5, v73
	v_add_lshl_u32 v21, v19, v0, 3
	v_add_lshl_u32 v22, v20, v0, 3
	v_lshrrev_b32_e32 v19, 5, v72
	v_lshrrev_b32_e32 v20, 5, v71
	;; [unrolled: 1-line block ×4, first 2 shown]
	v_add_lshl_u32 v25, v18, v0, 3
	v_add_lshl_u32 v26, v19, v0, 3
	;; [unrolled: 1-line block ×5, first 2 shown]
	ds_load_b64 v[18:19], v1 offset:16384
	ds_load_b64 v[20:21], v21 offset:18432
	;; [unrolled: 1-line block ×8, first 2 shown]
	v_add_co_u32 v34, s2, s2, v84
	v_mov_b32_e32 v1, 0
	v_add_co_ci_u32_e64 v35, null, s3, 0, s2
	s_mov_b32 s2, exec_lo
	v_cmpx_gt_u32_e64 s14, v0
	s_cbranch_execnz .LBB60_204
; %bb.117:
	s_or_b32 exec_lo, exec_lo, s2
	s_delay_alu instid0(SALU_CYCLE_1)
	s_mov_b32 s2, exec_lo
	v_cmpx_gt_u32_e64 s14, v83
	s_cbranch_execnz .LBB60_205
.LBB60_118:
	s_or_b32 exec_lo, exec_lo, s2
	s_delay_alu instid0(SALU_CYCLE_1)
	s_mov_b32 s2, exec_lo
	v_cmpx_gt_u32_e64 s14, v82
	s_cbranch_execnz .LBB60_206
.LBB60_119:
	s_or_b32 exec_lo, exec_lo, s2
	s_delay_alu instid0(SALU_CYCLE_1)
	s_mov_b32 s2, exec_lo
	v_cmpx_gt_u32_e64 s14, v81
	s_cbranch_execnz .LBB60_207
.LBB60_120:
	s_or_b32 exec_lo, exec_lo, s2
	s_delay_alu instid0(SALU_CYCLE_1)
	s_mov_b32 s2, exec_lo
	v_cmpx_gt_u32_e64 s14, v80
	s_cbranch_execnz .LBB60_208
.LBB60_121:
	s_or_b32 exec_lo, exec_lo, s2
	s_delay_alu instid0(SALU_CYCLE_1)
	s_mov_b32 s2, exec_lo
	v_cmpx_gt_u32_e64 s14, v79
	s_cbranch_execnz .LBB60_209
.LBB60_122:
	s_or_b32 exec_lo, exec_lo, s2
	s_delay_alu instid0(SALU_CYCLE_1)
	s_mov_b32 s2, exec_lo
	v_cmpx_gt_u32_e64 s14, v78
	s_cbranch_execnz .LBB60_210
.LBB60_123:
	s_or_b32 exec_lo, exec_lo, s2
	s_delay_alu instid0(SALU_CYCLE_1)
	s_mov_b32 s2, exec_lo
	v_cmpx_gt_u32_e64 s14, v77
	s_cbranch_execnz .LBB60_211
.LBB60_124:
	s_or_b32 exec_lo, exec_lo, s2
	s_delay_alu instid0(SALU_CYCLE_1)
	s_mov_b32 s2, exec_lo
	v_cmpx_gt_u32_e64 s14, v76
	s_cbranch_execnz .LBB60_212
.LBB60_125:
	s_or_b32 exec_lo, exec_lo, s2
	s_delay_alu instid0(SALU_CYCLE_1)
	s_mov_b32 s2, exec_lo
	v_cmpx_gt_u32_e64 s14, v75
	s_cbranch_execnz .LBB60_213
.LBB60_126:
	s_or_b32 exec_lo, exec_lo, s2
	s_delay_alu instid0(SALU_CYCLE_1)
	s_mov_b32 s2, exec_lo
	v_cmpx_gt_u32_e64 s14, v74
	s_cbranch_execnz .LBB60_214
.LBB60_127:
	s_or_b32 exec_lo, exec_lo, s2
	s_delay_alu instid0(SALU_CYCLE_1)
	s_mov_b32 s2, exec_lo
	v_cmpx_gt_u32_e64 s14, v73
	s_cbranch_execnz .LBB60_215
.LBB60_128:
	s_or_b32 exec_lo, exec_lo, s2
	s_delay_alu instid0(SALU_CYCLE_1)
	s_mov_b32 s2, exec_lo
	v_cmpx_gt_u32_e64 s14, v72
	s_cbranch_execnz .LBB60_216
.LBB60_129:
	s_or_b32 exec_lo, exec_lo, s2
	s_delay_alu instid0(SALU_CYCLE_1)
	s_mov_b32 s2, exec_lo
	v_cmpx_gt_u32_e64 s14, v71
	s_cbranch_execnz .LBB60_217
.LBB60_130:
	s_or_b32 exec_lo, exec_lo, s2
	s_delay_alu instid0(SALU_CYCLE_1)
	s_mov_b32 s2, exec_lo
	v_cmpx_gt_u32_e64 s14, v70
	s_cbranch_execnz .LBB60_218
.LBB60_131:
	s_or_b32 exec_lo, exec_lo, s2
	s_delay_alu instid0(SALU_CYCLE_1)
	s_mov_b32 s2, exec_lo
	v_cmpx_gt_u32_e64 s14, v69
	s_cbranch_execz .LBB60_133
.LBB60_132:
	v_add_co_u32 v34, vcc_lo, 0x7000, v34
	v_add_co_ci_u32_e32 v35, vcc_lo, 0, v35, vcc_lo
	s_waitcnt lgkmcnt(0)
	global_store_b64 v[34:35], v[32:33], off offset:2048
.LBB60_133:
	s_or_b32 exec_lo, exec_lo, s2
	s_load_b32 s0, s[0:1], 0x48
	s_waitcnt lgkmcnt(0)
	s_bfe_u32 s0, s0, 0x10008
	s_delay_alu instid0(SALU_CYCLE_1)
	s_cmp_eq_u32 s0, 0
	s_cbranch_scc1 .LBB60_188
; %bb.134:
	s_add_u32 s0, s14, -1
	s_addc_u32 s1, s16, -1
	s_delay_alu instid0(SALU_CYCLE_1)
	s_lshr_b64 s[2:3], s[0:1], 4
	s_mov_b32 s1, exec_lo
	v_cmpx_eq_u64_e64 s[2:3], v[0:1]
	s_cbranch_execz .LBB60_188
; %bb.135:
	s_and_b32 s0, s0, 15
	s_mov_b32 s1, 0
	s_delay_alu instid0(SALU_CYCLE_1) | instskip(NEXT) | instid1(VALU_DEP_1)
	v_cmp_lt_i64_e64 s2, s[0:1], 8
	s_and_b32 vcc_lo, exec_lo, s2
	s_mov_b32 s2, -1
	s_cbranch_vccnz .LBB60_162
; %bb.136:
	v_cmp_lt_i64_e64 s2, s[0:1], 12
	s_delay_alu instid0(VALU_DEP_1)
	s_and_b32 vcc_lo, exec_lo, s2
	s_mov_b32 s2, -1
	s_cbranch_vccnz .LBB60_149
; %bb.137:
	v_cmp_lt_i64_e64 s2, s[0:1], 14
	s_delay_alu instid0(VALU_DEP_1)
	s_and_b32 vcc_lo, exec_lo, s2
	s_mov_b32 s2, -1
	s_cbranch_vccnz .LBB60_143
; %bb.138:
	v_cmp_gt_i64_e64 s2, s[0:1], 14
	s_delay_alu instid0(VALU_DEP_1)
	s_and_b32 vcc_lo, exec_lo, s2
	s_mov_b32 s2, -1
	s_cbranch_vccz .LBB60_140
; %bb.139:
	v_mov_b32_e32 v0, 0
	s_mov_b32 s2, 0
	global_store_b64 v0, v[32:33], s[10:11]
.LBB60_140:
	s_and_not1_b32 vcc_lo, exec_lo, s2
	s_cbranch_vccnz .LBB60_142
; %bb.141:
	v_mov_b32_e32 v0, 0
	global_store_b64 v0, v[30:31], s[10:11]
.LBB60_142:
	s_mov_b32 s2, 0
.LBB60_143:
	s_delay_alu instid0(SALU_CYCLE_1)
	s_and_not1_b32 vcc_lo, exec_lo, s2
	s_cbranch_vccnz .LBB60_148
; %bb.144:
	v_cmp_gt_i64_e64 s2, s[0:1], 12
	s_delay_alu instid0(VALU_DEP_1)
	s_and_b32 vcc_lo, exec_lo, s2
	s_mov_b32 s2, -1
	s_cbranch_vccz .LBB60_146
; %bb.145:
	v_mov_b32_e32 v0, 0
	s_mov_b32 s2, 0
	global_store_b64 v0, v[28:29], s[10:11]
.LBB60_146:
	s_and_not1_b32 vcc_lo, exec_lo, s2
	s_cbranch_vccnz .LBB60_148
; %bb.147:
	v_mov_b32_e32 v0, 0
	global_store_b64 v0, v[26:27], s[10:11]
.LBB60_148:
	s_mov_b32 s2, 0
.LBB60_149:
	s_delay_alu instid0(SALU_CYCLE_1)
	s_and_not1_b32 vcc_lo, exec_lo, s2
	s_cbranch_vccnz .LBB60_161
; %bb.150:
	v_cmp_lt_i64_e64 s2, s[0:1], 10
	s_delay_alu instid0(VALU_DEP_1)
	s_and_b32 vcc_lo, exec_lo, s2
	s_mov_b32 s2, -1
	s_cbranch_vccnz .LBB60_156
; %bb.151:
	v_cmp_gt_i64_e64 s2, s[0:1], 10
	s_delay_alu instid0(VALU_DEP_1)
	s_and_b32 vcc_lo, exec_lo, s2
	s_mov_b32 s2, -1
	s_cbranch_vccz .LBB60_153
; %bb.152:
	v_mov_b32_e32 v0, 0
	s_mov_b32 s2, 0
	global_store_b64 v0, v[24:25], s[10:11]
.LBB60_153:
	s_and_not1_b32 vcc_lo, exec_lo, s2
	s_cbranch_vccnz .LBB60_155
; %bb.154:
	v_mov_b32_e32 v0, 0
	global_store_b64 v0, v[22:23], s[10:11]
.LBB60_155:
	s_mov_b32 s2, 0
.LBB60_156:
	s_delay_alu instid0(SALU_CYCLE_1)
	s_and_not1_b32 vcc_lo, exec_lo, s2
	s_cbranch_vccnz .LBB60_161
; %bb.157:
	v_cmp_gt_i64_e64 s2, s[0:1], 8
	s_delay_alu instid0(VALU_DEP_1)
	s_and_b32 vcc_lo, exec_lo, s2
	s_mov_b32 s2, -1
	s_cbranch_vccz .LBB60_159
; %bb.158:
	v_mov_b32_e32 v0, 0
	s_mov_b32 s2, 0
	global_store_b64 v0, v[20:21], s[10:11]
.LBB60_159:
	s_and_not1_b32 vcc_lo, exec_lo, s2
	s_cbranch_vccnz .LBB60_161
; %bb.160:
	v_mov_b32_e32 v0, 0
	global_store_b64 v0, v[18:19], s[10:11]
.LBB60_161:
	s_mov_b32 s2, 0
.LBB60_162:
	s_delay_alu instid0(SALU_CYCLE_1)
	s_and_not1_b32 vcc_lo, exec_lo, s2
	s_cbranch_vccnz .LBB60_188
; %bb.163:
	v_cmp_lt_i64_e64 s2, s[0:1], 4
	s_delay_alu instid0(VALU_DEP_1)
	s_and_b32 vcc_lo, exec_lo, s2
	s_mov_b32 s2, -1
	s_cbranch_vccnz .LBB60_176
; %bb.164:
	v_cmp_lt_i64_e64 s2, s[0:1], 6
	s_delay_alu instid0(VALU_DEP_1)
	s_and_b32 vcc_lo, exec_lo, s2
	s_mov_b32 s2, -1
	s_cbranch_vccnz .LBB60_170
; %bb.165:
	v_cmp_gt_i64_e64 s2, s[0:1], 6
	s_delay_alu instid0(VALU_DEP_1)
	s_and_b32 vcc_lo, exec_lo, s2
	s_mov_b32 s2, -1
	s_cbranch_vccz .LBB60_167
; %bb.166:
	v_mov_b32_e32 v0, 0
	s_mov_b32 s2, 0
	global_store_b64 v0, v[16:17], s[10:11]
.LBB60_167:
	s_and_not1_b32 vcc_lo, exec_lo, s2
	s_cbranch_vccnz .LBB60_169
; %bb.168:
	v_mov_b32_e32 v0, 0
	global_store_b64 v0, v[14:15], s[10:11]
.LBB60_169:
	s_mov_b32 s2, 0
.LBB60_170:
	s_delay_alu instid0(SALU_CYCLE_1)
	s_and_not1_b32 vcc_lo, exec_lo, s2
	s_cbranch_vccnz .LBB60_175
; %bb.171:
	v_cmp_gt_i64_e64 s2, s[0:1], 4
	s_delay_alu instid0(VALU_DEP_1)
	s_and_b32 vcc_lo, exec_lo, s2
	s_mov_b32 s2, -1
	s_cbranch_vccz .LBB60_173
; %bb.172:
	v_mov_b32_e32 v0, 0
	s_mov_b32 s2, 0
	global_store_b64 v0, v[12:13], s[10:11]
.LBB60_173:
	s_and_not1_b32 vcc_lo, exec_lo, s2
	s_cbranch_vccnz .LBB60_175
; %bb.174:
	v_mov_b32_e32 v0, 0
	global_store_b64 v0, v[10:11], s[10:11]
.LBB60_175:
	s_mov_b32 s2, 0
.LBB60_176:
	s_delay_alu instid0(SALU_CYCLE_1)
	s_and_not1_b32 vcc_lo, exec_lo, s2
	s_cbranch_vccnz .LBB60_188
; %bb.177:
	v_cmp_lt_i64_e64 s2, s[0:1], 2
	s_delay_alu instid0(VALU_DEP_1)
	s_and_b32 vcc_lo, exec_lo, s2
	s_mov_b32 s2, -1
	s_cbranch_vccnz .LBB60_183
; %bb.178:
	v_cmp_gt_i64_e64 s2, s[0:1], 2
	s_delay_alu instid0(VALU_DEP_1)
	s_and_b32 vcc_lo, exec_lo, s2
	s_mov_b32 s2, -1
	s_cbranch_vccz .LBB60_180
; %bb.179:
	v_mov_b32_e32 v0, 0
	s_mov_b32 s2, 0
	global_store_b64 v0, v[8:9], s[10:11]
.LBB60_180:
	s_and_not1_b32 vcc_lo, exec_lo, s2
	s_cbranch_vccnz .LBB60_182
; %bb.181:
	v_mov_b32_e32 v0, 0
	global_store_b64 v0, v[6:7], s[10:11]
.LBB60_182:
	s_mov_b32 s2, 0
.LBB60_183:
	s_delay_alu instid0(SALU_CYCLE_1)
	s_and_not1_b32 vcc_lo, exec_lo, s2
	s_cbranch_vccnz .LBB60_188
; %bb.184:
	s_cmp_eq_u64 s[0:1], 1
	s_mov_b32 s0, -1
	s_cbranch_scc1 .LBB60_186
; %bb.185:
	v_mov_b32_e32 v0, 0
	s_mov_b32 s0, 0
	global_store_b64 v0, v[4:5], s[10:11]
.LBB60_186:
	s_and_not1_b32 vcc_lo, exec_lo, s0
	s_cbranch_vccnz .LBB60_188
; %bb.187:
	v_mov_b32_e32 v0, 0
	global_store_b64 v0, v[2:3], s[10:11]
.LBB60_188:
	s_nop 0
	s_sendmsg sendmsg(MSG_DEALLOC_VGPRS)
	s_endpgm
.LBB60_189:
	global_load_b64 v[33:34], v[35:36], off
	v_dual_mov_b32 v1, s36 :: v_dual_mov_b32 v2, s37
	v_dual_mov_b32 v3, s38 :: v_dual_mov_b32 v4, s39
	;; [unrolled: 1-line block ×16, first 2 shown]
	s_or_b32 exec_lo, exec_lo, s3
	s_delay_alu instid0(SALU_CYCLE_1)
	s_mov_b32 s2, exec_lo
	v_cmpx_gt_u32_e64 s14, v83
	s_cbranch_execz .LBB60_5
.LBB60_190:
	global_load_b64 v[3:4], v[35:36], off offset:2048
	s_or_b32 exec_lo, exec_lo, s2
	s_delay_alu instid0(SALU_CYCLE_1)
	s_mov_b32 s2, exec_lo
	v_cmpx_gt_u32_e64 s14, v82
	s_cbranch_execz .LBB60_6
.LBB60_191:
	v_add_co_u32 v1, vcc_lo, 0x1000, v35
	v_add_co_ci_u32_e32 v2, vcc_lo, 0, v36, vcc_lo
	global_load_b64 v[5:6], v[1:2], off
	s_or_b32 exec_lo, exec_lo, s2
	s_delay_alu instid0(SALU_CYCLE_1)
	s_mov_b32 s2, exec_lo
	v_cmpx_gt_u32_e64 s14, v81
	s_cbranch_execz .LBB60_7
.LBB60_192:
	v_add_co_u32 v1, vcc_lo, 0x1000, v35
	v_add_co_ci_u32_e32 v2, vcc_lo, 0, v36, vcc_lo
	global_load_b64 v[7:8], v[1:2], off offset:2048
	s_or_b32 exec_lo, exec_lo, s2
	s_delay_alu instid0(SALU_CYCLE_1)
	s_mov_b32 s2, exec_lo
	v_cmpx_gt_u32_e64 s14, v80
	s_cbranch_execz .LBB60_8
.LBB60_193:
	v_add_co_u32 v1, vcc_lo, 0x2000, v35
	v_add_co_ci_u32_e32 v2, vcc_lo, 0, v36, vcc_lo
	global_load_b64 v[9:10], v[1:2], off
	s_or_b32 exec_lo, exec_lo, s2
	s_delay_alu instid0(SALU_CYCLE_1)
	s_mov_b32 s2, exec_lo
	v_cmpx_gt_u32_e64 s14, v79
	s_cbranch_execz .LBB60_9
.LBB60_194:
	v_add_co_u32 v1, vcc_lo, 0x2000, v35
	v_add_co_ci_u32_e32 v2, vcc_lo, 0, v36, vcc_lo
	global_load_b64 v[11:12], v[1:2], off offset:2048
	s_or_b32 exec_lo, exec_lo, s2
	s_delay_alu instid0(SALU_CYCLE_1)
	s_mov_b32 s2, exec_lo
	v_cmpx_gt_u32_e64 s14, v78
	s_cbranch_execz .LBB60_10
.LBB60_195:
	v_add_co_u32 v1, vcc_lo, 0x3000, v35
	v_add_co_ci_u32_e32 v2, vcc_lo, 0, v36, vcc_lo
	global_load_b64 v[13:14], v[1:2], off
	s_or_b32 exec_lo, exec_lo, s2
	s_delay_alu instid0(SALU_CYCLE_1)
	s_mov_b32 s2, exec_lo
	v_cmpx_gt_u32_e64 s14, v77
	s_cbranch_execz .LBB60_11
.LBB60_196:
	v_add_co_u32 v1, vcc_lo, 0x3000, v35
	v_add_co_ci_u32_e32 v2, vcc_lo, 0, v36, vcc_lo
	global_load_b64 v[15:16], v[1:2], off offset:2048
	s_or_b32 exec_lo, exec_lo, s2
	s_delay_alu instid0(SALU_CYCLE_1)
	s_mov_b32 s2, exec_lo
	v_cmpx_gt_u32_e64 s14, v76
	s_cbranch_execz .LBB60_12
.LBB60_197:
	v_add_co_u32 v1, vcc_lo, 0x4000, v35
	v_add_co_ci_u32_e32 v2, vcc_lo, 0, v36, vcc_lo
	global_load_b64 v[17:18], v[1:2], off
	s_or_b32 exec_lo, exec_lo, s2
	s_delay_alu instid0(SALU_CYCLE_1)
	s_mov_b32 s2, exec_lo
	v_cmpx_gt_u32_e64 s14, v75
	s_cbranch_execz .LBB60_13
.LBB60_198:
	v_add_co_u32 v1, vcc_lo, 0x4000, v35
	v_add_co_ci_u32_e32 v2, vcc_lo, 0, v36, vcc_lo
	global_load_b64 v[19:20], v[1:2], off offset:2048
	s_or_b32 exec_lo, exec_lo, s2
	s_delay_alu instid0(SALU_CYCLE_1)
	s_mov_b32 s2, exec_lo
	v_cmpx_gt_u32_e64 s14, v74
	s_cbranch_execz .LBB60_14
.LBB60_199:
	v_add_co_u32 v1, vcc_lo, 0x5000, v35
	v_add_co_ci_u32_e32 v2, vcc_lo, 0, v36, vcc_lo
	global_load_b64 v[21:22], v[1:2], off
	s_or_b32 exec_lo, exec_lo, s2
	s_delay_alu instid0(SALU_CYCLE_1)
	s_mov_b32 s2, exec_lo
	v_cmpx_gt_u32_e64 s14, v73
	s_cbranch_execz .LBB60_15
.LBB60_200:
	v_add_co_u32 v1, vcc_lo, 0x5000, v35
	v_add_co_ci_u32_e32 v2, vcc_lo, 0, v36, vcc_lo
	global_load_b64 v[23:24], v[1:2], off offset:2048
	s_or_b32 exec_lo, exec_lo, s2
	s_delay_alu instid0(SALU_CYCLE_1)
	s_mov_b32 s2, exec_lo
	v_cmpx_gt_u32_e64 s14, v72
	s_cbranch_execz .LBB60_16
.LBB60_201:
	v_add_co_u32 v1, vcc_lo, 0x6000, v35
	v_add_co_ci_u32_e32 v2, vcc_lo, 0, v36, vcc_lo
	global_load_b64 v[25:26], v[1:2], off
	s_or_b32 exec_lo, exec_lo, s2
	s_delay_alu instid0(SALU_CYCLE_1)
	s_mov_b32 s2, exec_lo
	v_cmpx_gt_u32_e64 s14, v71
	s_cbranch_execz .LBB60_17
.LBB60_202:
	v_add_co_u32 v1, vcc_lo, 0x6000, v35
	v_add_co_ci_u32_e32 v2, vcc_lo, 0, v36, vcc_lo
	global_load_b64 v[27:28], v[1:2], off offset:2048
	s_or_b32 exec_lo, exec_lo, s2
	s_delay_alu instid0(SALU_CYCLE_1)
	s_mov_b32 s2, exec_lo
	v_cmpx_gt_u32_e64 s14, v70
	s_cbranch_execz .LBB60_18
.LBB60_203:
	v_add_co_u32 v1, vcc_lo, 0x7000, v35
	v_add_co_ci_u32_e32 v2, vcc_lo, 0, v36, vcc_lo
	global_load_b64 v[29:30], v[1:2], off
	s_or_b32 exec_lo, exec_lo, s2
	s_delay_alu instid0(SALU_CYCLE_1)
	s_mov_b32 s2, exec_lo
	v_cmpx_gt_u32_e64 s14, v69
	s_cbranch_execnz .LBB60_19
	s_branch .LBB60_20
.LBB60_204:
	s_waitcnt lgkmcnt(15)
	global_store_b64 v[34:35], v[4:5], off
	s_or_b32 exec_lo, exec_lo, s2
	s_delay_alu instid0(SALU_CYCLE_1)
	s_mov_b32 s2, exec_lo
	v_cmpx_gt_u32_e64 s14, v83
	s_cbranch_execz .LBB60_118
.LBB60_205:
	s_waitcnt lgkmcnt(14)
	global_store_b64 v[34:35], v[2:3], off offset:2048
	s_or_b32 exec_lo, exec_lo, s2
	s_delay_alu instid0(SALU_CYCLE_1)
	s_mov_b32 s2, exec_lo
	v_cmpx_gt_u32_e64 s14, v82
	s_cbranch_execz .LBB60_119
.LBB60_206:
	v_add_co_u32 v36, vcc_lo, 0x1000, v34
	v_add_co_ci_u32_e32 v37, vcc_lo, 0, v35, vcc_lo
	s_waitcnt lgkmcnt(13)
	global_store_b64 v[36:37], v[6:7], off
	s_or_b32 exec_lo, exec_lo, s2
	s_delay_alu instid0(SALU_CYCLE_1)
	s_mov_b32 s2, exec_lo
	v_cmpx_gt_u32_e64 s14, v81
	s_cbranch_execz .LBB60_120
.LBB60_207:
	v_add_co_u32 v36, vcc_lo, 0x1000, v34
	v_add_co_ci_u32_e32 v37, vcc_lo, 0, v35, vcc_lo
	s_waitcnt lgkmcnt(12)
	global_store_b64 v[36:37], v[8:9], off offset:2048
	s_or_b32 exec_lo, exec_lo, s2
	s_delay_alu instid0(SALU_CYCLE_1)
	s_mov_b32 s2, exec_lo
	v_cmpx_gt_u32_e64 s14, v80
	s_cbranch_execz .LBB60_121
.LBB60_208:
	v_add_co_u32 v36, vcc_lo, 0x2000, v34
	v_add_co_ci_u32_e32 v37, vcc_lo, 0, v35, vcc_lo
	s_waitcnt lgkmcnt(11)
	global_store_b64 v[36:37], v[10:11], off
	s_or_b32 exec_lo, exec_lo, s2
	s_delay_alu instid0(SALU_CYCLE_1)
	s_mov_b32 s2, exec_lo
	v_cmpx_gt_u32_e64 s14, v79
	s_cbranch_execz .LBB60_122
.LBB60_209:
	v_add_co_u32 v36, vcc_lo, 0x2000, v34
	v_add_co_ci_u32_e32 v37, vcc_lo, 0, v35, vcc_lo
	s_waitcnt lgkmcnt(10)
	global_store_b64 v[36:37], v[12:13], off offset:2048
	s_or_b32 exec_lo, exec_lo, s2
	s_delay_alu instid0(SALU_CYCLE_1)
	s_mov_b32 s2, exec_lo
	v_cmpx_gt_u32_e64 s14, v78
	s_cbranch_execz .LBB60_123
.LBB60_210:
	v_add_co_u32 v36, vcc_lo, 0x3000, v34
	v_add_co_ci_u32_e32 v37, vcc_lo, 0, v35, vcc_lo
	s_waitcnt lgkmcnt(9)
	global_store_b64 v[36:37], v[14:15], off
	s_or_b32 exec_lo, exec_lo, s2
	s_delay_alu instid0(SALU_CYCLE_1)
	s_mov_b32 s2, exec_lo
	v_cmpx_gt_u32_e64 s14, v77
	s_cbranch_execz .LBB60_124
.LBB60_211:
	v_add_co_u32 v36, vcc_lo, 0x3000, v34
	v_add_co_ci_u32_e32 v37, vcc_lo, 0, v35, vcc_lo
	s_waitcnt lgkmcnt(8)
	global_store_b64 v[36:37], v[16:17], off offset:2048
	s_or_b32 exec_lo, exec_lo, s2
	s_delay_alu instid0(SALU_CYCLE_1)
	s_mov_b32 s2, exec_lo
	v_cmpx_gt_u32_e64 s14, v76
	s_cbranch_execz .LBB60_125
.LBB60_212:
	v_add_co_u32 v36, vcc_lo, 0x4000, v34
	v_add_co_ci_u32_e32 v37, vcc_lo, 0, v35, vcc_lo
	s_waitcnt lgkmcnt(7)
	global_store_b64 v[36:37], v[18:19], off
	s_or_b32 exec_lo, exec_lo, s2
	s_delay_alu instid0(SALU_CYCLE_1)
	s_mov_b32 s2, exec_lo
	v_cmpx_gt_u32_e64 s14, v75
	s_cbranch_execz .LBB60_126
.LBB60_213:
	v_add_co_u32 v36, vcc_lo, 0x4000, v34
	v_add_co_ci_u32_e32 v37, vcc_lo, 0, v35, vcc_lo
	s_waitcnt lgkmcnt(6)
	global_store_b64 v[36:37], v[20:21], off offset:2048
	s_or_b32 exec_lo, exec_lo, s2
	s_delay_alu instid0(SALU_CYCLE_1)
	s_mov_b32 s2, exec_lo
	v_cmpx_gt_u32_e64 s14, v74
	s_cbranch_execz .LBB60_127
.LBB60_214:
	v_add_co_u32 v36, vcc_lo, 0x5000, v34
	v_add_co_ci_u32_e32 v37, vcc_lo, 0, v35, vcc_lo
	s_waitcnt lgkmcnt(5)
	global_store_b64 v[36:37], v[22:23], off
	s_or_b32 exec_lo, exec_lo, s2
	s_delay_alu instid0(SALU_CYCLE_1)
	s_mov_b32 s2, exec_lo
	v_cmpx_gt_u32_e64 s14, v73
	s_cbranch_execz .LBB60_128
.LBB60_215:
	v_add_co_u32 v36, vcc_lo, 0x5000, v34
	v_add_co_ci_u32_e32 v37, vcc_lo, 0, v35, vcc_lo
	s_waitcnt lgkmcnt(4)
	global_store_b64 v[36:37], v[24:25], off offset:2048
	s_or_b32 exec_lo, exec_lo, s2
	s_delay_alu instid0(SALU_CYCLE_1)
	s_mov_b32 s2, exec_lo
	v_cmpx_gt_u32_e64 s14, v72
	s_cbranch_execz .LBB60_129
.LBB60_216:
	v_add_co_u32 v36, vcc_lo, 0x6000, v34
	v_add_co_ci_u32_e32 v37, vcc_lo, 0, v35, vcc_lo
	s_waitcnt lgkmcnt(3)
	global_store_b64 v[36:37], v[26:27], off
	s_or_b32 exec_lo, exec_lo, s2
	s_delay_alu instid0(SALU_CYCLE_1)
	s_mov_b32 s2, exec_lo
	v_cmpx_gt_u32_e64 s14, v71
	s_cbranch_execz .LBB60_130
.LBB60_217:
	v_add_co_u32 v36, vcc_lo, 0x6000, v34
	v_add_co_ci_u32_e32 v37, vcc_lo, 0, v35, vcc_lo
	s_waitcnt lgkmcnt(2)
	global_store_b64 v[36:37], v[28:29], off offset:2048
	s_or_b32 exec_lo, exec_lo, s2
	s_delay_alu instid0(SALU_CYCLE_1)
	s_mov_b32 s2, exec_lo
	v_cmpx_gt_u32_e64 s14, v70
	s_cbranch_execz .LBB60_131
.LBB60_218:
	v_add_co_u32 v36, vcc_lo, 0x7000, v34
	v_add_co_ci_u32_e32 v37, vcc_lo, 0, v35, vcc_lo
	s_waitcnt lgkmcnt(1)
	global_store_b64 v[36:37], v[30:31], off
	s_or_b32 exec_lo, exec_lo, s2
	s_delay_alu instid0(SALU_CYCLE_1)
	s_mov_b32 s2, exec_lo
	v_cmpx_gt_u32_e64 s14, v69
	s_cbranch_execnz .LBB60_132
	s_branch .LBB60_133
	.section	.rodata,"a",@progbits
	.p2align	6, 0x0
	.amdhsa_kernel _ZN7rocprim17ROCPRIM_304000_NS6detail20lookback_scan_kernelILNS1_25lookback_scan_determinismE0ELb0ENS1_19wrapped_scan_configINS0_14default_configEdEEPKdPdSt4plusIdEddNS1_19lookback_scan_stateIdLb0ELb1EEEEEvT2_T3_mT5_T4_T7_jPT6_SK_bb
		.amdhsa_group_segment_fixed_size 33792
		.amdhsa_private_segment_fixed_size 0
		.amdhsa_kernarg_size 76
		.amdhsa_user_sgpr_count 15
		.amdhsa_user_sgpr_dispatch_ptr 0
		.amdhsa_user_sgpr_queue_ptr 0
		.amdhsa_user_sgpr_kernarg_segment_ptr 1
		.amdhsa_user_sgpr_dispatch_id 0
		.amdhsa_user_sgpr_private_segment_size 0
		.amdhsa_wavefront_size32 1
		.amdhsa_uses_dynamic_stack 0
		.amdhsa_enable_private_segment 0
		.amdhsa_system_sgpr_workgroup_id_x 1
		.amdhsa_system_sgpr_workgroup_id_y 0
		.amdhsa_system_sgpr_workgroup_id_z 0
		.amdhsa_system_sgpr_workgroup_info 0
		.amdhsa_system_vgpr_workitem_id 0
		.amdhsa_next_free_vgpr 96
		.amdhsa_next_free_sgpr 68
		.amdhsa_reserve_vcc 1
		.amdhsa_float_round_mode_32 0
		.amdhsa_float_round_mode_16_64 0
		.amdhsa_float_denorm_mode_32 3
		.amdhsa_float_denorm_mode_16_64 3
		.amdhsa_dx10_clamp 1
		.amdhsa_ieee_mode 1
		.amdhsa_fp16_overflow 0
		.amdhsa_workgroup_processor_mode 1
		.amdhsa_memory_ordered 1
		.amdhsa_forward_progress 0
		.amdhsa_shared_vgpr_count 0
		.amdhsa_exception_fp_ieee_invalid_op 0
		.amdhsa_exception_fp_denorm_src 0
		.amdhsa_exception_fp_ieee_div_zero 0
		.amdhsa_exception_fp_ieee_overflow 0
		.amdhsa_exception_fp_ieee_underflow 0
		.amdhsa_exception_fp_ieee_inexact 0
		.amdhsa_exception_int_div_zero 0
	.end_amdhsa_kernel
	.section	.text._ZN7rocprim17ROCPRIM_304000_NS6detail20lookback_scan_kernelILNS1_25lookback_scan_determinismE0ELb0ENS1_19wrapped_scan_configINS0_14default_configEdEEPKdPdSt4plusIdEddNS1_19lookback_scan_stateIdLb0ELb1EEEEEvT2_T3_mT5_T4_T7_jPT6_SK_bb,"axG",@progbits,_ZN7rocprim17ROCPRIM_304000_NS6detail20lookback_scan_kernelILNS1_25lookback_scan_determinismE0ELb0ENS1_19wrapped_scan_configINS0_14default_configEdEEPKdPdSt4plusIdEddNS1_19lookback_scan_stateIdLb0ELb1EEEEEvT2_T3_mT5_T4_T7_jPT6_SK_bb,comdat
.Lfunc_end60:
	.size	_ZN7rocprim17ROCPRIM_304000_NS6detail20lookback_scan_kernelILNS1_25lookback_scan_determinismE0ELb0ENS1_19wrapped_scan_configINS0_14default_configEdEEPKdPdSt4plusIdEddNS1_19lookback_scan_stateIdLb0ELb1EEEEEvT2_T3_mT5_T4_T7_jPT6_SK_bb, .Lfunc_end60-_ZN7rocprim17ROCPRIM_304000_NS6detail20lookback_scan_kernelILNS1_25lookback_scan_determinismE0ELb0ENS1_19wrapped_scan_configINS0_14default_configEdEEPKdPdSt4plusIdEddNS1_19lookback_scan_stateIdLb0ELb1EEEEEvT2_T3_mT5_T4_T7_jPT6_SK_bb
                                        ; -- End function
	.section	.AMDGPU.csdata,"",@progbits
; Kernel info:
; codeLenInByte = 9988
; NumSgprs: 70
; NumVgprs: 96
; ScratchSize: 0
; MemoryBound: 1
; FloatMode: 240
; IeeeMode: 1
; LDSByteSize: 33792 bytes/workgroup (compile time only)
; SGPRBlocks: 8
; VGPRBlocks: 11
; NumSGPRsForWavesPerEU: 70
; NumVGPRsForWavesPerEU: 96
; Occupancy: 6
; WaveLimiterHint : 1
; COMPUTE_PGM_RSRC2:SCRATCH_EN: 0
; COMPUTE_PGM_RSRC2:USER_SGPR: 15
; COMPUTE_PGM_RSRC2:TRAP_HANDLER: 0
; COMPUTE_PGM_RSRC2:TGID_X_EN: 1
; COMPUTE_PGM_RSRC2:TGID_Y_EN: 0
; COMPUTE_PGM_RSRC2:TGID_Z_EN: 0
; COMPUTE_PGM_RSRC2:TIDIG_COMP_CNT: 0
	.section	.text._ZN7rocprim17ROCPRIM_304000_NS6detail16transform_kernelINS1_24wrapped_transform_configINS0_14default_configEdEEdPdS6_NS0_8identityIdEEEEvT1_mT2_T3_,"axG",@progbits,_ZN7rocprim17ROCPRIM_304000_NS6detail16transform_kernelINS1_24wrapped_transform_configINS0_14default_configEdEEdPdS6_NS0_8identityIdEEEEvT1_mT2_T3_,comdat
	.protected	_ZN7rocprim17ROCPRIM_304000_NS6detail16transform_kernelINS1_24wrapped_transform_configINS0_14default_configEdEEdPdS6_NS0_8identityIdEEEEvT1_mT2_T3_ ; -- Begin function _ZN7rocprim17ROCPRIM_304000_NS6detail16transform_kernelINS1_24wrapped_transform_configINS0_14default_configEdEEdPdS6_NS0_8identityIdEEEEvT1_mT2_T3_
	.globl	_ZN7rocprim17ROCPRIM_304000_NS6detail16transform_kernelINS1_24wrapped_transform_configINS0_14default_configEdEEdPdS6_NS0_8identityIdEEEEvT1_mT2_T3_
	.p2align	8
	.type	_ZN7rocprim17ROCPRIM_304000_NS6detail16transform_kernelINS1_24wrapped_transform_configINS0_14default_configEdEEdPdS6_NS0_8identityIdEEEEvT1_mT2_T3_,@function
_ZN7rocprim17ROCPRIM_304000_NS6detail16transform_kernelINS1_24wrapped_transform_configINS0_14default_configEdEEdPdS6_NS0_8identityIdEEEEvT1_mT2_T3_: ; @_ZN7rocprim17ROCPRIM_304000_NS6detail16transform_kernelINS1_24wrapped_transform_configINS0_14default_configEdEEdPdS6_NS0_8identityIdEEEEvT1_mT2_T3_
; %bb.0:
	s_clause 0x2
	s_load_b32 s3, s[0:1], 0x20
	s_load_b128 s[4:7], s[0:1], 0x0
	s_load_b64 s[0:1], s[0:1], 0x10
	v_lshlrev_b32_e32 v2, 3, v0
	s_lshl_b32 s2, s15, 9
	s_waitcnt lgkmcnt(0)
	s_add_i32 s7, s3, -1
	s_mov_b32 s3, 0
	s_cmp_lg_u32 s15, s7
	s_mov_b32 s7, -1
	s_cbranch_scc0 .LBB61_2
; %bb.1:
	s_lshl_b64 s[8:9], s[2:3], 3
	s_mov_b32 s7, s3
	s_add_u32 s10, s4, s8
	s_addc_u32 s11, s5, s9
	s_add_u32 s8, s0, s8
	global_load_b64 v[3:4], v2, s[10:11]
	s_addc_u32 s9, s1, s9
	s_waitcnt vmcnt(0)
	global_store_b64 v2, v[3:4], s[8:9]
.LBB61_2:
	s_and_not1_b32 vcc_lo, exec_lo, s7
	s_cbranch_vccnz .LBB61_7
; %bb.3:
	s_sub_i32 s6, s6, s2
	s_delay_alu instid0(SALU_CYCLE_1)
	v_cmp_gt_u32_e32 vcc_lo, s6, v0
                                        ; implicit-def: $vgpr0_vgpr1
	s_and_saveexec_b32 s6, vcc_lo
	s_cbranch_execz .LBB61_5
; %bb.4:
	s_lshl_b64 s[8:9], s[2:3], 3
	s_delay_alu instid0(SALU_CYCLE_1)
	s_add_u32 s4, s4, s8
	s_addc_u32 s5, s5, s9
	global_load_b64 v[0:1], v2, s[4:5]
.LBB61_5:
	s_or_b32 exec_lo, exec_lo, s6
	s_and_saveexec_b32 s4, vcc_lo
	s_cbranch_execz .LBB61_7
; %bb.6:
	s_lshl_b64 s[2:3], s[2:3], 3
	s_delay_alu instid0(SALU_CYCLE_1)
	s_add_u32 s0, s0, s2
	s_addc_u32 s1, s1, s3
	s_waitcnt vmcnt(0)
	global_store_b64 v2, v[0:1], s[0:1]
.LBB61_7:
	s_nop 0
	s_sendmsg sendmsg(MSG_DEALLOC_VGPRS)
	s_endpgm
	.section	.rodata,"a",@progbits
	.p2align	6, 0x0
	.amdhsa_kernel _ZN7rocprim17ROCPRIM_304000_NS6detail16transform_kernelINS1_24wrapped_transform_configINS0_14default_configEdEEdPdS6_NS0_8identityIdEEEEvT1_mT2_T3_
		.amdhsa_group_segment_fixed_size 0
		.amdhsa_private_segment_fixed_size 0
		.amdhsa_kernarg_size 288
		.amdhsa_user_sgpr_count 15
		.amdhsa_user_sgpr_dispatch_ptr 0
		.amdhsa_user_sgpr_queue_ptr 0
		.amdhsa_user_sgpr_kernarg_segment_ptr 1
		.amdhsa_user_sgpr_dispatch_id 0
		.amdhsa_user_sgpr_private_segment_size 0
		.amdhsa_wavefront_size32 1
		.amdhsa_uses_dynamic_stack 0
		.amdhsa_enable_private_segment 0
		.amdhsa_system_sgpr_workgroup_id_x 1
		.amdhsa_system_sgpr_workgroup_id_y 0
		.amdhsa_system_sgpr_workgroup_id_z 0
		.amdhsa_system_sgpr_workgroup_info 0
		.amdhsa_system_vgpr_workitem_id 0
		.amdhsa_next_free_vgpr 5
		.amdhsa_next_free_sgpr 16
		.amdhsa_reserve_vcc 1
		.amdhsa_float_round_mode_32 0
		.amdhsa_float_round_mode_16_64 0
		.amdhsa_float_denorm_mode_32 3
		.amdhsa_float_denorm_mode_16_64 3
		.amdhsa_dx10_clamp 1
		.amdhsa_ieee_mode 1
		.amdhsa_fp16_overflow 0
		.amdhsa_workgroup_processor_mode 1
		.amdhsa_memory_ordered 1
		.amdhsa_forward_progress 0
		.amdhsa_shared_vgpr_count 0
		.amdhsa_exception_fp_ieee_invalid_op 0
		.amdhsa_exception_fp_denorm_src 0
		.amdhsa_exception_fp_ieee_div_zero 0
		.amdhsa_exception_fp_ieee_overflow 0
		.amdhsa_exception_fp_ieee_underflow 0
		.amdhsa_exception_fp_ieee_inexact 0
		.amdhsa_exception_int_div_zero 0
	.end_amdhsa_kernel
	.section	.text._ZN7rocprim17ROCPRIM_304000_NS6detail16transform_kernelINS1_24wrapped_transform_configINS0_14default_configEdEEdPdS6_NS0_8identityIdEEEEvT1_mT2_T3_,"axG",@progbits,_ZN7rocprim17ROCPRIM_304000_NS6detail16transform_kernelINS1_24wrapped_transform_configINS0_14default_configEdEEdPdS6_NS0_8identityIdEEEEvT1_mT2_T3_,comdat
.Lfunc_end61:
	.size	_ZN7rocprim17ROCPRIM_304000_NS6detail16transform_kernelINS1_24wrapped_transform_configINS0_14default_configEdEEdPdS6_NS0_8identityIdEEEEvT1_mT2_T3_, .Lfunc_end61-_ZN7rocprim17ROCPRIM_304000_NS6detail16transform_kernelINS1_24wrapped_transform_configINS0_14default_configEdEEdPdS6_NS0_8identityIdEEEEvT1_mT2_T3_
                                        ; -- End function
	.section	.AMDGPU.csdata,"",@progbits
; Kernel info:
; codeLenInByte = 208
; NumSgprs: 18
; NumVgprs: 5
; ScratchSize: 0
; MemoryBound: 0
; FloatMode: 240
; IeeeMode: 1
; LDSByteSize: 0 bytes/workgroup (compile time only)
; SGPRBlocks: 2
; VGPRBlocks: 0
; NumSGPRsForWavesPerEU: 18
; NumVGPRsForWavesPerEU: 5
; Occupancy: 16
; WaveLimiterHint : 0
; COMPUTE_PGM_RSRC2:SCRATCH_EN: 0
; COMPUTE_PGM_RSRC2:USER_SGPR: 15
; COMPUTE_PGM_RSRC2:TRAP_HANDLER: 0
; COMPUTE_PGM_RSRC2:TGID_X_EN: 1
; COMPUTE_PGM_RSRC2:TGID_Y_EN: 0
; COMPUTE_PGM_RSRC2:TGID_Z_EN: 0
; COMPUTE_PGM_RSRC2:TIDIG_COMP_CNT: 0
	.section	.text._ZN7rocprim17ROCPRIM_304000_NS6detail18single_scan_kernelILb0ENS1_19wrapped_scan_configINS0_14default_configEdEEPKdPdSt4plusIdEddEEvT1_mT4_T2_T3_,"axG",@progbits,_ZN7rocprim17ROCPRIM_304000_NS6detail18single_scan_kernelILb0ENS1_19wrapped_scan_configINS0_14default_configEdEEPKdPdSt4plusIdEddEEvT1_mT4_T2_T3_,comdat
	.protected	_ZN7rocprim17ROCPRIM_304000_NS6detail18single_scan_kernelILb0ENS1_19wrapped_scan_configINS0_14default_configEdEEPKdPdSt4plusIdEddEEvT1_mT4_T2_T3_ ; -- Begin function _ZN7rocprim17ROCPRIM_304000_NS6detail18single_scan_kernelILb0ENS1_19wrapped_scan_configINS0_14default_configEdEEPKdPdSt4plusIdEddEEvT1_mT4_T2_T3_
	.globl	_ZN7rocprim17ROCPRIM_304000_NS6detail18single_scan_kernelILb0ENS1_19wrapped_scan_configINS0_14default_configEdEEPKdPdSt4plusIdEddEEvT1_mT4_T2_T3_
	.p2align	8
	.type	_ZN7rocprim17ROCPRIM_304000_NS6detail18single_scan_kernelILb0ENS1_19wrapped_scan_configINS0_14default_configEdEEPKdPdSt4plusIdEddEEvT1_mT4_T2_T3_,@function
_ZN7rocprim17ROCPRIM_304000_NS6detail18single_scan_kernelILb0ENS1_19wrapped_scan_configINS0_14default_configEdEEPKdPdSt4plusIdEddEEvT1_mT4_T2_T3_: ; @_ZN7rocprim17ROCPRIM_304000_NS6detail18single_scan_kernelILb0ENS1_19wrapped_scan_configINS0_14default_configEdEEPKdPdSt4plusIdEddEEvT1_mT4_T2_T3_
; %bb.0:
	s_load_b128 s[16:19], s[0:1], 0x0
	s_waitcnt lgkmcnt(0)
	s_load_b64 s[36:37], s[16:17], 0x0
	v_cmp_gt_u32_e32 vcc_lo, s18, v0
	s_waitcnt lgkmcnt(0)
	s_mov_b32 s38, s36
	s_mov_b32 s39, s37
	;; [unrolled: 1-line block ×30, first 2 shown]
	v_lshlrev_b32_e32 v69, 3, v0
	v_dual_mov_b32 v1, s36 :: v_dual_mov_b32 v4, s39
	v_dual_mov_b32 v2, s37 :: v_dual_mov_b32 v33, s36
	s_delay_alu instid0(VALU_DEP_3) | instskip(NEXT) | instid1(VALU_DEP_1)
	v_add_co_u32 v35, s2, s16, v69
	v_add_co_ci_u32_e64 v36, null, s17, 0, s2
	v_dual_mov_b32 v3, s38 :: v_dual_mov_b32 v6, s41
	v_dual_mov_b32 v5, s40 :: v_dual_mov_b32 v8, s43
	;; [unrolled: 1-line block ×15, first 2 shown]
	s_and_saveexec_b32 s2, vcc_lo
	s_cbranch_execz .LBB62_2
; %bb.1:
	global_load_b64 v[33:34], v[35:36], off
	v_dual_mov_b32 v1, s36 :: v_dual_mov_b32 v2, s37
	v_dual_mov_b32 v3, s38 :: v_dual_mov_b32 v4, s39
	;; [unrolled: 1-line block ×16, first 2 shown]
.LBB62_2:
	s_or_b32 exec_lo, exec_lo, s2
	v_or_b32_e32 v1, 0x100, v0
	s_delay_alu instid0(VALU_DEP_1) | instskip(NEXT) | instid1(VALU_DEP_1)
	v_cmp_gt_u32_e64 s2, s18, v1
	s_and_saveexec_b32 s3, s2
	s_cbranch_execz .LBB62_4
; %bb.3:
	global_load_b64 v[3:4], v[35:36], off offset:2048
.LBB62_4:
	s_or_b32 exec_lo, exec_lo, s3
	v_or_b32_e32 v2, 0x200, v0
	s_delay_alu instid0(VALU_DEP_1) | instskip(NEXT) | instid1(VALU_DEP_1)
	v_cmp_gt_u32_e64 s3, s18, v2
	s_and_saveexec_b32 s5, s3
	s_cbranch_execz .LBB62_6
; %bb.5:
	v_add_co_u32 v5, s4, 0x1000, v35
	s_delay_alu instid0(VALU_DEP_1)
	v_add_co_ci_u32_e64 v6, s4, 0, v36, s4
	global_load_b64 v[5:6], v[5:6], off
.LBB62_6:
	s_or_b32 exec_lo, exec_lo, s5
	v_or_b32_e32 v37, 0x300, v0
	s_delay_alu instid0(VALU_DEP_1) | instskip(NEXT) | instid1(VALU_DEP_1)
	v_cmp_gt_u32_e64 s4, s18, v37
	s_and_saveexec_b32 s6, s4
	s_cbranch_execz .LBB62_8
; %bb.7:
	v_add_co_u32 v7, s5, 0x1000, v35
	s_delay_alu instid0(VALU_DEP_1)
	v_add_co_ci_u32_e64 v8, s5, 0, v36, s5
	global_load_b64 v[7:8], v[7:8], off offset:2048
.LBB62_8:
	s_or_b32 exec_lo, exec_lo, s6
	v_or_b32_e32 v38, 0x400, v0
	s_delay_alu instid0(VALU_DEP_1) | instskip(NEXT) | instid1(VALU_DEP_1)
	v_cmp_gt_u32_e64 s5, s18, v38
	s_and_saveexec_b32 s7, s5
	s_cbranch_execz .LBB62_10
; %bb.9:
	v_add_co_u32 v9, s6, 0x2000, v35
	s_delay_alu instid0(VALU_DEP_1)
	v_add_co_ci_u32_e64 v10, s6, 0, v36, s6
	global_load_b64 v[9:10], v[9:10], off
.LBB62_10:
	s_or_b32 exec_lo, exec_lo, s7
	v_or_b32_e32 v39, 0x500, v0
	s_delay_alu instid0(VALU_DEP_1) | instskip(NEXT) | instid1(VALU_DEP_1)
	v_cmp_gt_u32_e64 s6, s18, v39
	s_and_saveexec_b32 s8, s6
	s_cbranch_execz .LBB62_12
; %bb.11:
	v_add_co_u32 v11, s7, 0x2000, v35
	s_delay_alu instid0(VALU_DEP_1)
	v_add_co_ci_u32_e64 v12, s7, 0, v36, s7
	global_load_b64 v[11:12], v[11:12], off offset:2048
.LBB62_12:
	;; [unrolled: 24-line block ×7, first 2 shown]
	s_or_b32 exec_lo, exec_lo, s18
	v_lshrrev_b32_e32 v1, 2, v1
	v_lshrrev_b32_e32 v2, 2, v2
	;; [unrolled: 1-line block ×5, first 2 shown]
	v_and_b32_e32 v1, 0x78, v1
	v_and_b32_e32 v2, 0xf8, v2
	v_mbcnt_lo_u32_b32 v88, -1, 0
	v_and_b32_e32 v87, 56, v35
	v_lshrrev_b32_e32 v35, 2, v38
	v_add_nc_u32_e32 v71, v1, v69
	v_and_b32_e32 v1, 0xf8, v36
	v_add_nc_u32_e32 v72, v2, v69
	v_and_b32_e32 v2, 0x1f8, v37
	v_add_nc_u32_e32 v70, v87, v69
	s_waitcnt vmcnt(0)
	ds_store_b64 v70, v[33:34]
	ds_store_b64 v71, v[3:4] offset:2048
	v_add_nc_u32_e32 v73, v1, v69
	v_lshrrev_b32_e32 v1, 2, v40
	v_add_nc_u32_e32 v75, v2, v69
	v_lshrrev_b32_e32 v2, 2, v41
	v_lshrrev_b32_e32 v3, 2, v42
	;; [unrolled: 1-line block ×3, first 2 shown]
	v_and_b32_e32 v1, 0x1f8, v1
	v_and_b32_e32 v35, 0x1f8, v35
	ds_store_b64 v72, v[5:6] offset:4096
	v_and_b32_e32 v3, 0x3f8, v3
	v_and_b32_e32 v4, 0x3f8, v4
	v_add_nc_u32_e32 v76, v1, v69
	v_and_b32_e32 v1, 0x1f8, v2
	v_lshrrev_b32_e32 v2, 2, v44
	v_add_nc_u32_e32 v78, v3, v69
	v_lshrrev_b32_e32 v3, 2, v47
	v_add_nc_u32_e32 v79, v4, v69
	v_add_nc_u32_e32 v77, v1, v69
	v_and_b32_e32 v1, 0x3f8, v2
	v_lshrrev_b32_e32 v2, 2, v45
	v_and_b32_e32 v3, 0x3f8, v3
	v_lshrrev_b32_e32 v4, 2, v48
	v_add_nc_u32_e32 v74, v35, v69
	v_add_nc_u32_e32 v80, v1, v69
	v_and_b32_e32 v1, 0x3f8, v2
	v_lshrrev_b32_e32 v2, 2, v46
	v_add_nc_u32_e32 v83, v3, v69
	v_lshrrev_b32_e32 v3, 1, v0
	v_and_b32_e32 v4, 0x3f8, v4
	v_add_nc_u32_e32 v81, v1, v69
	v_and_b32_e32 v1, 0x3f8, v2
	v_lshrrev_b32_e32 v2, 2, v49
	ds_store_b64 v73, v[7:8] offset:6144
	ds_store_b64 v74, v[9:10] offset:8192
	v_add_nc_u32_e32 v84, v4, v69
	ds_store_b64 v75, v[11:12] offset:10240
	v_add_nc_u32_e32 v82, v1, v69
	v_and_b32_e32 v1, 0x3f8, v2
	v_lshlrev_b32_e32 v2, 4, v0
	ds_store_b64 v76, v[13:14] offset:12288
	ds_store_b64 v77, v[15:16] offset:14336
	;; [unrolled: 1-line block ×4, first 2 shown]
	v_add_nc_u32_e32 v85, v1, v69
	v_add_lshl_u32 v86, v3, v2, 3
	ds_store_b64 v80, v[21:22] offset:20480
	ds_store_b64 v81, v[23:24] offset:22528
	;; [unrolled: 1-line block ×6, first 2 shown]
	s_waitcnt lgkmcnt(0)
	s_barrier
	buffer_gl0_inv
	ds_load_2addr_b64 v[1:4], v86 offset1:1
	ds_load_2addr_b64 v[5:8], v86 offset0:2 offset1:3
	ds_load_2addr_b64 v[13:16], v86 offset0:4 offset1:5
	;; [unrolled: 1-line block ×7, first 2 shown]
	v_and_b32_e32 v89, 15, v88
	s_mov_b32 s18, exec_lo
	s_waitcnt lgkmcnt(0)
	s_barrier
	buffer_gl0_inv
	v_add_f64 v[61:62], v[1:2], v[3:4]
	s_delay_alu instid0(VALU_DEP_1) | instskip(NEXT) | instid1(VALU_DEP_1)
	v_add_f64 v[57:58], v[61:62], v[5:6]
	v_add_f64 v[59:60], v[57:58], v[7:8]
	s_delay_alu instid0(VALU_DEP_1) | instskip(NEXT) | instid1(VALU_DEP_1)
	v_add_f64 v[53:54], v[59:60], v[13:14]
	;; [unrolled: 3-line block ×7, first 2 shown]
	v_add_f64 v[35:36], v[33:34], v[27:28]
	s_delay_alu instid0(VALU_DEP_1)
	v_dual_mov_b32 v65, v35 :: v_dual_mov_b32 v64, v36
	v_mov_b32_dpp v67, v35 row_shr:1 row_mask:0xf bank_mask:0xf
	v_mov_b32_dpp v68, v36 row_shr:1 row_mask:0xf bank_mask:0xf
	v_dual_mov_b32 v63, v35 :: v_dual_mov_b32 v66, v36
	v_cmpx_ne_u32_e32 0, v89
; %bb.33:
	s_delay_alu instid0(VALU_DEP_3) | instskip(NEXT) | instid1(VALU_DEP_1)
	v_add_f64 v[63:64], v[35:36], v[67:68]
	v_dual_mov_b32 v66, v64 :: v_dual_mov_b32 v65, v63
; %bb.34:
	s_or_b32 exec_lo, exec_lo, s18
	s_delay_alu instid0(VALU_DEP_1) | instskip(NEXT) | instid1(VALU_DEP_2)
	v_mov_b32_dpp v67, v65 row_shr:2 row_mask:0xf bank_mask:0xf
	v_mov_b32_dpp v68, v66 row_shr:2 row_mask:0xf bank_mask:0xf
	s_mov_b32 s18, exec_lo
	v_cmpx_lt_u32_e32 1, v89
; %bb.35:
	s_delay_alu instid0(VALU_DEP_2) | instskip(NEXT) | instid1(VALU_DEP_1)
	v_add_f64 v[65:66], v[63:64], v[67:68]
	v_dual_mov_b32 v63, v65 :: v_dual_mov_b32 v64, v66
; %bb.36:
	s_or_b32 exec_lo, exec_lo, s18
	v_mov_b32_dpp v67, v65 row_shr:4 row_mask:0xf bank_mask:0xf
	v_mov_b32_dpp v68, v66 row_shr:4 row_mask:0xf bank_mask:0xf
	s_mov_b32 s18, exec_lo
	v_cmpx_lt_u32_e32 3, v89
; %bb.37:
	s_delay_alu instid0(VALU_DEP_2) | instskip(NEXT) | instid1(VALU_DEP_1)
	v_add_f64 v[65:66], v[63:64], v[67:68]
	v_dual_mov_b32 v63, v65 :: v_dual_mov_b32 v64, v66
; %bb.38:
	s_or_b32 exec_lo, exec_lo, s18
	v_mov_b32_dpp v67, v65 row_shr:8 row_mask:0xf bank_mask:0xf
	v_mov_b32_dpp v68, v66 row_shr:8 row_mask:0xf bank_mask:0xf
	s_mov_b32 s18, exec_lo
	v_cmpx_lt_u32_e32 7, v89
; %bb.39:
	s_delay_alu instid0(VALU_DEP_2) | instskip(NEXT) | instid1(VALU_DEP_1)
	v_add_f64 v[63:64], v[63:64], v[67:68]
	v_dual_mov_b32 v66, v64 :: v_dual_mov_b32 v65, v63
; %bb.40:
	s_or_b32 exec_lo, exec_lo, s18
	ds_swizzle_b32 v65, v65 offset:swizzle(BROADCAST,32,15)
	ds_swizzle_b32 v66, v66 offset:swizzle(BROADCAST,32,15)
	v_and_b32_e32 v67, 16, v88
	s_mov_b32 s18, exec_lo
	s_delay_alu instid0(VALU_DEP_1)
	v_cmpx_ne_u32_e32 0, v67
	s_cbranch_execz .LBB62_42
; %bb.41:
	s_waitcnt lgkmcnt(0)
	v_add_f64 v[63:64], v[63:64], v[65:66]
.LBB62_42:
	s_or_b32 exec_lo, exec_lo, s18
	s_waitcnt lgkmcnt(1)
	v_or_b32_e32 v65, 31, v0
	s_mov_b32 s18, exec_lo
	s_delay_alu instid0(VALU_DEP_1)
	v_cmpx_eq_u32_e64 v65, v0
	s_cbranch_execz .LBB62_44
; %bb.43:
	ds_store_b64 v87, v[63:64]
.LBB62_44:
	s_or_b32 exec_lo, exec_lo, s18
	s_delay_alu instid0(SALU_CYCLE_1)
	s_mov_b32 s18, exec_lo
	s_waitcnt lgkmcnt(0)
	s_barrier
	buffer_gl0_inv
	v_cmpx_gt_u32_e32 8, v0
	s_cbranch_execz .LBB62_52
; %bb.45:
	ds_load_b64 v[65:66], v69
	v_and_b32_e32 v89, 7, v88
	s_mov_b32 s19, exec_lo
	s_waitcnt lgkmcnt(0)
	v_mov_b32_dpp v67, v65 row_shr:1 row_mask:0xf bank_mask:0xf
	v_mov_b32_dpp v68, v66 row_shr:1 row_mask:0xf bank_mask:0xf
	v_cmpx_ne_u32_e32 0, v89
; %bb.46:
	s_delay_alu instid0(VALU_DEP_2)
	v_add_f64 v[65:66], v[65:66], v[67:68]
; %bb.47:
	s_or_b32 exec_lo, exec_lo, s19
	s_delay_alu instid0(VALU_DEP_1) | instskip(NEXT) | instid1(VALU_DEP_2)
	v_mov_b32_dpp v67, v65 row_shr:2 row_mask:0xf bank_mask:0xf
	v_mov_b32_dpp v68, v66 row_shr:2 row_mask:0xf bank_mask:0xf
	s_mov_b32 s19, exec_lo
	v_cmpx_lt_u32_e32 1, v89
; %bb.48:
	s_delay_alu instid0(VALU_DEP_2)
	v_add_f64 v[65:66], v[65:66], v[67:68]
; %bb.49:
	s_or_b32 exec_lo, exec_lo, s19
	s_delay_alu instid0(VALU_DEP_1) | instskip(NEXT) | instid1(VALU_DEP_2)
	v_mov_b32_dpp v67, v65 row_shr:4 row_mask:0xf bank_mask:0xf
	v_mov_b32_dpp v68, v66 row_shr:4 row_mask:0xf bank_mask:0xf
	s_mov_b32 s19, exec_lo
	v_cmpx_lt_u32_e32 3, v89
; %bb.50:
	s_delay_alu instid0(VALU_DEP_2)
	v_add_f64 v[65:66], v[65:66], v[67:68]
; %bb.51:
	s_or_b32 exec_lo, exec_lo, s19
	ds_store_b64 v69, v[65:66]
.LBB62_52:
	s_or_b32 exec_lo, exec_lo, s18
	s_delay_alu instid0(SALU_CYCLE_1)
	s_mov_b32 s18, exec_lo
	s_waitcnt lgkmcnt(0)
	s_barrier
	buffer_gl0_inv
                                        ; implicit-def: $vgpr65_vgpr66
	v_cmpx_lt_u32_e32 31, v0
	s_cbranch_execz .LBB62_54
; %bb.53:
	v_add_nc_u32_e32 v65, -8, v87
	ds_load_b64 v[65:66], v65
	s_waitcnt lgkmcnt(0)
	v_add_f64 v[63:64], v[63:64], v[65:66]
.LBB62_54:
	s_or_b32 exec_lo, exec_lo, s18
	v_add_nc_u32_e32 v67, -1, v88
	s_mov_b32 s18, exec_lo
	s_delay_alu instid0(VALU_DEP_1) | instskip(NEXT) | instid1(VALU_DEP_1)
	v_cmp_gt_i32_e64 s17, 0, v67
	v_cndmask_b32_e64 v67, v67, v88, s17
	s_delay_alu instid0(VALU_DEP_1)
	v_lshlrev_b32_e32 v67, 2, v67
	ds_bpermute_b32 v63, v67, v63
	ds_bpermute_b32 v64, v67, v64
	v_cmpx_ne_u32_e32 0, v0
	s_cbranch_execz .LBB62_56
; %bb.55:
	v_cmp_eq_u32_e64 s17, 0, v88
	s_waitcnt lgkmcnt(0)
	s_delay_alu instid0(VALU_DEP_1) | instskip(SKIP_1) | instid1(VALU_DEP_1)
	v_cndmask_b32_e64 v34, v64, v66, s17
	v_cndmask_b32_e64 v33, v63, v65, s17
	v_add_f64 v[1:2], v[1:2], v[33:34]
	s_delay_alu instid0(VALU_DEP_1) | instskip(NEXT) | instid1(VALU_DEP_1)
	v_add_f64 v[61:62], v[3:4], v[1:2]
	v_add_f64 v[57:58], v[5:6], v[61:62]
	s_delay_alu instid0(VALU_DEP_1) | instskip(NEXT) | instid1(VALU_DEP_1)
	v_add_f64 v[59:60], v[7:8], v[57:58]
	;; [unrolled: 3-line block ×7, first 2 shown]
	v_add_f64 v[33:34], v[25:26], v[39:40]
	s_delay_alu instid0(VALU_DEP_1)
	v_add_f64 v[35:36], v[27:28], v[33:34]
.LBB62_56:
	s_or_b32 exec_lo, exec_lo, s18
	s_waitcnt lgkmcnt(0)
	s_barrier
	buffer_gl0_inv
	ds_store_2addr_b64 v86, v[1:2], v[61:62] offset1:1
	ds_store_2addr_b64 v86, v[57:58], v[59:60] offset0:2 offset1:3
	ds_store_2addr_b64 v86, v[53:54], v[55:56] offset0:4 offset1:5
	;; [unrolled: 1-line block ×7, first 2 shown]
	s_waitcnt lgkmcnt(0)
	s_barrier
	buffer_gl0_inv
	ds_load_b64 v[30:31], v71 offset:2048
	ds_load_b64 v[28:29], v72 offset:4096
	;; [unrolled: 1-line block ×15, first 2 shown]
	s_load_b64 s[0:1], s[0:1], 0x18
	s_waitcnt lgkmcnt(0)
	v_add_co_u32 v2, s0, s0, v69
	s_delay_alu instid0(VALU_DEP_1)
	v_add_co_ci_u32_e64 v3, null, s1, 0, s0
	s_and_saveexec_b32 s0, vcc_lo
	s_cbranch_execnz .LBB62_73
; %bb.57:
	s_or_b32 exec_lo, exec_lo, s0
	s_and_saveexec_b32 s0, s2
	s_cbranch_execnz .LBB62_74
.LBB62_58:
	s_or_b32 exec_lo, exec_lo, s0
	s_and_saveexec_b32 s0, s3
	s_cbranch_execnz .LBB62_75
.LBB62_59:
	s_or_b32 exec_lo, exec_lo, s0
	s_and_saveexec_b32 s0, s4
	s_cbranch_execnz .LBB62_76
.LBB62_60:
	s_or_b32 exec_lo, exec_lo, s0
	s_and_saveexec_b32 s0, s5
	s_cbranch_execnz .LBB62_77
.LBB62_61:
	s_or_b32 exec_lo, exec_lo, s0
	s_and_saveexec_b32 s0, s6
	s_cbranch_execnz .LBB62_78
.LBB62_62:
	s_or_b32 exec_lo, exec_lo, s0
	s_and_saveexec_b32 s0, s7
	s_cbranch_execnz .LBB62_79
.LBB62_63:
	s_or_b32 exec_lo, exec_lo, s0
	s_and_saveexec_b32 s0, s8
	s_cbranch_execnz .LBB62_80
.LBB62_64:
	s_or_b32 exec_lo, exec_lo, s0
	s_and_saveexec_b32 s0, s9
	s_cbranch_execnz .LBB62_81
.LBB62_65:
	s_or_b32 exec_lo, exec_lo, s0
	s_and_saveexec_b32 s0, s10
	s_cbranch_execnz .LBB62_82
.LBB62_66:
	s_or_b32 exec_lo, exec_lo, s0
	s_and_saveexec_b32 s0, s11
	s_cbranch_execnz .LBB62_83
.LBB62_67:
	s_or_b32 exec_lo, exec_lo, s0
	s_and_saveexec_b32 s0, s12
	s_cbranch_execnz .LBB62_84
.LBB62_68:
	s_or_b32 exec_lo, exec_lo, s0
	s_and_saveexec_b32 s0, s13
	s_cbranch_execnz .LBB62_85
.LBB62_69:
	s_or_b32 exec_lo, exec_lo, s0
	s_and_saveexec_b32 s0, s14
	s_cbranch_execnz .LBB62_86
.LBB62_70:
	s_or_b32 exec_lo, exec_lo, s0
	s_and_saveexec_b32 s0, s15
	s_cbranch_execnz .LBB62_87
.LBB62_71:
	s_or_b32 exec_lo, exec_lo, s0
	s_and_saveexec_b32 s0, s16
	s_cbranch_execnz .LBB62_88
.LBB62_72:
	s_nop 0
	s_sendmsg sendmsg(MSG_DEALLOC_VGPRS)
	s_endpgm
.LBB62_73:
	ds_load_b64 v[32:33], v70
	s_waitcnt lgkmcnt(0)
	global_store_b64 v[2:3], v[32:33], off
	s_or_b32 exec_lo, exec_lo, s0
	s_and_saveexec_b32 s0, s2
	s_cbranch_execz .LBB62_58
.LBB62_74:
	global_store_b64 v[2:3], v[30:31], off offset:2048
	s_or_b32 exec_lo, exec_lo, s0
	s_and_saveexec_b32 s0, s3
	s_cbranch_execz .LBB62_59
.LBB62_75:
	v_add_co_u32 v30, vcc_lo, 0x1000, v2
	v_add_co_ci_u32_e32 v31, vcc_lo, 0, v3, vcc_lo
	global_store_b64 v[30:31], v[28:29], off
	s_or_b32 exec_lo, exec_lo, s0
	s_and_saveexec_b32 s0, s4
	s_cbranch_execz .LBB62_60
.LBB62_76:
	v_add_co_u32 v28, vcc_lo, 0x1000, v2
	v_add_co_ci_u32_e32 v29, vcc_lo, 0, v3, vcc_lo
	global_store_b64 v[28:29], v[26:27], off offset:2048
	s_or_b32 exec_lo, exec_lo, s0
	s_and_saveexec_b32 s0, s5
	s_cbranch_execz .LBB62_61
.LBB62_77:
	v_add_co_u32 v26, vcc_lo, 0x2000, v2
	v_add_co_ci_u32_e32 v27, vcc_lo, 0, v3, vcc_lo
	global_store_b64 v[26:27], v[24:25], off
	s_or_b32 exec_lo, exec_lo, s0
	s_and_saveexec_b32 s0, s6
	s_cbranch_execz .LBB62_62
.LBB62_78:
	v_add_co_u32 v24, vcc_lo, 0x2000, v2
	v_add_co_ci_u32_e32 v25, vcc_lo, 0, v3, vcc_lo
	global_store_b64 v[24:25], v[22:23], off offset:2048
	s_or_b32 exec_lo, exec_lo, s0
	s_and_saveexec_b32 s0, s7
	s_cbranch_execz .LBB62_63
.LBB62_79:
	v_add_co_u32 v22, vcc_lo, 0x3000, v2
	v_add_co_ci_u32_e32 v23, vcc_lo, 0, v3, vcc_lo
	global_store_b64 v[22:23], v[20:21], off
	s_or_b32 exec_lo, exec_lo, s0
	s_and_saveexec_b32 s0, s8
	s_cbranch_execz .LBB62_64
.LBB62_80:
	v_add_co_u32 v20, vcc_lo, 0x3000, v2
	v_add_co_ci_u32_e32 v21, vcc_lo, 0, v3, vcc_lo
	global_store_b64 v[20:21], v[18:19], off offset:2048
	s_or_b32 exec_lo, exec_lo, s0
	s_and_saveexec_b32 s0, s9
	s_cbranch_execz .LBB62_65
.LBB62_81:
	v_add_co_u32 v18, vcc_lo, 0x4000, v2
	v_add_co_ci_u32_e32 v19, vcc_lo, 0, v3, vcc_lo
	global_store_b64 v[18:19], v[16:17], off
	s_or_b32 exec_lo, exec_lo, s0
	s_and_saveexec_b32 s0, s10
	s_cbranch_execz .LBB62_66
.LBB62_82:
	v_add_co_u32 v16, vcc_lo, 0x4000, v2
	v_add_co_ci_u32_e32 v17, vcc_lo, 0, v3, vcc_lo
	global_store_b64 v[16:17], v[14:15], off offset:2048
	s_or_b32 exec_lo, exec_lo, s0
	s_and_saveexec_b32 s0, s11
	s_cbranch_execz .LBB62_67
.LBB62_83:
	v_add_co_u32 v14, vcc_lo, 0x5000, v2
	v_add_co_ci_u32_e32 v15, vcc_lo, 0, v3, vcc_lo
	global_store_b64 v[14:15], v[12:13], off
	s_or_b32 exec_lo, exec_lo, s0
	s_and_saveexec_b32 s0, s12
	s_cbranch_execz .LBB62_68
.LBB62_84:
	v_add_co_u32 v12, vcc_lo, 0x5000, v2
	v_add_co_ci_u32_e32 v13, vcc_lo, 0, v3, vcc_lo
	global_store_b64 v[12:13], v[10:11], off offset:2048
	s_or_b32 exec_lo, exec_lo, s0
	s_and_saveexec_b32 s0, s13
	s_cbranch_execz .LBB62_69
.LBB62_85:
	v_add_co_u32 v10, vcc_lo, 0x6000, v2
	v_add_co_ci_u32_e32 v11, vcc_lo, 0, v3, vcc_lo
	global_store_b64 v[10:11], v[8:9], off
	s_or_b32 exec_lo, exec_lo, s0
	s_and_saveexec_b32 s0, s14
	s_cbranch_execz .LBB62_70
.LBB62_86:
	v_add_co_u32 v8, vcc_lo, 0x6000, v2
	v_add_co_ci_u32_e32 v9, vcc_lo, 0, v3, vcc_lo
	global_store_b64 v[8:9], v[6:7], off offset:2048
	s_or_b32 exec_lo, exec_lo, s0
	s_and_saveexec_b32 s0, s15
	s_cbranch_execz .LBB62_71
.LBB62_87:
	v_add_co_u32 v6, vcc_lo, 0x7000, v2
	v_add_co_ci_u32_e32 v7, vcc_lo, 0, v3, vcc_lo
	global_store_b64 v[6:7], v[4:5], off
	s_or_b32 exec_lo, exec_lo, s0
	s_and_saveexec_b32 s0, s16
	s_cbranch_execz .LBB62_72
.LBB62_88:
	v_add_co_u32 v2, vcc_lo, 0x7000, v2
	v_add_co_ci_u32_e32 v3, vcc_lo, 0, v3, vcc_lo
	global_store_b64 v[2:3], v[0:1], off offset:2048
	s_nop 0
	s_sendmsg sendmsg(MSG_DEALLOC_VGPRS)
	s_endpgm
	.section	.rodata,"a",@progbits
	.p2align	6, 0x0
	.amdhsa_kernel _ZN7rocprim17ROCPRIM_304000_NS6detail18single_scan_kernelILb0ENS1_19wrapped_scan_configINS0_14default_configEdEEPKdPdSt4plusIdEddEEvT1_mT4_T2_T3_
		.amdhsa_group_segment_fixed_size 33792
		.amdhsa_private_segment_fixed_size 0
		.amdhsa_kernarg_size 36
		.amdhsa_user_sgpr_count 15
		.amdhsa_user_sgpr_dispatch_ptr 0
		.amdhsa_user_sgpr_queue_ptr 0
		.amdhsa_user_sgpr_kernarg_segment_ptr 1
		.amdhsa_user_sgpr_dispatch_id 0
		.amdhsa_user_sgpr_private_segment_size 0
		.amdhsa_wavefront_size32 1
		.amdhsa_uses_dynamic_stack 0
		.amdhsa_enable_private_segment 0
		.amdhsa_system_sgpr_workgroup_id_x 1
		.amdhsa_system_sgpr_workgroup_id_y 0
		.amdhsa_system_sgpr_workgroup_id_z 0
		.amdhsa_system_sgpr_workgroup_info 0
		.amdhsa_system_vgpr_workitem_id 0
		.amdhsa_next_free_vgpr 90
		.amdhsa_next_free_sgpr 68
		.amdhsa_reserve_vcc 1
		.amdhsa_float_round_mode_32 0
		.amdhsa_float_round_mode_16_64 0
		.amdhsa_float_denorm_mode_32 3
		.amdhsa_float_denorm_mode_16_64 3
		.amdhsa_dx10_clamp 1
		.amdhsa_ieee_mode 1
		.amdhsa_fp16_overflow 0
		.amdhsa_workgroup_processor_mode 1
		.amdhsa_memory_ordered 1
		.amdhsa_forward_progress 0
		.amdhsa_shared_vgpr_count 0
		.amdhsa_exception_fp_ieee_invalid_op 0
		.amdhsa_exception_fp_denorm_src 0
		.amdhsa_exception_fp_ieee_div_zero 0
		.amdhsa_exception_fp_ieee_overflow 0
		.amdhsa_exception_fp_ieee_underflow 0
		.amdhsa_exception_fp_ieee_inexact 0
		.amdhsa_exception_int_div_zero 0
	.end_amdhsa_kernel
	.section	.text._ZN7rocprim17ROCPRIM_304000_NS6detail18single_scan_kernelILb0ENS1_19wrapped_scan_configINS0_14default_configEdEEPKdPdSt4plusIdEddEEvT1_mT4_T2_T3_,"axG",@progbits,_ZN7rocprim17ROCPRIM_304000_NS6detail18single_scan_kernelILb0ENS1_19wrapped_scan_configINS0_14default_configEdEEPKdPdSt4plusIdEddEEvT1_mT4_T2_T3_,comdat
.Lfunc_end62:
	.size	_ZN7rocprim17ROCPRIM_304000_NS6detail18single_scan_kernelILb0ENS1_19wrapped_scan_configINS0_14default_configEdEEPKdPdSt4plusIdEddEEvT1_mT4_T2_T3_, .Lfunc_end62-_ZN7rocprim17ROCPRIM_304000_NS6detail18single_scan_kernelILb0ENS1_19wrapped_scan_configINS0_14default_configEdEEPKdPdSt4plusIdEddEEvT1_mT4_T2_T3_
                                        ; -- End function
	.section	.AMDGPU.csdata,"",@progbits
; Kernel info:
; codeLenInByte = 3864
; NumSgprs: 70
; NumVgprs: 90
; ScratchSize: 0
; MemoryBound: 1
; FloatMode: 240
; IeeeMode: 1
; LDSByteSize: 33792 bytes/workgroup (compile time only)
; SGPRBlocks: 8
; VGPRBlocks: 11
; NumSGPRsForWavesPerEU: 70
; NumVGPRsForWavesPerEU: 90
; Occupancy: 6
; WaveLimiterHint : 0
; COMPUTE_PGM_RSRC2:SCRATCH_EN: 0
; COMPUTE_PGM_RSRC2:USER_SGPR: 15
; COMPUTE_PGM_RSRC2:TRAP_HANDLER: 0
; COMPUTE_PGM_RSRC2:TGID_X_EN: 1
; COMPUTE_PGM_RSRC2:TGID_Y_EN: 0
; COMPUTE_PGM_RSRC2:TGID_Z_EN: 0
; COMPUTE_PGM_RSRC2:TIDIG_COMP_CNT: 0
	.section	.text._ZN2at6native32tensor_kernel_scan_innermost_dimIdSt4plusIdEEEvPT_PKS4_jjjS4_T0_,"axG",@progbits,_ZN2at6native32tensor_kernel_scan_innermost_dimIdSt4plusIdEEEvPT_PKS4_jjjS4_T0_,comdat
	.protected	_ZN2at6native32tensor_kernel_scan_innermost_dimIdSt4plusIdEEEvPT_PKS4_jjjS4_T0_ ; -- Begin function _ZN2at6native32tensor_kernel_scan_innermost_dimIdSt4plusIdEEEvPT_PKS4_jjjS4_T0_
	.globl	_ZN2at6native32tensor_kernel_scan_innermost_dimIdSt4plusIdEEEvPT_PKS4_jjjS4_T0_
	.p2align	8
	.type	_ZN2at6native32tensor_kernel_scan_innermost_dimIdSt4plusIdEEEvPT_PKS4_jjjS4_T0_,@function
_ZN2at6native32tensor_kernel_scan_innermost_dimIdSt4plusIdEEEvPT_PKS4_jjjS4_T0_: ; @_ZN2at6native32tensor_kernel_scan_innermost_dimIdSt4plusIdEEEvPT_PKS4_jjjS4_T0_
; %bb.0:
	s_clause 0x1
	s_load_b256 s[16:23], s[0:1], 0x0
	s_load_b64 s[6:7], s[0:1], 0x20
	v_bfe_u32 v12, v0, 10, 10
	s_waitcnt lgkmcnt(0)
	s_lshl_b32 s5, 2, s22
	s_mul_hi_u32 s2, s20, s21
	s_delay_alu instid0(VALU_DEP_1) | instskip(SKIP_3) | instid1(VALU_DEP_1)
	v_mul_lo_u32 v1, s5, v12
	s_mov_b32 s8, s20
	s_cmp_lg_u32 s2, 0
	s_mov_b32 s2, -1
	v_lshl_add_u32 v13, v1, 3, 0
	s_cbranch_scc1 .LBB63_26
; %bb.1:
	s_load_b32 s4, s[0:1], 0x3c
	s_add_u32 s2, s0, 48
	s_addc_u32 s3, s1, 0
	s_waitcnt lgkmcnt(0)
	s_lshr_b32 s4, s4, 16
	s_delay_alu instid0(SALU_CYCLE_1) | instskip(NEXT) | instid1(SALU_CYCLE_1)
	s_mul_i32 s9, s15, s4
	s_cmp_ge_u32 s9, s20
	s_cbranch_scc1 .LBB63_25
; %bb.2:
	s_load_b32 s12, s[2:3], 0x0
	v_dual_mov_b32 v2, 0 :: v_dual_and_b32 v11, 0x3ff, v0
	v_add_nc_u32_e32 v14, -8, v13
	s_lshl_b32 s10, 1, s22
	s_cmp_lg_u32 s21, 0
	s_delay_alu instid0(VALU_DEP_2)
	v_lshl_add_u32 v15, v11, 3, v13
	v_cmp_eq_u32_e64 s2, 0, v11
	v_lshl_add_u32 v16, s5, 3, v14
	s_cselect_b32 s11, -1, 0
	s_add_i32 s13, s22, 1
	v_lshl_add_u32 v17, s10, 3, v15
	s_waitcnt lgkmcnt(0)
	s_mul_i32 s12, s12, s4
	s_branch .LBB63_4
.LBB63_3:                               ;   in Loop: Header=BB63_4 Depth=1
	s_add_i32 s9, s9, s12
	s_delay_alu instid0(SALU_CYCLE_1)
	s_cmp_ge_u32 s9, s20
	s_cbranch_scc1 .LBB63_25
.LBB63_4:                               ; =>This Loop Header: Depth=1
                                        ;     Child Loop BB63_7 Depth 2
                                        ;       Child Loop BB63_16 Depth 3
	s_and_not1_b32 vcc_lo, exec_lo, s11
	s_cbranch_vccnz .LBB63_3
; %bb.5:                                ;   in Loop: Header=BB63_4 Depth=1
	v_add_nc_u32_e32 v5, s9, v12
	s_mov_b32 s14, 0
	s_delay_alu instid0(VALU_DEP_1) | instskip(SKIP_3) | instid1(VALU_DEP_4)
	v_mul_lo_u32 v1, v5, s21
	v_cmp_gt_u32_e32 vcc_lo, s20, v5
	v_cmp_le_u32_e64 s3, s20, v5
	v_dual_mov_b32 v5, s6 :: v_dual_mov_b32 v6, s7
	v_lshlrev_b64 v[3:4], 3, v[1:2]
	s_delay_alu instid0(VALU_DEP_1) | instskip(NEXT) | instid1(VALU_DEP_1)
	v_add_co_u32 v18, s4, s18, v3
	v_add_co_ci_u32_e64 v19, s4, s19, v4, s4
	v_add_co_u32 v20, s4, s16, v3
	s_delay_alu instid0(VALU_DEP_1)
	v_add_co_ci_u32_e64 v21, s4, s17, v4, s4
	s_branch .LBB63_7
.LBB63_6:                               ;   in Loop: Header=BB63_7 Depth=2
	s_or_b32 exec_lo, exec_lo, s23
	ds_load_b64 v[5:6], v16
	s_add_i32 s14, s14, s5
	s_waitcnt lgkmcnt(0)
	s_waitcnt_vscnt null, 0x0
	s_cmp_ge_u32 s14, s21
	s_barrier
	buffer_gl0_inv
	s_cbranch_scc1 .LBB63_3
.LBB63_7:                               ;   Parent Loop BB63_4 Depth=1
                                        ; =>  This Loop Header: Depth=2
                                        ;       Child Loop BB63_16 Depth 3
	v_add_nc_u32_e32 v1, s14, v11
	s_delay_alu instid0(VALU_DEP_1)
	v_add_nc_u32_e32 v3, s10, v1
	s_and_saveexec_b32 s23, vcc_lo
	s_cbranch_execz .LBB63_14
; %bb.8:                                ;   in Loop: Header=BB63_7 Depth=2
	v_dual_mov_b32 v8, s7 :: v_dual_mov_b32 v7, s6
	s_mov_b32 s24, exec_lo
	v_cmpx_gt_u32_e64 s21, v1
	s_cbranch_execz .LBB63_10
; %bb.9:                                ;   in Loop: Header=BB63_7 Depth=2
	v_lshlrev_b64 v[7:8], 3, v[1:2]
	s_delay_alu instid0(VALU_DEP_1) | instskip(NEXT) | instid1(VALU_DEP_1)
	v_add_co_u32 v7, s4, v18, v7
	v_add_co_ci_u32_e64 v8, s4, v19, v8, s4
	global_load_b64 v[7:8], v[7:8], off
.LBB63_10:                              ;   in Loop: Header=BB63_7 Depth=2
	s_or_b32 exec_lo, exec_lo, s24
	v_dual_mov_b32 v10, s7 :: v_dual_mov_b32 v9, s6
	s_mov_b32 s24, exec_lo
	s_waitcnt vmcnt(0)
	ds_store_b64 v15, v[7:8]
	v_cmpx_gt_u32_e64 s21, v3
	s_cbranch_execz .LBB63_12
; %bb.11:                               ;   in Loop: Header=BB63_7 Depth=2
	v_mov_b32_e32 v4, v2
	s_delay_alu instid0(VALU_DEP_1) | instskip(NEXT) | instid1(VALU_DEP_1)
	v_lshlrev_b64 v[7:8], 3, v[3:4]
	v_add_co_u32 v7, s4, v18, v7
	s_delay_alu instid0(VALU_DEP_1)
	v_add_co_ci_u32_e64 v8, s4, v19, v8, s4
	global_load_b64 v[9:10], v[7:8], off
.LBB63_12:                              ;   in Loop: Header=BB63_7 Depth=2
	s_or_b32 exec_lo, exec_lo, s24
	s_waitcnt vmcnt(0)
	ds_store_b64 v17, v[9:10]
	s_and_b32 exec_lo, exec_lo, s2
	s_cbranch_execz .LBB63_14
; %bb.13:                               ;   in Loop: Header=BB63_7 Depth=2
	ds_load_b64 v[7:8], v13
	s_waitcnt lgkmcnt(0)
	v_add_f64 v[4:5], v[5:6], v[7:8]
	ds_store_b64 v13, v[4:5]
.LBB63_14:                              ;   in Loop: Header=BB63_7 Depth=2
	s_or_b32 exec_lo, exec_lo, s23
	v_mov_b32_e32 v4, 0
	s_mov_b32 s23, 0
	s_waitcnt lgkmcnt(0)
	s_barrier
	buffer_gl0_inv
	s_set_inst_prefetch_distance 0x1
	s_branch .LBB63_16
	.p2align	6
.LBB63_15:                              ;   in Loop: Header=BB63_16 Depth=3
	s_or_b32 exec_lo, exec_lo, s4
	s_delay_alu instid0(VALU_DEP_1) | instskip(SKIP_4) | instid1(SALU_CYCLE_1)
	v_cmp_eq_u32_e64 s4, s13, v4
	s_waitcnt lgkmcnt(0)
	s_barrier
	buffer_gl0_inv
	s_or_b32 s23, s4, s23
	s_and_not1_b32 exec_lo, exec_lo, s23
	s_cbranch_execz .LBB63_20
.LBB63_16:                              ;   Parent Loop BB63_4 Depth=1
                                        ;     Parent Loop BB63_7 Depth=2
                                        ; =>    This Inner Loop Header: Depth=3
	v_add_nc_u32_e32 v5, 1, v4
	s_and_saveexec_b32 s4, s3
	s_delay_alu instid0(SALU_CYCLE_1)
	s_xor_b32 s4, exec_lo, s4
; %bb.17:                               ;   in Loop: Header=BB63_16 Depth=3
	v_add_nc_u32_e32 v4, 1, v4
                                        ; implicit-def: $vgpr5
; %bb.18:                               ;   in Loop: Header=BB63_16 Depth=3
	s_and_not1_saveexec_b32 s4, s4
	s_cbranch_execz .LBB63_15
; %bb.19:                               ;   in Loop: Header=BB63_16 Depth=3
	s_delay_alu instid0(VALU_DEP_1) | instskip(SKIP_2) | instid1(VALU_DEP_2)
	v_lshlrev_b32_e64 v6, v4, 1
	v_lshrrev_b32_e32 v7, v4, v11
	v_bfm_b32 v4, v4, 0
	v_lshl_or_b32 v6, v7, v5, v6
	s_delay_alu instid0(VALU_DEP_2) | instskip(NEXT) | instid1(VALU_DEP_2)
	v_and_b32_e32 v4, v4, v11
	v_lshlrev_b32_e32 v6, 3, v6
	s_delay_alu instid0(VALU_DEP_2) | instskip(NEXT) | instid1(VALU_DEP_1)
	v_lshlrev_b32_e32 v4, 3, v4
	v_add3_u32 v10, v13, v6, v4
	v_add_nc_u32_e32 v4, v14, v6
	ds_load_b64 v[6:7], v10
	ds_load_b64 v[8:9], v4
	v_mov_b32_e32 v4, v5
	s_waitcnt lgkmcnt(0)
	v_add_f64 v[6:7], v[6:7], v[8:9]
	ds_store_b64 v10, v[6:7]
	s_branch .LBB63_15
.LBB63_20:                              ;   in Loop: Header=BB63_7 Depth=2
	s_set_inst_prefetch_distance 0x2
	s_or_b32 exec_lo, exec_lo, s23
	s_and_saveexec_b32 s23, vcc_lo
	s_cbranch_execz .LBB63_6
; %bb.21:                               ;   in Loop: Header=BB63_7 Depth=2
	s_mov_b32 s24, exec_lo
	v_cmpx_gt_u32_e64 s21, v1
	s_cbranch_execz .LBB63_23
; %bb.22:                               ;   in Loop: Header=BB63_7 Depth=2
	ds_load_b64 v[4:5], v15
	v_lshlrev_b64 v[6:7], 3, v[1:2]
	s_delay_alu instid0(VALU_DEP_1) | instskip(NEXT) | instid1(VALU_DEP_1)
	v_add_co_u32 v6, s4, v20, v6
	v_add_co_ci_u32_e64 v7, s4, v21, v7, s4
	s_waitcnt lgkmcnt(0)
	global_store_b64 v[6:7], v[4:5], off
.LBB63_23:                              ;   in Loop: Header=BB63_7 Depth=2
	s_or_b32 exec_lo, exec_lo, s24
	v_cmp_gt_u32_e64 s4, s21, v3
	s_delay_alu instid0(VALU_DEP_1)
	s_and_b32 exec_lo, exec_lo, s4
	s_cbranch_execz .LBB63_6
; %bb.24:                               ;   in Loop: Header=BB63_7 Depth=2
	ds_load_b64 v[5:6], v17
	v_mov_b32_e32 v4, v2
	s_delay_alu instid0(VALU_DEP_1) | instskip(NEXT) | instid1(VALU_DEP_1)
	v_lshlrev_b64 v[3:4], 3, v[3:4]
	v_add_co_u32 v3, s4, v20, v3
	s_delay_alu instid0(VALU_DEP_1)
	v_add_co_ci_u32_e64 v4, s4, v21, v4, s4
	s_waitcnt lgkmcnt(0)
	global_store_b64 v[3:4], v[5:6], off
	s_branch .LBB63_6
.LBB63_25:
	s_mov_b32 s2, 0
.LBB63_26:
	s_delay_alu instid0(SALU_CYCLE_1)
	s_and_not1_b32 vcc_lo, exec_lo, s2
	s_cbranch_vccnz .LBB63_53
; %bb.27:
	s_load_b32 s2, s[0:1], 0x3c
	s_add_u32 s0, s0, 48
	s_addc_u32 s1, s1, 0
	s_mov_b32 s9, 0
	s_waitcnt lgkmcnt(0)
	s_lshr_b32 s2, s2, 16
	s_delay_alu instid0(SALU_CYCLE_1) | instskip(SKIP_1) | instid1(SALU_CYCLE_1)
	s_mul_hi_u32 s5, s2, s15
	s_mul_i32 s4, s2, s15
	v_cmp_ge_u64_e64 s3, s[4:5], s[8:9]
	s_delay_alu instid0(VALU_DEP_1)
	s_and_b32 vcc_lo, exec_lo, s3
	s_cbranch_vccnz .LBB63_53
; %bb.28:
	s_load_b32 s1, s[0:1], 0x0
	v_dual_mov_b32 v1, 0 :: v_dual_and_b32 v0, 0x3ff, v0
	s_lshl_b32 s10, 1, s22
	s_and_b32 s2, 0xffff, s2
	s_ashr_i32 s11, s10, 31
	s_cmp_lg_u32 s21, 0
	v_lshl_add_u32 v14, v0, 3, v13
	s_cselect_b32 s3, -1, 0
	s_lshl_b64 s[14:15], s[10:11], 1
	v_cmp_eq_u32_e64 s0, 0, v0
	s_lshl_b32 s13, s14, 3
	v_lshl_add_u32 v16, s10, 3, v14
	v_add3_u32 v15, v13, s13, -8
	s_mov_b32 s12, s21
	s_mov_b32 s13, s9
	s_add_i32 s22, s22, 1
	s_waitcnt lgkmcnt(0)
	s_mul_i32 s23, s1, s2
	s_branch .LBB63_30
.LBB63_29:                              ;   in Loop: Header=BB63_30 Depth=1
	s_add_u32 s4, s4, s23
	s_addc_u32 s5, s5, 0
	s_delay_alu instid0(SALU_CYCLE_1) | instskip(NEXT) | instid1(VALU_DEP_1)
	v_cmp_ge_u64_e64 s1, s[4:5], s[8:9]
	s_and_b32 vcc_lo, exec_lo, s1
	s_cbranch_vccnz .LBB63_53
.LBB63_30:                              ; =>This Loop Header: Depth=1
                                        ;     Child Loop BB63_33 Depth 2
                                        ;       Child Loop BB63_43 Depth 3
	s_and_not1_b32 vcc_lo, exec_lo, s3
	s_cbranch_vccnz .LBB63_29
; %bb.31:                               ;   in Loop: Header=BB63_30 Depth=1
	v_add_co_u32 v2, s1, s4, v12
	s_delay_alu instid0(VALU_DEP_1) | instskip(SKIP_1) | instid1(VALU_DEP_2)
	v_add_co_ci_u32_e64 v3, null, s5, 0, s1
	s_mov_b64 s[20:21], 0
	v_mad_u64_u32 v[4:5], null, v2, s12, 0
	s_delay_alu instid0(VALU_DEP_2) | instskip(SKIP_1) | instid1(VALU_DEP_3)
	v_cmp_gt_u64_e64 s1, s[8:9], v[2:3]
	v_cmp_le_u64_e64 s2, s[8:9], v[2:3]
	v_mad_u64_u32 v[6:7], null, v3, s12, v[5:6]
	s_delay_alu instid0(VALU_DEP_1) | instskip(SKIP_1) | instid1(VALU_DEP_2)
	v_dual_mov_b32 v5, v6 :: v_dual_mov_b32 v6, s6
	v_mov_b32_e32 v7, s7
	v_lshlrev_b64 v[4:5], 3, v[4:5]
	s_delay_alu instid0(VALU_DEP_1) | instskip(NEXT) | instid1(VALU_DEP_2)
	v_add_co_u32 v17, vcc_lo, s18, v4
	v_add_co_ci_u32_e32 v18, vcc_lo, s19, v5, vcc_lo
	v_add_co_u32 v19, vcc_lo, s16, v4
	v_add_co_ci_u32_e32 v20, vcc_lo, s17, v5, vcc_lo
	s_branch .LBB63_33
.LBB63_32:                              ;   in Loop: Header=BB63_33 Depth=2
	s_or_b32 exec_lo, exec_lo, s24
	ds_load_b64 v[6:7], v15
	s_add_u32 s20, s20, s14
	s_addc_u32 s21, s21, s15
	s_waitcnt lgkmcnt(0)
	s_waitcnt_vscnt null, 0x0
	v_cmp_ge_u64_e64 s24, s[20:21], s[12:13]
	s_barrier
	buffer_gl0_inv
	s_and_b32 vcc_lo, exec_lo, s24
	s_cbranch_vccnz .LBB63_29
.LBB63_33:                              ;   Parent Loop BB63_30 Depth=1
                                        ; =>  This Loop Header: Depth=2
                                        ;       Child Loop BB63_43 Depth 3
	v_add_co_u32 v4, s24, s20, v0
	s_delay_alu instid0(VALU_DEP_1) | instskip(NEXT) | instid1(VALU_DEP_2)
	v_add_co_ci_u32_e64 v5, null, s21, 0, s24
	v_add_co_u32 v2, vcc_lo, v4, s10
	s_delay_alu instid0(VALU_DEP_2)
	v_add_co_ci_u32_e32 v3, vcc_lo, s11, v5, vcc_lo
	s_and_saveexec_b32 s24, s1
	s_cbranch_execz .LBB63_40
; %bb.34:                               ;   in Loop: Header=BB63_33 Depth=2
	v_dual_mov_b32 v9, s7 :: v_dual_mov_b32 v8, s6
	s_mov_b32 s25, exec_lo
	v_cmpx_gt_u64_e64 s[12:13], v[4:5]
	s_cbranch_execz .LBB63_36
; %bb.35:                               ;   in Loop: Header=BB63_33 Depth=2
	v_lshlrev_b64 v[8:9], 3, v[4:5]
	s_delay_alu instid0(VALU_DEP_1) | instskip(NEXT) | instid1(VALU_DEP_2)
	v_add_co_u32 v8, vcc_lo, v17, v8
	v_add_co_ci_u32_e32 v9, vcc_lo, v18, v9, vcc_lo
	global_load_b64 v[8:9], v[8:9], off
.LBB63_36:                              ;   in Loop: Header=BB63_33 Depth=2
	s_or_b32 exec_lo, exec_lo, s25
	v_dual_mov_b32 v11, s7 :: v_dual_mov_b32 v10, s6
	s_mov_b32 s25, exec_lo
	s_waitcnt vmcnt(0)
	ds_store_b64 v14, v[8:9]
	v_cmpx_gt_u64_e64 s[12:13], v[2:3]
	s_cbranch_execz .LBB63_38
; %bb.37:                               ;   in Loop: Header=BB63_33 Depth=2
	v_lshlrev_b64 v[8:9], 3, v[2:3]
	s_delay_alu instid0(VALU_DEP_1) | instskip(NEXT) | instid1(VALU_DEP_2)
	v_add_co_u32 v8, vcc_lo, v17, v8
	v_add_co_ci_u32_e32 v9, vcc_lo, v18, v9, vcc_lo
	global_load_b64 v[10:11], v[8:9], off
.LBB63_38:                              ;   in Loop: Header=BB63_33 Depth=2
	s_or_b32 exec_lo, exec_lo, s25
	s_waitcnt vmcnt(0)
	ds_store_b64 v16, v[10:11]
	s_and_b32 exec_lo, exec_lo, s0
	s_cbranch_execz .LBB63_40
; %bb.39:                               ;   in Loop: Header=BB63_33 Depth=2
	ds_load_b64 v[8:9], v13
	s_waitcnt lgkmcnt(0)
	v_add_f64 v[6:7], v[6:7], v[8:9]
	ds_store_b64 v13, v[6:7]
.LBB63_40:                              ;   in Loop: Header=BB63_33 Depth=2
	s_or_b32 exec_lo, exec_lo, s24
	v_mov_b32_e32 v10, 0
	s_mov_b32 s24, 0
	s_waitcnt lgkmcnt(0)
	s_barrier
	buffer_gl0_inv
	s_branch .LBB63_43
.LBB63_41:                              ;   in Loop: Header=BB63_43 Depth=3
	s_or_b32 exec_lo, exec_lo, s26
	v_lshrrev_b32_e32 v8, v10, v0
	s_delay_alu instid0(VALU_DEP_1) | instskip(NEXT) | instid1(VALU_DEP_1)
	v_lshl_or_b32 v6, v8, v9, v6
	v_lshl_add_u32 v6, v6, 3, v13
	s_delay_alu instid0(VALU_DEP_1)
	v_lshl_add_u32 v8, v7, 3, v6
	v_add_nc_u32_e32 v10, -8, v6
	ds_load_b64 v[6:7], v8
	ds_load_b64 v[10:11], v10
	s_waitcnt lgkmcnt(0)
	v_add_f64 v[6:7], v[6:7], v[10:11]
	ds_store_b64 v8, v[6:7]
.LBB63_42:                              ;   in Loop: Header=BB63_43 Depth=3
	s_or_b32 exec_lo, exec_lo, s25
	s_delay_alu instid0(VALU_DEP_1)
	v_cmp_eq_u32_e32 vcc_lo, s22, v9
	v_mov_b32_e32 v10, v9
	s_waitcnt lgkmcnt(0)
	s_barrier
	buffer_gl0_inv
	s_or_b32 s24, vcc_lo, s24
	s_delay_alu instid0(SALU_CYCLE_1)
	s_and_not1_b32 exec_lo, exec_lo, s24
	s_cbranch_execz .LBB63_48
.LBB63_43:                              ;   Parent Loop BB63_30 Depth=1
                                        ;     Parent Loop BB63_33 Depth=2
                                        ; =>    This Inner Loop Header: Depth=3
	v_add_nc_u32_e32 v9, 1, v10
	s_and_saveexec_b32 s25, s2
	s_delay_alu instid0(SALU_CYCLE_1)
	s_xor_b32 s25, exec_lo, s25
; %bb.44:                               ;   in Loop: Header=BB63_43 Depth=3
	v_add_nc_u32_e32 v9, 1, v10
                                        ; implicit-def: $vgpr10
; %bb.45:                               ;   in Loop: Header=BB63_43 Depth=3
	s_and_not1_saveexec_b32 s25, s25
	s_cbranch_execz .LBB63_42
; %bb.46:                               ;   in Loop: Header=BB63_43 Depth=3
	v_lshlrev_b32_e64 v6, v10, 1
	s_delay_alu instid0(VALU_DEP_1) | instskip(NEXT) | instid1(VALU_DEP_1)
	v_ashrrev_i32_e32 v7, 31, v6
	v_cmp_ge_u64_e32 vcc_lo, v[0:1], v[6:7]
	v_dual_mov_b32 v8, v1 :: v_dual_mov_b32 v7, v0
	s_and_saveexec_b32 s26, vcc_lo
	s_cbranch_execz .LBB63_41
; %bb.47:                               ;   in Loop: Header=BB63_43 Depth=3
	v_cvt_f32_u32_e32 v7, v6
	v_sub_nc_u32_e32 v8, 0, v6
	s_delay_alu instid0(VALU_DEP_2) | instskip(SKIP_2) | instid1(VALU_DEP_1)
	v_rcp_iflag_f32_e32 v7, v7
	s_waitcnt_depctr 0xfff
	v_mul_f32_e32 v7, 0x4f7ffffe, v7
	v_cvt_u32_f32_e32 v7, v7
	s_delay_alu instid0(VALU_DEP_1) | instskip(NEXT) | instid1(VALU_DEP_1)
	v_mul_lo_u32 v8, v8, v7
	v_mul_hi_u32 v8, v7, v8
	s_delay_alu instid0(VALU_DEP_1) | instskip(NEXT) | instid1(VALU_DEP_1)
	v_add_nc_u32_e32 v7, v7, v8
	v_mul_hi_u32 v7, v0, v7
	s_delay_alu instid0(VALU_DEP_1) | instskip(NEXT) | instid1(VALU_DEP_1)
	v_mul_lo_u32 v7, v7, v6
	v_sub_nc_u32_e32 v7, v0, v7
	s_delay_alu instid0(VALU_DEP_1) | instskip(SKIP_1) | instid1(VALU_DEP_2)
	v_sub_nc_u32_e32 v8, v7, v6
	v_cmp_ge_u32_e32 vcc_lo, v7, v6
	v_cndmask_b32_e32 v7, v7, v8, vcc_lo
	s_delay_alu instid0(VALU_DEP_1) | instskip(SKIP_1) | instid1(VALU_DEP_2)
	v_sub_nc_u32_e32 v8, v7, v6
	v_cmp_ge_u32_e32 vcc_lo, v7, v6
	v_cndmask_b32_e32 v7, v7, v8, vcc_lo
	s_branch .LBB63_41
.LBB63_48:                              ;   in Loop: Header=BB63_33 Depth=2
	s_or_b32 exec_lo, exec_lo, s24
	s_and_saveexec_b32 s24, s1
	s_cbranch_execz .LBB63_32
; %bb.49:                               ;   in Loop: Header=BB63_33 Depth=2
	s_mov_b32 s25, exec_lo
	v_cmpx_gt_u64_e64 s[12:13], v[4:5]
	s_cbranch_execz .LBB63_51
; %bb.50:                               ;   in Loop: Header=BB63_33 Depth=2
	ds_load_b64 v[6:7], v14
	v_lshlrev_b64 v[4:5], 3, v[4:5]
	s_delay_alu instid0(VALU_DEP_1) | instskip(NEXT) | instid1(VALU_DEP_2)
	v_add_co_u32 v4, vcc_lo, v19, v4
	v_add_co_ci_u32_e32 v5, vcc_lo, v20, v5, vcc_lo
	s_waitcnt lgkmcnt(0)
	global_store_b64 v[4:5], v[6:7], off
.LBB63_51:                              ;   in Loop: Header=BB63_33 Depth=2
	s_or_b32 exec_lo, exec_lo, s25
	v_cmp_gt_u64_e32 vcc_lo, s[12:13], v[2:3]
	s_and_b32 exec_lo, exec_lo, vcc_lo
	s_cbranch_execz .LBB63_32
; %bb.52:                               ;   in Loop: Header=BB63_33 Depth=2
	ds_load_b64 v[4:5], v16
	v_lshlrev_b64 v[2:3], 3, v[2:3]
	s_delay_alu instid0(VALU_DEP_1) | instskip(NEXT) | instid1(VALU_DEP_2)
	v_add_co_u32 v2, vcc_lo, v19, v2
	v_add_co_ci_u32_e32 v3, vcc_lo, v20, v3, vcc_lo
	s_waitcnt lgkmcnt(0)
	global_store_b64 v[2:3], v[4:5], off
	s_branch .LBB63_32
.LBB63_53:
	s_endpgm
	.section	.rodata,"a",@progbits
	.p2align	6, 0x0
	.amdhsa_kernel _ZN2at6native32tensor_kernel_scan_innermost_dimIdSt4plusIdEEEvPT_PKS4_jjjS4_T0_
		.amdhsa_group_segment_fixed_size 0
		.amdhsa_private_segment_fixed_size 0
		.amdhsa_kernarg_size 304
		.amdhsa_user_sgpr_count 15
		.amdhsa_user_sgpr_dispatch_ptr 0
		.amdhsa_user_sgpr_queue_ptr 0
		.amdhsa_user_sgpr_kernarg_segment_ptr 1
		.amdhsa_user_sgpr_dispatch_id 0
		.amdhsa_user_sgpr_private_segment_size 0
		.amdhsa_wavefront_size32 1
		.amdhsa_uses_dynamic_stack 0
		.amdhsa_enable_private_segment 0
		.amdhsa_system_sgpr_workgroup_id_x 1
		.amdhsa_system_sgpr_workgroup_id_y 0
		.amdhsa_system_sgpr_workgroup_id_z 0
		.amdhsa_system_sgpr_workgroup_info 0
		.amdhsa_system_vgpr_workitem_id 1
		.amdhsa_next_free_vgpr 22
		.amdhsa_next_free_sgpr 27
		.amdhsa_reserve_vcc 1
		.amdhsa_float_round_mode_32 0
		.amdhsa_float_round_mode_16_64 0
		.amdhsa_float_denorm_mode_32 3
		.amdhsa_float_denorm_mode_16_64 3
		.amdhsa_dx10_clamp 1
		.amdhsa_ieee_mode 1
		.amdhsa_fp16_overflow 0
		.amdhsa_workgroup_processor_mode 1
		.amdhsa_memory_ordered 1
		.amdhsa_forward_progress 0
		.amdhsa_shared_vgpr_count 0
		.amdhsa_exception_fp_ieee_invalid_op 0
		.amdhsa_exception_fp_denorm_src 0
		.amdhsa_exception_fp_ieee_div_zero 0
		.amdhsa_exception_fp_ieee_overflow 0
		.amdhsa_exception_fp_ieee_underflow 0
		.amdhsa_exception_fp_ieee_inexact 0
		.amdhsa_exception_int_div_zero 0
	.end_amdhsa_kernel
	.section	.text._ZN2at6native32tensor_kernel_scan_innermost_dimIdSt4plusIdEEEvPT_PKS4_jjjS4_T0_,"axG",@progbits,_ZN2at6native32tensor_kernel_scan_innermost_dimIdSt4plusIdEEEvPT_PKS4_jjjS4_T0_,comdat
.Lfunc_end63:
	.size	_ZN2at6native32tensor_kernel_scan_innermost_dimIdSt4plusIdEEEvPT_PKS4_jjjS4_T0_, .Lfunc_end63-_ZN2at6native32tensor_kernel_scan_innermost_dimIdSt4plusIdEEEvPT_PKS4_jjjS4_T0_
                                        ; -- End function
	.section	.AMDGPU.csdata,"",@progbits
; Kernel info:
; codeLenInByte = 2060
; NumSgprs: 29
; NumVgprs: 22
; ScratchSize: 0
; MemoryBound: 0
; FloatMode: 240
; IeeeMode: 1
; LDSByteSize: 0 bytes/workgroup (compile time only)
; SGPRBlocks: 3
; VGPRBlocks: 2
; NumSGPRsForWavesPerEU: 29
; NumVGPRsForWavesPerEU: 22
; Occupancy: 16
; WaveLimiterHint : 0
; COMPUTE_PGM_RSRC2:SCRATCH_EN: 0
; COMPUTE_PGM_RSRC2:USER_SGPR: 15
; COMPUTE_PGM_RSRC2:TRAP_HANDLER: 0
; COMPUTE_PGM_RSRC2:TGID_X_EN: 1
; COMPUTE_PGM_RSRC2:TGID_Y_EN: 0
; COMPUTE_PGM_RSRC2:TGID_Z_EN: 0
; COMPUTE_PGM_RSRC2:TIDIG_COMP_CNT: 1
	.section	.text._ZN2at6native28tensor_kernel_scan_outer_dimIdjSt4plusIdEEEvPT_PKS4_jjjS4_T1_,"axG",@progbits,_ZN2at6native28tensor_kernel_scan_outer_dimIdjSt4plusIdEEEvPT_PKS4_jjjS4_T1_,comdat
	.protected	_ZN2at6native28tensor_kernel_scan_outer_dimIdjSt4plusIdEEEvPT_PKS4_jjjS4_T1_ ; -- Begin function _ZN2at6native28tensor_kernel_scan_outer_dimIdjSt4plusIdEEEvPT_PKS4_jjjS4_T1_
	.globl	_ZN2at6native28tensor_kernel_scan_outer_dimIdjSt4plusIdEEEvPT_PKS4_jjjS4_T1_
	.p2align	8
	.type	_ZN2at6native28tensor_kernel_scan_outer_dimIdjSt4plusIdEEEvPT_PKS4_jjjS4_T1_,@function
_ZN2at6native28tensor_kernel_scan_outer_dimIdjSt4plusIdEEEvPT_PKS4_jjjS4_T1_: ; @_ZN2at6native28tensor_kernel_scan_outer_dimIdjSt4plusIdEEEvPT_PKS4_jjjS4_T1_
; %bb.0:
	s_load_b128 s[4:7], s[0:1], 0x10
	s_waitcnt lgkmcnt(0)
	s_cmp_ge_u32 s14, s4
	s_cbranch_scc1 .LBB64_9
; %bb.1:
	s_clause 0x3
	s_load_b32 s16, s[0:1], 0x3c
	s_load_b32 s7, s[0:1], 0x30
	s_load_b128 s[8:11], s[0:1], 0x0
	s_load_b64 s[2:3], s[0:1], 0x20
	s_add_u32 s12, s0, 48
	s_addc_u32 s13, s1, 0
	s_mul_i32 s0, s14, s6
	v_mov_b32_e32 v3, 0
	s_mul_i32 s20, s0, s5
	s_mov_b32 s17, 0
	s_waitcnt lgkmcnt(0)
	s_and_b32 s1, s16, 0xffff
	s_mov_b32 s16, s5
	v_mad_u64_u32 v[1:2], null, s15, s1, v[0:1]
	s_cmp_lg_u32 s6, 0
	s_mul_i32 s22, s7, s6
	s_cselect_b32 s15, -1, 0
	s_mul_i32 s22, s22, s5
	s_lshl_b64 s[18:19], s[16:17], 3
	s_mov_b32 s16, s20
	s_delay_alu instid0(VALU_DEP_1)
	v_cmp_gt_u32_e64 s0, s5, v1
	s_set_inst_prefetch_distance 0x1
	s_branch .LBB64_3
	.p2align	6
.LBB64_2:                               ;   in Loop: Header=BB64_3 Depth=1
	s_or_b32 exec_lo, exec_lo, s23
	s_add_i32 s14, s7, s14
	s_add_i32 s16, s16, s22
	s_cmp_ge_u32 s14, s4
	s_cbranch_scc1 .LBB64_9
.LBB64_3:                               ; =>This Loop Header: Depth=1
                                        ;     Child Loop BB64_6 Depth 2
                                        ;       Child Loop BB64_8 Depth 3
	s_delay_alu instid0(VALU_DEP_1)
	s_and_saveexec_b32 s23, s0
	s_cbranch_execz .LBB64_2
; %bb.4:                                ;   in Loop: Header=BB64_3 Depth=1
	s_load_b32 s24, s[12:13], 0x4
	v_mov_b32_e32 v2, v1
	s_lshl_b64 s[20:21], s[16:17], 3
	s_mov_b32 s25, 0
	s_waitcnt lgkmcnt(0)
	s_mul_i32 s24, s24, s1
	s_branch .LBB64_6
	.p2align	6
.LBB64_5:                               ;   in Loop: Header=BB64_6 Depth=2
	v_add_nc_u32_e32 v2, s24, v2
	s_delay_alu instid0(VALU_DEP_1) | instskip(SKIP_1) | instid1(SALU_CYCLE_1)
	v_cmp_le_u32_e32 vcc_lo, s5, v2
	s_or_b32 s25, vcc_lo, s25
	s_and_not1_b32 exec_lo, exec_lo, s25
	s_cbranch_execz .LBB64_2
.LBB64_6:                               ;   Parent Loop BB64_3 Depth=1
                                        ; =>  This Loop Header: Depth=2
                                        ;       Child Loop BB64_8 Depth 3
	s_and_not1_b32 vcc_lo, exec_lo, s15
	s_cbranch_vccnz .LBB64_5
; %bb.7:                                ;   in Loop: Header=BB64_6 Depth=2
	v_lshlrev_b64 v[4:5], 3, v[2:3]
	s_mov_b32 s26, s6
	s_delay_alu instid0(VALU_DEP_1) | instskip(NEXT) | instid1(VALU_DEP_2)
	v_add_co_u32 v0, vcc_lo, s20, v4
	v_add_co_ci_u32_e32 v6, vcc_lo, s21, v5, vcc_lo
	v_dual_mov_b32 v5, s3 :: v_dual_mov_b32 v4, s2
	.p2align	6
.LBB64_8:                               ;   Parent Loop BB64_3 Depth=1
                                        ;     Parent Loop BB64_6 Depth=2
                                        ; =>    This Inner Loop Header: Depth=3
	s_delay_alu instid0(VALU_DEP_3) | instskip(NEXT) | instid1(VALU_DEP_3)
	v_add_co_u32 v7, vcc_lo, s10, v0
	v_add_co_ci_u32_e32 v8, vcc_lo, s11, v6, vcc_lo
	s_add_i32 s26, s26, -1
	s_delay_alu instid0(SALU_CYCLE_1)
	s_cmp_eq_u32 s26, 0
	global_load_b64 v[7:8], v[7:8], off
	s_waitcnt vmcnt(0)
	v_add_f64 v[4:5], v[4:5], v[7:8]
	v_add_co_u32 v7, vcc_lo, s8, v0
	v_add_co_ci_u32_e32 v8, vcc_lo, s9, v6, vcc_lo
	v_add_co_u32 v0, vcc_lo, v0, s18
	v_add_co_ci_u32_e32 v6, vcc_lo, s19, v6, vcc_lo
	global_store_b64 v[7:8], v[4:5], off
	s_cbranch_scc0 .LBB64_8
	s_branch .LBB64_5
.LBB64_9:
	s_set_inst_prefetch_distance 0x2
	s_nop 0
	s_sendmsg sendmsg(MSG_DEALLOC_VGPRS)
	s_endpgm
	.section	.rodata,"a",@progbits
	.p2align	6, 0x0
	.amdhsa_kernel _ZN2at6native28tensor_kernel_scan_outer_dimIdjSt4plusIdEEEvPT_PKS4_jjjS4_T1_
		.amdhsa_group_segment_fixed_size 0
		.amdhsa_private_segment_fixed_size 0
		.amdhsa_kernarg_size 304
		.amdhsa_user_sgpr_count 14
		.amdhsa_user_sgpr_dispatch_ptr 0
		.amdhsa_user_sgpr_queue_ptr 0
		.amdhsa_user_sgpr_kernarg_segment_ptr 1
		.amdhsa_user_sgpr_dispatch_id 0
		.amdhsa_user_sgpr_private_segment_size 0
		.amdhsa_wavefront_size32 1
		.amdhsa_uses_dynamic_stack 0
		.amdhsa_enable_private_segment 0
		.amdhsa_system_sgpr_workgroup_id_x 1
		.amdhsa_system_sgpr_workgroup_id_y 1
		.amdhsa_system_sgpr_workgroup_id_z 0
		.amdhsa_system_sgpr_workgroup_info 0
		.amdhsa_system_vgpr_workitem_id 0
		.amdhsa_next_free_vgpr 9
		.amdhsa_next_free_sgpr 27
		.amdhsa_reserve_vcc 1
		.amdhsa_float_round_mode_32 0
		.amdhsa_float_round_mode_16_64 0
		.amdhsa_float_denorm_mode_32 3
		.amdhsa_float_denorm_mode_16_64 3
		.amdhsa_dx10_clamp 1
		.amdhsa_ieee_mode 1
		.amdhsa_fp16_overflow 0
		.amdhsa_workgroup_processor_mode 1
		.amdhsa_memory_ordered 1
		.amdhsa_forward_progress 0
		.amdhsa_shared_vgpr_count 0
		.amdhsa_exception_fp_ieee_invalid_op 0
		.amdhsa_exception_fp_denorm_src 0
		.amdhsa_exception_fp_ieee_div_zero 0
		.amdhsa_exception_fp_ieee_overflow 0
		.amdhsa_exception_fp_ieee_underflow 0
		.amdhsa_exception_fp_ieee_inexact 0
		.amdhsa_exception_int_div_zero 0
	.end_amdhsa_kernel
	.section	.text._ZN2at6native28tensor_kernel_scan_outer_dimIdjSt4plusIdEEEvPT_PKS4_jjjS4_T1_,"axG",@progbits,_ZN2at6native28tensor_kernel_scan_outer_dimIdjSt4plusIdEEEvPT_PKS4_jjjS4_T1_,comdat
.Lfunc_end64:
	.size	_ZN2at6native28tensor_kernel_scan_outer_dimIdjSt4plusIdEEEvPT_PKS4_jjjS4_T1_, .Lfunc_end64-_ZN2at6native28tensor_kernel_scan_outer_dimIdjSt4plusIdEEEvPT_PKS4_jjjS4_T1_
                                        ; -- End function
	.section	.AMDGPU.csdata,"",@progbits
; Kernel info:
; codeLenInByte = 384
; NumSgprs: 29
; NumVgprs: 9
; ScratchSize: 0
; MemoryBound: 0
; FloatMode: 240
; IeeeMode: 1
; LDSByteSize: 0 bytes/workgroup (compile time only)
; SGPRBlocks: 3
; VGPRBlocks: 1
; NumSGPRsForWavesPerEU: 29
; NumVGPRsForWavesPerEU: 9
; Occupancy: 16
; WaveLimiterHint : 0
; COMPUTE_PGM_RSRC2:SCRATCH_EN: 0
; COMPUTE_PGM_RSRC2:USER_SGPR: 14
; COMPUTE_PGM_RSRC2:TRAP_HANDLER: 0
; COMPUTE_PGM_RSRC2:TGID_X_EN: 1
; COMPUTE_PGM_RSRC2:TGID_Y_EN: 1
; COMPUTE_PGM_RSRC2:TGID_Z_EN: 0
; COMPUTE_PGM_RSRC2:TIDIG_COMP_CNT: 0
	.section	.text._ZN2at6native28tensor_kernel_scan_outer_dimIdmSt4plusIdEEEvPT_PKS4_jjjS4_T1_,"axG",@progbits,_ZN2at6native28tensor_kernel_scan_outer_dimIdmSt4plusIdEEEvPT_PKS4_jjjS4_T1_,comdat
	.protected	_ZN2at6native28tensor_kernel_scan_outer_dimIdmSt4plusIdEEEvPT_PKS4_jjjS4_T1_ ; -- Begin function _ZN2at6native28tensor_kernel_scan_outer_dimIdmSt4plusIdEEEvPT_PKS4_jjjS4_T1_
	.globl	_ZN2at6native28tensor_kernel_scan_outer_dimIdmSt4plusIdEEEvPT_PKS4_jjjS4_T1_
	.p2align	8
	.type	_ZN2at6native28tensor_kernel_scan_outer_dimIdmSt4plusIdEEEvPT_PKS4_jjjS4_T1_,@function
_ZN2at6native28tensor_kernel_scan_outer_dimIdmSt4plusIdEEEvPT_PKS4_jjjS4_T1_: ; @_ZN2at6native28tensor_kernel_scan_outer_dimIdmSt4plusIdEEEvPT_PKS4_jjjS4_T1_
; %bb.0:
	s_load_b128 s[4:7], s[0:1], 0x10
	s_waitcnt lgkmcnt(0)
	s_cmp_ge_u32 s14, s4
	s_cbranch_scc1 .LBB65_9
; %bb.1:
	s_clause 0x3
	s_load_b32 s16, s[0:1], 0x3c
	s_load_b32 s7, s[0:1], 0x30
	s_load_b128 s[8:11], s[0:1], 0x0
	s_load_b64 s[2:3], s[0:1], 0x20
	s_add_u32 s12, s0, 48
	s_addc_u32 s13, s1, 0
	v_mov_b32_e32 v3, 0
	s_mov_b32 s19, 0
	s_mul_hi_u32 s17, s6, s5
	s_mov_b32 s18, s5
	s_waitcnt lgkmcnt(0)
	s_and_b32 s1, s16, 0xffff
	s_cmp_lg_u32 s6, 0
	v_mad_u64_u32 v[1:2], null, s15, s1, v[0:1]
	s_mul_i32 s16, s6, s5
	s_cselect_b32 s15, -1, 0
	s_lshl_b64 s[16:17], s[16:17], 3
	s_lshl_b64 s[18:19], s[18:19], 3
	s_delay_alu instid0(VALU_DEP_1)
	v_cmp_gt_u32_e64 s0, s5, v1
	s_branch .LBB65_3
.LBB65_2:                               ;   in Loop: Header=BB65_3 Depth=1
	s_set_inst_prefetch_distance 0x2
	s_or_b32 exec_lo, exec_lo, s20
	s_add_i32 s14, s14, s7
	s_delay_alu instid0(SALU_CYCLE_1)
	s_cmp_ge_u32 s14, s4
	s_cbranch_scc1 .LBB65_9
.LBB65_3:                               ; =>This Loop Header: Depth=1
                                        ;     Child Loop BB65_6 Depth 2
                                        ;       Child Loop BB65_8 Depth 3
	s_delay_alu instid0(VALU_DEP_1)
	s_and_saveexec_b32 s20, s0
	s_cbranch_execz .LBB65_2
; %bb.4:                                ;   in Loop: Header=BB65_3 Depth=1
	s_load_b32 s23, s[12:13], 0x4
	v_mov_b32_e32 v2, v1
	s_mul_i32 s22, s17, s14
	s_mul_hi_u32 s24, s16, s14
	s_mul_i32 s21, s16, s14
	s_add_i32 s22, s24, s22
	s_mov_b32 s24, 0
	s_waitcnt lgkmcnt(0)
	s_mul_i32 s23, s23, s1
	s_set_inst_prefetch_distance 0x1
	s_branch .LBB65_6
	.p2align	6
.LBB65_5:                               ;   in Loop: Header=BB65_6 Depth=2
	v_add_nc_u32_e32 v2, s23, v2
	s_delay_alu instid0(VALU_DEP_1) | instskip(SKIP_1) | instid1(SALU_CYCLE_1)
	v_cmp_le_u32_e32 vcc_lo, s5, v2
	s_or_b32 s24, vcc_lo, s24
	s_and_not1_b32 exec_lo, exec_lo, s24
	s_cbranch_execz .LBB65_2
.LBB65_6:                               ;   Parent Loop BB65_3 Depth=1
                                        ; =>  This Loop Header: Depth=2
                                        ;       Child Loop BB65_8 Depth 3
	s_and_not1_b32 vcc_lo, exec_lo, s15
	s_cbranch_vccnz .LBB65_5
; %bb.7:                                ;   in Loop: Header=BB65_6 Depth=2
	v_lshlrev_b64 v[4:5], 3, v[2:3]
	s_mov_b32 s25, s6
	s_delay_alu instid0(VALU_DEP_1) | instskip(NEXT) | instid1(VALU_DEP_2)
	v_add_co_u32 v0, vcc_lo, s21, v4
	v_add_co_ci_u32_e32 v6, vcc_lo, s22, v5, vcc_lo
	v_dual_mov_b32 v5, s3 :: v_dual_mov_b32 v4, s2
	.p2align	6
.LBB65_8:                               ;   Parent Loop BB65_3 Depth=1
                                        ;     Parent Loop BB65_6 Depth=2
                                        ; =>    This Inner Loop Header: Depth=3
	s_delay_alu instid0(VALU_DEP_3) | instskip(NEXT) | instid1(VALU_DEP_3)
	v_add_co_u32 v7, vcc_lo, s10, v0
	v_add_co_ci_u32_e32 v8, vcc_lo, s11, v6, vcc_lo
	s_add_i32 s25, s25, -1
	s_delay_alu instid0(SALU_CYCLE_1)
	s_cmp_eq_u32 s25, 0
	global_load_b64 v[7:8], v[7:8], off
	s_waitcnt vmcnt(0)
	v_add_f64 v[4:5], v[4:5], v[7:8]
	v_add_co_u32 v7, vcc_lo, s8, v0
	v_add_co_ci_u32_e32 v8, vcc_lo, s9, v6, vcc_lo
	v_add_co_u32 v0, vcc_lo, v0, s18
	v_add_co_ci_u32_e32 v6, vcc_lo, s19, v6, vcc_lo
	global_store_b64 v[7:8], v[4:5], off
	s_cbranch_scc0 .LBB65_8
	s_branch .LBB65_5
.LBB65_9:
	s_nop 0
	s_sendmsg sendmsg(MSG_DEALLOC_VGPRS)
	s_endpgm
	.section	.rodata,"a",@progbits
	.p2align	6, 0x0
	.amdhsa_kernel _ZN2at6native28tensor_kernel_scan_outer_dimIdmSt4plusIdEEEvPT_PKS4_jjjS4_T1_
		.amdhsa_group_segment_fixed_size 0
		.amdhsa_private_segment_fixed_size 0
		.amdhsa_kernarg_size 304
		.amdhsa_user_sgpr_count 14
		.amdhsa_user_sgpr_dispatch_ptr 0
		.amdhsa_user_sgpr_queue_ptr 0
		.amdhsa_user_sgpr_kernarg_segment_ptr 1
		.amdhsa_user_sgpr_dispatch_id 0
		.amdhsa_user_sgpr_private_segment_size 0
		.amdhsa_wavefront_size32 1
		.amdhsa_uses_dynamic_stack 0
		.amdhsa_enable_private_segment 0
		.amdhsa_system_sgpr_workgroup_id_x 1
		.amdhsa_system_sgpr_workgroup_id_y 1
		.amdhsa_system_sgpr_workgroup_id_z 0
		.amdhsa_system_sgpr_workgroup_info 0
		.amdhsa_system_vgpr_workitem_id 0
		.amdhsa_next_free_vgpr 9
		.amdhsa_next_free_sgpr 26
		.amdhsa_reserve_vcc 1
		.amdhsa_float_round_mode_32 0
		.amdhsa_float_round_mode_16_64 0
		.amdhsa_float_denorm_mode_32 3
		.amdhsa_float_denorm_mode_16_64 3
		.amdhsa_dx10_clamp 1
		.amdhsa_ieee_mode 1
		.amdhsa_fp16_overflow 0
		.amdhsa_workgroup_processor_mode 1
		.amdhsa_memory_ordered 1
		.amdhsa_forward_progress 0
		.amdhsa_shared_vgpr_count 0
		.amdhsa_exception_fp_ieee_invalid_op 0
		.amdhsa_exception_fp_denorm_src 0
		.amdhsa_exception_fp_ieee_div_zero 0
		.amdhsa_exception_fp_ieee_overflow 0
		.amdhsa_exception_fp_ieee_underflow 0
		.amdhsa_exception_fp_ieee_inexact 0
		.amdhsa_exception_int_div_zero 0
	.end_amdhsa_kernel
	.section	.text._ZN2at6native28tensor_kernel_scan_outer_dimIdmSt4plusIdEEEvPT_PKS4_jjjS4_T1_,"axG",@progbits,_ZN2at6native28tensor_kernel_scan_outer_dimIdmSt4plusIdEEEvPT_PKS4_jjjS4_T1_,comdat
.Lfunc_end65:
	.size	_ZN2at6native28tensor_kernel_scan_outer_dimIdmSt4plusIdEEEvPT_PKS4_jjjS4_T1_, .Lfunc_end65-_ZN2at6native28tensor_kernel_scan_outer_dimIdmSt4plusIdEEEvPT_PKS4_jjjS4_T1_
                                        ; -- End function
	.section	.AMDGPU.csdata,"",@progbits
; Kernel info:
; codeLenInByte = 388
; NumSgprs: 28
; NumVgprs: 9
; ScratchSize: 0
; MemoryBound: 0
; FloatMode: 240
; IeeeMode: 1
; LDSByteSize: 0 bytes/workgroup (compile time only)
; SGPRBlocks: 3
; VGPRBlocks: 1
; NumSGPRsForWavesPerEU: 28
; NumVGPRsForWavesPerEU: 9
; Occupancy: 16
; WaveLimiterHint : 0
; COMPUTE_PGM_RSRC2:SCRATCH_EN: 0
; COMPUTE_PGM_RSRC2:USER_SGPR: 14
; COMPUTE_PGM_RSRC2:TRAP_HANDLER: 0
; COMPUTE_PGM_RSRC2:TGID_X_EN: 1
; COMPUTE_PGM_RSRC2:TGID_Y_EN: 1
; COMPUTE_PGM_RSRC2:TGID_Z_EN: 0
; COMPUTE_PGM_RSRC2:TIDIG_COMP_CNT: 0
	.section	.text._ZN2at4cuda3cub15calc_block_sumsILi512ELi16ELb0EffEEvPKT2_PT3_li,"axG",@progbits,_ZN2at4cuda3cub15calc_block_sumsILi512ELi16ELb0EffEEvPKT2_PT3_li,comdat
	.protected	_ZN2at4cuda3cub15calc_block_sumsILi512ELi16ELb0EffEEvPKT2_PT3_li ; -- Begin function _ZN2at4cuda3cub15calc_block_sumsILi512ELi16ELb0EffEEvPKT2_PT3_li
	.globl	_ZN2at4cuda3cub15calc_block_sumsILi512ELi16ELb0EffEEvPKT2_PT3_li
	.p2align	8
	.type	_ZN2at4cuda3cub15calc_block_sumsILi512ELi16ELb0EffEEvPKT2_PT3_li,@function
_ZN2at4cuda3cub15calc_block_sumsILi512ELi16ELb0EffEEvPKT2_PT3_li: ; @_ZN2at4cuda3cub15calc_block_sumsILi512ELi16ELb0EffEEvPKT2_PT3_li
; %bb.0:
	s_clause 0x1
	s_load_b32 s26, s[0:1], 0x18
	s_load_b64 s[4:5], s[0:1], 0x10
	s_waitcnt lgkmcnt(0)
	s_lshl_b32 s3, s26, 13
	s_delay_alu instid0(SALU_CYCLE_1)
	s_ashr_i32 s6, s3, 31
	s_mul_hi_u32 s8, s3, s15
	s_mul_i32 s7, s6, s15
	s_mul_i32 s6, s3, s15
	s_add_i32 s7, s8, s7
	s_sub_u32 s24, s4, s6
	s_subb_u32 s25, s5, s7
	s_delay_alu instid0(SALU_CYCLE_1) | instskip(NEXT) | instid1(VALU_DEP_1)
	v_cmp_lt_i64_e64 s3, s[24:25], 1
	s_and_b32 vcc_lo, exec_lo, s3
	s_cbranch_vccnz .LBB66_54
; %bb.1:
	s_load_b128 s[20:23], s[0:1], 0x0
	s_mov_b32 s2, s15
	s_cmp_gt_i32 s26, 0
	s_mov_b32 s3, 0
	s_cbranch_scc1 .LBB66_3
; %bb.2:
	s_mov_b32 s0, 0
	s_mov_b32 s1, s3
	v_mov_b32_e32 v29, s0
	s_and_not1_b32 vcc_lo, exec_lo, s1
	s_mov_b32 s27, s3
	s_cbranch_vccz .LBB66_4
	s_branch .LBB66_52
.LBB66_3:
                                        ; implicit-def: $sgpr0
	v_mov_b32_e32 v29, s0
	s_mov_b32 s27, s3
.LBB66_4:
	v_lshrrev_b32_e32 v1, 3, v0
	s_mul_i32 s0, s2, s26
	v_dual_mov_b32 v2, 0 :: v_dual_add_nc_u32 v21, 0x200, v0
	s_lshl_b32 s1, s0, 13
	s_delay_alu instid0(VALU_DEP_2)
	v_and_b32_e32 v37, 0x7c, v1
	v_lshlrev_b32_e32 v1, 2, v0
	s_sub_i32 s1, s4, s1
	s_lshl_b64 s[4:5], s[6:7], 2
	v_or_b32_e32 v22, 0x400, v0
	s_waitcnt lgkmcnt(0)
	s_add_u32 s4, s20, s4
	s_addc_u32 s5, s21, s5
	v_add_co_u32 v19, s4, s4, v1
	v_add_nc_u32_e32 v23, 0x600, v0
	v_or_b32_e32 v24, 0x800, v0
	v_add_nc_u32_e32 v25, 0xa00, v0
	v_or_b32_e32 v26, 0xc00, v0
	;; [unrolled: 2-line block ×3, first 2 shown]
	v_dual_mov_b32 v29, 0 :: v_dual_add_nc_u32 v30, 0x1200, v0
	v_or_b32_e32 v31, 0x1400, v0
	v_add_nc_u32_e32 v32, 0x1600, v0
	v_or_b32_e32 v33, 0x1800, v0
	v_add_nc_u32_e32 v34, 0x1a00, v0
	;; [unrolled: 2-line block ×3, first 2 shown]
	v_cmp_gt_u32_e64 s0, 32, v0
	v_add_co_ci_u32_e64 v20, null, s5, 0, s4
	v_mbcnt_lo_u32_b32 v38, -1, 0
	s_mov_b32 s4, 0
	s_mov_b32 s27, -1
	s_mov_b32 s20, 0
	s_branch .LBB66_6
.LBB66_5:                               ;   in Loop: Header=BB66_6 Depth=1
	s_add_u32 s24, s24, 0xffffe000
	s_addc_u32 s25, s25, -1
	s_add_i32 s20, s20, 1
	v_add_co_u32 v19, vcc_lo, 0x8000, v19
	s_cmp_lt_i32 s20, s26
	v_add_co_ci_u32_e32 v20, vcc_lo, 0, v20, vcc_lo
	s_cselect_b32 s27, -1, 0
	s_addk_i32 s1, 0xe000
	s_cmp_eq_u32 s26, s20
	s_cselect_b32 s5, -1, 0
	s_barrier
	buffer_gl0_inv
	s_and_not1_b32 vcc_lo, exec_lo, s5
	s_cbranch_vccz .LBB66_52
.LBB66_6:                               ; =>This Inner Loop Header: Depth=1
	v_cmp_gt_i64_e64 s5, 0x2000, s[24:25]
                                        ; implicit-def: $vgpr1
	s_delay_alu instid0(VALU_DEP_1)
	s_and_b32 vcc_lo, exec_lo, s5
	s_mov_b32 s5, -1
	s_cbranch_vccnz .LBB66_9
; %bb.7:                                ;   in Loop: Header=BB66_6 Depth=1
	s_and_b32 vcc_lo, exec_lo, s5
	s_cbranch_vccnz .LBB66_31
.LBB66_8:                               ;   in Loop: Header=BB66_6 Depth=1
	v_cmp_gt_i64_e64 s5, 0x2001, s[24:25]
	s_delay_alu instid0(VALU_DEP_2) | instskip(NEXT) | instid1(VALU_DEP_2)
	v_add_f32_e32 v29, v29, v1
	s_and_b32 vcc_lo, exec_lo, s5
	s_cbranch_vccz .LBB66_5
	s_branch .LBB66_36
.LBB66_9:                               ;   in Loop: Header=BB66_6 Depth=1
	s_mov_b32 s5, s4
	s_mov_b32 s6, s4
	s_mov_b32 s7, s4
	s_mov_b32 s8, s4
	s_mov_b32 s9, s4
	s_mov_b32 s10, s4
	s_mov_b32 s11, s4
	s_mov_b32 s12, s4
	s_mov_b32 s13, s4
	s_mov_b32 s14, s4
	s_mov_b32 s15, s4
	s_mov_b32 s16, s4
	s_mov_b32 s17, s4
	s_mov_b32 s18, s4
	s_mov_b32 s19, s4
	v_dual_mov_b32 v3, s4 :: v_dual_mov_b32 v4, s5
	v_dual_mov_b32 v5, s6 :: v_dual_mov_b32 v6, s7
	;; [unrolled: 1-line block ×8, first 2 shown]
	s_mov_b32 s5, exec_lo
	v_cmpx_gt_u32_e64 s1, v0
	s_cbranch_execnz .LBB66_37
; %bb.10:                               ;   in Loop: Header=BB66_6 Depth=1
	s_or_b32 exec_lo, exec_lo, s5
	s_delay_alu instid0(SALU_CYCLE_1)
	s_mov_b32 s5, exec_lo
	v_cmpx_gt_u32_e64 s1, v21
	s_cbranch_execnz .LBB66_38
.LBB66_11:                              ;   in Loop: Header=BB66_6 Depth=1
	s_or_b32 exec_lo, exec_lo, s5
	s_delay_alu instid0(SALU_CYCLE_1)
	s_mov_b32 s5, exec_lo
	v_cmpx_gt_u32_e64 s1, v22
	s_cbranch_execnz .LBB66_39
.LBB66_12:                              ;   in Loop: Header=BB66_6 Depth=1
	s_or_b32 exec_lo, exec_lo, s5
	s_delay_alu instid0(SALU_CYCLE_1)
	s_mov_b32 s5, exec_lo
	v_cmpx_gt_u32_e64 s1, v23
	s_cbranch_execnz .LBB66_40
.LBB66_13:                              ;   in Loop: Header=BB66_6 Depth=1
	s_or_b32 exec_lo, exec_lo, s5
	s_delay_alu instid0(SALU_CYCLE_1)
	s_mov_b32 s5, exec_lo
	v_cmpx_gt_u32_e64 s1, v24
	s_cbranch_execnz .LBB66_41
.LBB66_14:                              ;   in Loop: Header=BB66_6 Depth=1
	s_or_b32 exec_lo, exec_lo, s5
	s_delay_alu instid0(SALU_CYCLE_1)
	s_mov_b32 s5, exec_lo
	v_cmpx_gt_u32_e64 s1, v25
	s_cbranch_execnz .LBB66_42
.LBB66_15:                              ;   in Loop: Header=BB66_6 Depth=1
	s_or_b32 exec_lo, exec_lo, s5
	s_delay_alu instid0(SALU_CYCLE_1)
	s_mov_b32 s5, exec_lo
	v_cmpx_gt_u32_e64 s1, v26
	s_cbranch_execnz .LBB66_43
.LBB66_16:                              ;   in Loop: Header=BB66_6 Depth=1
	s_or_b32 exec_lo, exec_lo, s5
	s_delay_alu instid0(SALU_CYCLE_1)
	s_mov_b32 s5, exec_lo
	v_cmpx_gt_u32_e64 s1, v27
	s_cbranch_execnz .LBB66_44
.LBB66_17:                              ;   in Loop: Header=BB66_6 Depth=1
	s_or_b32 exec_lo, exec_lo, s5
	s_delay_alu instid0(SALU_CYCLE_1)
	s_mov_b32 s5, exec_lo
	v_cmpx_gt_u32_e64 s1, v28
	s_cbranch_execnz .LBB66_45
.LBB66_18:                              ;   in Loop: Header=BB66_6 Depth=1
	s_or_b32 exec_lo, exec_lo, s5
	s_delay_alu instid0(SALU_CYCLE_1)
	s_mov_b32 s5, exec_lo
	v_cmpx_gt_u32_e64 s1, v30
	s_cbranch_execnz .LBB66_46
.LBB66_19:                              ;   in Loop: Header=BB66_6 Depth=1
	s_or_b32 exec_lo, exec_lo, s5
	s_delay_alu instid0(SALU_CYCLE_1)
	s_mov_b32 s5, exec_lo
	v_cmpx_gt_u32_e64 s1, v31
	s_cbranch_execnz .LBB66_47
.LBB66_20:                              ;   in Loop: Header=BB66_6 Depth=1
	s_or_b32 exec_lo, exec_lo, s5
	s_delay_alu instid0(SALU_CYCLE_1)
	s_mov_b32 s5, exec_lo
	v_cmpx_gt_u32_e64 s1, v32
	s_cbranch_execnz .LBB66_48
.LBB66_21:                              ;   in Loop: Header=BB66_6 Depth=1
	s_or_b32 exec_lo, exec_lo, s5
	s_delay_alu instid0(SALU_CYCLE_1)
	s_mov_b32 s5, exec_lo
	v_cmpx_gt_u32_e64 s1, v33
	s_cbranch_execnz .LBB66_49
.LBB66_22:                              ;   in Loop: Header=BB66_6 Depth=1
	s_or_b32 exec_lo, exec_lo, s5
	s_delay_alu instid0(SALU_CYCLE_1)
	s_mov_b32 s5, exec_lo
	v_cmpx_gt_u32_e64 s1, v34
	s_cbranch_execnz .LBB66_50
.LBB66_23:                              ;   in Loop: Header=BB66_6 Depth=1
	s_or_b32 exec_lo, exec_lo, s5
	s_delay_alu instid0(SALU_CYCLE_1)
	s_mov_b32 s5, exec_lo
	v_cmpx_gt_u32_e64 s1, v35
	s_cbranch_execnz .LBB66_51
.LBB66_24:                              ;   in Loop: Header=BB66_6 Depth=1
	s_or_b32 exec_lo, exec_lo, s5
	s_delay_alu instid0(SALU_CYCLE_1)
	s_mov_b32 s5, exec_lo
	v_cmpx_gt_u32_e64 s1, v36
	s_cbranch_execz .LBB66_26
.LBB66_25:                              ;   in Loop: Header=BB66_6 Depth=1
	v_add_co_u32 v39, vcc_lo, 0x7000, v19
	v_add_co_ci_u32_e32 v40, vcc_lo, 0, v20, vcc_lo
	global_load_b32 v18, v[39:40], off offset:2048
.LBB66_26:                              ;   in Loop: Header=BB66_6 Depth=1
	s_or_b32 exec_lo, exec_lo, s5
	s_waitcnt vmcnt(0)
	v_add_f32_e32 v1, v3, v4
	s_mov_b32 s5, exec_lo
	s_barrier
	buffer_gl0_inv
	v_add_f32_e32 v1, v5, v1
	s_delay_alu instid0(VALU_DEP_1) | instskip(NEXT) | instid1(VALU_DEP_1)
	v_add_f32_e32 v1, v6, v1
	v_add_f32_e32 v1, v7, v1
	s_delay_alu instid0(VALU_DEP_1) | instskip(NEXT) | instid1(VALU_DEP_1)
	v_add_f32_e32 v1, v8, v1
	;; [unrolled: 3-line block ×7, first 2 shown]
	v_mov_b32_dpp v3, v1 quad_perm:[1,0,3,2] row_mask:0xf bank_mask:0xf
	s_delay_alu instid0(VALU_DEP_1) | instskip(NEXT) | instid1(VALU_DEP_1)
	v_add_f32_e32 v1, v1, v3
	v_mov_b32_dpp v3, v1 quad_perm:[2,3,0,1] row_mask:0xf bank_mask:0xf
	s_delay_alu instid0(VALU_DEP_1) | instskip(NEXT) | instid1(VALU_DEP_1)
	v_add_f32_e32 v1, v1, v3
	v_mov_b32_dpp v3, v1 row_ror:4 row_mask:0xf bank_mask:0xf
	s_delay_alu instid0(VALU_DEP_1) | instskip(NEXT) | instid1(VALU_DEP_1)
	v_add_f32_e32 v1, v1, v3
	v_mov_b32_dpp v3, v1 row_ror:8 row_mask:0xf bank_mask:0xf
	s_delay_alu instid0(VALU_DEP_1)
	v_add_f32_e32 v1, v1, v3
	ds_swizzle_b32 v3, v1 offset:swizzle(BROADCAST,32,15)
	s_waitcnt lgkmcnt(0)
	v_add_f32_e32 v1, v1, v3
	ds_bpermute_b32 v1, v2, v1 offset:124
	v_cmpx_eq_u32_e32 0, v38
	s_cbranch_execz .LBB66_28
; %bb.27:                               ;   in Loop: Header=BB66_6 Depth=1
	s_waitcnt lgkmcnt(0)
	ds_store_b32 v37, v1
.LBB66_28:                              ;   in Loop: Header=BB66_6 Depth=1
	s_or_b32 exec_lo, exec_lo, s5
	s_waitcnt lgkmcnt(0)
	s_barrier
	buffer_gl0_inv
	s_and_saveexec_b32 s5, s0
	s_cbranch_execz .LBB66_30
; %bb.29:                               ;   in Loop: Header=BB66_6 Depth=1
	v_and_b32_e32 v1, 15, v38
	s_delay_alu instid0(VALU_DEP_1) | instskip(SKIP_4) | instid1(VALU_DEP_2)
	v_lshlrev_b32_e32 v3, 2, v1
	v_cmp_ne_u32_e32 vcc_lo, 15, v1
	ds_load_b32 v3, v3
	v_add_co_ci_u32_e32 v4, vcc_lo, 0, v38, vcc_lo
	v_cmp_gt_u32_e32 vcc_lo, 14, v1
	v_lshlrev_b32_e32 v4, 2, v4
	v_cndmask_b32_e64 v5, 0, 1, vcc_lo
	v_cmp_gt_u32_e32 vcc_lo, 12, v1
	s_delay_alu instid0(VALU_DEP_2) | instskip(NEXT) | instid1(VALU_DEP_1)
	v_lshlrev_b32_e32 v5, 1, v5
	v_add_lshl_u32 v5, v5, v38, 2
	s_waitcnt lgkmcnt(0)
	ds_bpermute_b32 v4, v4, v3
	s_waitcnt lgkmcnt(0)
	v_add_f32_e32 v3, v3, v4
	ds_bpermute_b32 v4, v5, v3
	v_cndmask_b32_e64 v5, 0, 1, vcc_lo
	v_cmp_gt_u32_e32 vcc_lo, 8, v1
	s_delay_alu instid0(VALU_DEP_2) | instskip(SKIP_1) | instid1(VALU_DEP_2)
	v_lshlrev_b32_e32 v5, 2, v5
	v_cndmask_b32_e64 v1, 0, 1, vcc_lo
	v_add_lshl_u32 v5, v5, v38, 2
	s_delay_alu instid0(VALU_DEP_2) | instskip(NEXT) | instid1(VALU_DEP_1)
	v_lshlrev_b32_e32 v1, 3, v1
	v_add_lshl_u32 v1, v1, v38, 2
	s_waitcnt lgkmcnt(0)
	v_add_f32_e32 v3, v3, v4
	ds_bpermute_b32 v4, v5, v3
	s_waitcnt lgkmcnt(0)
	v_add_f32_e32 v3, v3, v4
	ds_bpermute_b32 v1, v1, v3
	s_waitcnt lgkmcnt(0)
	v_add_f32_e32 v1, v3, v1
.LBB66_30:                              ;   in Loop: Header=BB66_6 Depth=1
	s_or_b32 exec_lo, exec_lo, s5
	s_branch .LBB66_8
.LBB66_31:                              ;   in Loop: Header=BB66_6 Depth=1
	v_add_co_u32 v3, vcc_lo, v19, 0x2000
	s_clause 0x1
	global_load_b32 v1, v[19:20], off
	global_load_b32 v9, v[19:20], off offset:2048
	v_add_co_ci_u32_e32 v4, vcc_lo, 0, v20, vcc_lo
	v_add_co_u32 v5, vcc_lo, 0x1000, v19
	v_add_co_ci_u32_e32 v6, vcc_lo, 0, v20, vcc_lo
	global_load_b32 v10, v[3:4], off offset:-4096
	v_add_co_u32 v7, vcc_lo, 0x2000, v19
	v_add_co_ci_u32_e32 v8, vcc_lo, 0, v20, vcc_lo
	s_clause 0x2
	global_load_b32 v11, v[5:6], off offset:2048
	global_load_b32 v12, v[3:4], off
	global_load_b32 v7, v[7:8], off offset:2048
	v_add_co_u32 v3, vcc_lo, v19, 0x4000
	v_add_co_ci_u32_e32 v4, vcc_lo, 0, v20, vcc_lo
	v_add_co_u32 v5, vcc_lo, 0x3000, v19
	v_add_co_ci_u32_e32 v6, vcc_lo, 0, v20, vcc_lo
	s_clause 0x1
	global_load_b32 v8, v[3:4], off offset:-4096
	global_load_b32 v13, v[5:6], off offset:2048
	v_add_co_u32 v5, vcc_lo, 0x4000, v19
	v_add_co_ci_u32_e32 v6, vcc_lo, 0, v20, vcc_lo
	s_clause 0x1
	global_load_b32 v14, v[3:4], off
	global_load_b32 v15, v[5:6], off offset:2048
	v_add_co_u32 v3, vcc_lo, v19, 0x6000
	v_add_co_ci_u32_e32 v4, vcc_lo, 0, v20, vcc_lo
	v_add_co_u32 v5, vcc_lo, 0x5000, v19
	v_add_co_ci_u32_e32 v6, vcc_lo, 0, v20, vcc_lo
	s_clause 0x1
	global_load_b32 v16, v[3:4], off offset:-4096
	global_load_b32 v17, v[5:6], off offset:2048
	v_add_co_u32 v5, vcc_lo, 0x6000, v19
	v_add_co_ci_u32_e32 v6, vcc_lo, 0, v20, vcc_lo
	global_load_b32 v18, v[3:4], off
	v_add_co_u32 v3, vcc_lo, 0x7000, v19
	v_add_co_ci_u32_e32 v4, vcc_lo, 0, v20, vcc_lo
	s_clause 0x2
	global_load_b32 v5, v[5:6], off offset:2048
	global_load_b32 v6, v[3:4], off
	global_load_b32 v3, v[3:4], off offset:2048
	s_mov_b32 s5, exec_lo
	s_waitcnt vmcnt(0)
	s_barrier
	buffer_gl0_inv
	v_add_f32_e32 v1, v1, v9
	s_delay_alu instid0(VALU_DEP_1) | instskip(NEXT) | instid1(VALU_DEP_1)
	v_add_f32_e32 v1, v1, v10
	v_add_f32_e32 v1, v1, v11
	s_delay_alu instid0(VALU_DEP_1) | instskip(NEXT) | instid1(VALU_DEP_1)
	v_add_f32_e32 v1, v1, v12
	;; [unrolled: 3-line block ×7, first 2 shown]
	v_add_f32_e32 v1, v1, v3
	s_delay_alu instid0(VALU_DEP_1) | instskip(NEXT) | instid1(VALU_DEP_1)
	v_mov_b32_dpp v3, v1 quad_perm:[1,0,3,2] row_mask:0xf bank_mask:0xf
	v_add_f32_e32 v1, v1, v3
	s_delay_alu instid0(VALU_DEP_1) | instskip(NEXT) | instid1(VALU_DEP_1)
	v_mov_b32_dpp v3, v1 quad_perm:[2,3,0,1] row_mask:0xf bank_mask:0xf
	v_add_f32_e32 v1, v1, v3
	s_delay_alu instid0(VALU_DEP_1) | instskip(NEXT) | instid1(VALU_DEP_1)
	v_mov_b32_dpp v3, v1 row_ror:4 row_mask:0xf bank_mask:0xf
	v_add_f32_e32 v1, v1, v3
	s_delay_alu instid0(VALU_DEP_1) | instskip(NEXT) | instid1(VALU_DEP_1)
	v_mov_b32_dpp v3, v1 row_ror:8 row_mask:0xf bank_mask:0xf
	v_add_f32_e32 v1, v1, v3
	ds_swizzle_b32 v3, v1 offset:swizzle(BROADCAST,32,15)
	s_waitcnt lgkmcnt(0)
	v_add_f32_e32 v1, v1, v3
	ds_bpermute_b32 v1, v2, v1 offset:124
	v_cmpx_eq_u32_e32 0, v38
	s_cbranch_execz .LBB66_33
; %bb.32:                               ;   in Loop: Header=BB66_6 Depth=1
	s_waitcnt lgkmcnt(0)
	ds_store_b32 v37, v1
.LBB66_33:                              ;   in Loop: Header=BB66_6 Depth=1
	s_or_b32 exec_lo, exec_lo, s5
	s_waitcnt lgkmcnt(0)
	s_barrier
	buffer_gl0_inv
	s_and_saveexec_b32 s5, s0
	s_cbranch_execz .LBB66_35
; %bb.34:                               ;   in Loop: Header=BB66_6 Depth=1
	v_and_b32_e32 v1, 15, v38
	s_delay_alu instid0(VALU_DEP_1) | instskip(SKIP_4) | instid1(VALU_DEP_2)
	v_lshlrev_b32_e32 v3, 2, v1
	v_cmp_ne_u32_e32 vcc_lo, 15, v1
	ds_load_b32 v3, v3
	v_add_co_ci_u32_e32 v4, vcc_lo, 0, v38, vcc_lo
	v_cmp_gt_u32_e32 vcc_lo, 14, v1
	v_lshlrev_b32_e32 v4, 2, v4
	v_cndmask_b32_e64 v5, 0, 1, vcc_lo
	v_cmp_gt_u32_e32 vcc_lo, 12, v1
	s_delay_alu instid0(VALU_DEP_2) | instskip(NEXT) | instid1(VALU_DEP_1)
	v_lshlrev_b32_e32 v5, 1, v5
	v_add_lshl_u32 v5, v5, v38, 2
	s_waitcnt lgkmcnt(0)
	ds_bpermute_b32 v4, v4, v3
	s_waitcnt lgkmcnt(0)
	v_add_f32_e32 v3, v3, v4
	ds_bpermute_b32 v4, v5, v3
	v_cndmask_b32_e64 v5, 0, 1, vcc_lo
	v_cmp_gt_u32_e32 vcc_lo, 8, v1
	s_delay_alu instid0(VALU_DEP_2) | instskip(SKIP_1) | instid1(VALU_DEP_2)
	v_lshlrev_b32_e32 v5, 2, v5
	v_cndmask_b32_e64 v1, 0, 1, vcc_lo
	v_add_lshl_u32 v5, v5, v38, 2
	s_delay_alu instid0(VALU_DEP_2) | instskip(NEXT) | instid1(VALU_DEP_1)
	v_lshlrev_b32_e32 v1, 3, v1
	v_add_lshl_u32 v1, v1, v38, 2
	s_waitcnt lgkmcnt(0)
	v_add_f32_e32 v3, v3, v4
	ds_bpermute_b32 v4, v5, v3
	s_waitcnt lgkmcnt(0)
	v_add_f32_e32 v3, v3, v4
	ds_bpermute_b32 v1, v1, v3
	s_waitcnt lgkmcnt(0)
	v_add_f32_e32 v1, v3, v1
.LBB66_35:                              ;   in Loop: Header=BB66_6 Depth=1
	s_or_b32 exec_lo, exec_lo, s5
	v_cmp_gt_i64_e64 s5, 0x2001, s[24:25]
	s_delay_alu instid0(VALU_DEP_2) | instskip(NEXT) | instid1(VALU_DEP_2)
	v_add_f32_e32 v29, v29, v1
	s_and_b32 vcc_lo, exec_lo, s5
	s_cbranch_vccz .LBB66_5
.LBB66_36:
                                        ; implicit-def: $sgpr20
                                        ; implicit-def: $sgpr24_sgpr25
                                        ; implicit-def: $sgpr1
                                        ; implicit-def: $vgpr19_vgpr20
	s_branch .LBB66_52
.LBB66_37:                              ;   in Loop: Header=BB66_6 Depth=1
	global_load_b32 v1, v[19:20], off
	v_mov_b32_e32 v16, v2
	v_mov_b32_e32 v3, v2
	;; [unrolled: 1-line block ×14, first 2 shown]
	s_waitcnt vmcnt(0)
	v_mov_b32_e32 v18, v16
	s_delay_alu instid0(VALU_DEP_2)
	v_dual_mov_b32 v17, v15 :: v_dual_mov_b32 v16, v14
	v_mov_b32_e32 v15, v13
	v_mov_b32_e32 v14, v12
	;; [unrolled: 1-line block ×13, first 2 shown]
	s_or_b32 exec_lo, exec_lo, s5
	s_delay_alu instid0(SALU_CYCLE_1)
	s_mov_b32 s5, exec_lo
	v_cmpx_gt_u32_e64 s1, v21
	s_cbranch_execz .LBB66_11
.LBB66_38:                              ;   in Loop: Header=BB66_6 Depth=1
	global_load_b32 v4, v[19:20], off offset:2048
	s_or_b32 exec_lo, exec_lo, s5
	s_delay_alu instid0(SALU_CYCLE_1)
	s_mov_b32 s5, exec_lo
	v_cmpx_gt_u32_e64 s1, v22
	s_cbranch_execz .LBB66_12
.LBB66_39:                              ;   in Loop: Header=BB66_6 Depth=1
	v_add_co_u32 v39, vcc_lo, 0x1000, v19
	v_add_co_ci_u32_e32 v40, vcc_lo, 0, v20, vcc_lo
	global_load_b32 v5, v[39:40], off
	s_or_b32 exec_lo, exec_lo, s5
	s_delay_alu instid0(SALU_CYCLE_1)
	s_mov_b32 s5, exec_lo
	v_cmpx_gt_u32_e64 s1, v23
	s_cbranch_execz .LBB66_13
.LBB66_40:                              ;   in Loop: Header=BB66_6 Depth=1
	v_add_co_u32 v39, vcc_lo, 0x1000, v19
	v_add_co_ci_u32_e32 v40, vcc_lo, 0, v20, vcc_lo
	global_load_b32 v6, v[39:40], off offset:2048
	s_or_b32 exec_lo, exec_lo, s5
	s_delay_alu instid0(SALU_CYCLE_1)
	s_mov_b32 s5, exec_lo
	v_cmpx_gt_u32_e64 s1, v24
	s_cbranch_execz .LBB66_14
.LBB66_41:                              ;   in Loop: Header=BB66_6 Depth=1
	v_add_co_u32 v39, vcc_lo, 0x2000, v19
	v_add_co_ci_u32_e32 v40, vcc_lo, 0, v20, vcc_lo
	global_load_b32 v7, v[39:40], off
	s_or_b32 exec_lo, exec_lo, s5
	s_delay_alu instid0(SALU_CYCLE_1)
	s_mov_b32 s5, exec_lo
	v_cmpx_gt_u32_e64 s1, v25
	s_cbranch_execz .LBB66_15
.LBB66_42:                              ;   in Loop: Header=BB66_6 Depth=1
	v_add_co_u32 v39, vcc_lo, 0x2000, v19
	v_add_co_ci_u32_e32 v40, vcc_lo, 0, v20, vcc_lo
	global_load_b32 v8, v[39:40], off offset:2048
	s_or_b32 exec_lo, exec_lo, s5
	s_delay_alu instid0(SALU_CYCLE_1)
	s_mov_b32 s5, exec_lo
	v_cmpx_gt_u32_e64 s1, v26
	s_cbranch_execz .LBB66_16
.LBB66_43:                              ;   in Loop: Header=BB66_6 Depth=1
	v_add_co_u32 v39, vcc_lo, 0x3000, v19
	v_add_co_ci_u32_e32 v40, vcc_lo, 0, v20, vcc_lo
	global_load_b32 v9, v[39:40], off
	s_or_b32 exec_lo, exec_lo, s5
	s_delay_alu instid0(SALU_CYCLE_1)
	s_mov_b32 s5, exec_lo
	v_cmpx_gt_u32_e64 s1, v27
	s_cbranch_execz .LBB66_17
.LBB66_44:                              ;   in Loop: Header=BB66_6 Depth=1
	v_add_co_u32 v39, vcc_lo, 0x3000, v19
	v_add_co_ci_u32_e32 v40, vcc_lo, 0, v20, vcc_lo
	global_load_b32 v10, v[39:40], off offset:2048
	s_or_b32 exec_lo, exec_lo, s5
	s_delay_alu instid0(SALU_CYCLE_1)
	s_mov_b32 s5, exec_lo
	v_cmpx_gt_u32_e64 s1, v28
	s_cbranch_execz .LBB66_18
.LBB66_45:                              ;   in Loop: Header=BB66_6 Depth=1
	v_add_co_u32 v39, vcc_lo, 0x4000, v19
	v_add_co_ci_u32_e32 v40, vcc_lo, 0, v20, vcc_lo
	global_load_b32 v11, v[39:40], off
	s_or_b32 exec_lo, exec_lo, s5
	s_delay_alu instid0(SALU_CYCLE_1)
	s_mov_b32 s5, exec_lo
	v_cmpx_gt_u32_e64 s1, v30
	s_cbranch_execz .LBB66_19
.LBB66_46:                              ;   in Loop: Header=BB66_6 Depth=1
	v_add_co_u32 v39, vcc_lo, 0x4000, v19
	v_add_co_ci_u32_e32 v40, vcc_lo, 0, v20, vcc_lo
	global_load_b32 v12, v[39:40], off offset:2048
	s_or_b32 exec_lo, exec_lo, s5
	s_delay_alu instid0(SALU_CYCLE_1)
	s_mov_b32 s5, exec_lo
	v_cmpx_gt_u32_e64 s1, v31
	s_cbranch_execz .LBB66_20
.LBB66_47:                              ;   in Loop: Header=BB66_6 Depth=1
	v_add_co_u32 v39, vcc_lo, 0x5000, v19
	v_add_co_ci_u32_e32 v40, vcc_lo, 0, v20, vcc_lo
	global_load_b32 v13, v[39:40], off
	s_or_b32 exec_lo, exec_lo, s5
	s_delay_alu instid0(SALU_CYCLE_1)
	s_mov_b32 s5, exec_lo
	v_cmpx_gt_u32_e64 s1, v32
	s_cbranch_execz .LBB66_21
.LBB66_48:                              ;   in Loop: Header=BB66_6 Depth=1
	v_add_co_u32 v39, vcc_lo, 0x5000, v19
	v_add_co_ci_u32_e32 v40, vcc_lo, 0, v20, vcc_lo
	global_load_b32 v14, v[39:40], off offset:2048
	s_or_b32 exec_lo, exec_lo, s5
	s_delay_alu instid0(SALU_CYCLE_1)
	s_mov_b32 s5, exec_lo
	v_cmpx_gt_u32_e64 s1, v33
	s_cbranch_execz .LBB66_22
.LBB66_49:                              ;   in Loop: Header=BB66_6 Depth=1
	v_add_co_u32 v39, vcc_lo, 0x6000, v19
	v_add_co_ci_u32_e32 v40, vcc_lo, 0, v20, vcc_lo
	global_load_b32 v15, v[39:40], off
	s_or_b32 exec_lo, exec_lo, s5
	s_delay_alu instid0(SALU_CYCLE_1)
	s_mov_b32 s5, exec_lo
	v_cmpx_gt_u32_e64 s1, v34
	s_cbranch_execz .LBB66_23
.LBB66_50:                              ;   in Loop: Header=BB66_6 Depth=1
	v_add_co_u32 v39, vcc_lo, 0x6000, v19
	v_add_co_ci_u32_e32 v40, vcc_lo, 0, v20, vcc_lo
	global_load_b32 v16, v[39:40], off offset:2048
	s_or_b32 exec_lo, exec_lo, s5
	s_delay_alu instid0(SALU_CYCLE_1)
	s_mov_b32 s5, exec_lo
	v_cmpx_gt_u32_e64 s1, v35
	s_cbranch_execz .LBB66_24
.LBB66_51:                              ;   in Loop: Header=BB66_6 Depth=1
	v_add_co_u32 v39, vcc_lo, 0x7000, v19
	v_add_co_ci_u32_e32 v40, vcc_lo, 0, v20, vcc_lo
	global_load_b32 v17, v[39:40], off
	s_or_b32 exec_lo, exec_lo, s5
	s_delay_alu instid0(SALU_CYCLE_1)
	s_mov_b32 s5, exec_lo
	v_cmpx_gt_u32_e64 s1, v36
	s_cbranch_execnz .LBB66_25
	s_branch .LBB66_26
.LBB66_52:
	v_cmp_eq_u32_e32 vcc_lo, 0, v0
	s_xor_b32 s0, s27, -1
	s_delay_alu instid0(SALU_CYCLE_1) | instskip(NEXT) | instid1(SALU_CYCLE_1)
	s_and_b32 s0, vcc_lo, s0
	s_and_saveexec_b32 s1, s0
	s_cbranch_execz .LBB66_54
; %bb.53:
	s_lshl_b64 s[0:1], s[2:3], 2
	v_mov_b32_e32 v0, 0
	s_waitcnt lgkmcnt(0)
	s_add_u32 s0, s22, s0
	s_addc_u32 s1, s23, s1
	global_store_b32 v0, v29, s[0:1]
.LBB66_54:
	s_nop 0
	s_sendmsg sendmsg(MSG_DEALLOC_VGPRS)
	s_endpgm
	.section	.rodata,"a",@progbits
	.p2align	6, 0x0
	.amdhsa_kernel _ZN2at4cuda3cub15calc_block_sumsILi512ELi16ELb0EffEEvPKT2_PT3_li
		.amdhsa_group_segment_fixed_size 64
		.amdhsa_private_segment_fixed_size 0
		.amdhsa_kernarg_size 28
		.amdhsa_user_sgpr_count 15
		.amdhsa_user_sgpr_dispatch_ptr 0
		.amdhsa_user_sgpr_queue_ptr 0
		.amdhsa_user_sgpr_kernarg_segment_ptr 1
		.amdhsa_user_sgpr_dispatch_id 0
		.amdhsa_user_sgpr_private_segment_size 0
		.amdhsa_wavefront_size32 1
		.amdhsa_uses_dynamic_stack 0
		.amdhsa_enable_private_segment 0
		.amdhsa_system_sgpr_workgroup_id_x 1
		.amdhsa_system_sgpr_workgroup_id_y 0
		.amdhsa_system_sgpr_workgroup_id_z 0
		.amdhsa_system_sgpr_workgroup_info 0
		.amdhsa_system_vgpr_workitem_id 0
		.amdhsa_next_free_vgpr 41
		.amdhsa_next_free_sgpr 28
		.amdhsa_reserve_vcc 1
		.amdhsa_float_round_mode_32 0
		.amdhsa_float_round_mode_16_64 0
		.amdhsa_float_denorm_mode_32 3
		.amdhsa_float_denorm_mode_16_64 3
		.amdhsa_dx10_clamp 1
		.amdhsa_ieee_mode 1
		.amdhsa_fp16_overflow 0
		.amdhsa_workgroup_processor_mode 1
		.amdhsa_memory_ordered 1
		.amdhsa_forward_progress 0
		.amdhsa_shared_vgpr_count 0
		.amdhsa_exception_fp_ieee_invalid_op 0
		.amdhsa_exception_fp_denorm_src 0
		.amdhsa_exception_fp_ieee_div_zero 0
		.amdhsa_exception_fp_ieee_overflow 0
		.amdhsa_exception_fp_ieee_underflow 0
		.amdhsa_exception_fp_ieee_inexact 0
		.amdhsa_exception_int_div_zero 0
	.end_amdhsa_kernel
	.section	.text._ZN2at4cuda3cub15calc_block_sumsILi512ELi16ELb0EffEEvPKT2_PT3_li,"axG",@progbits,_ZN2at4cuda3cub15calc_block_sumsILi512ELi16ELb0EffEEvPKT2_PT3_li,comdat
.Lfunc_end66:
	.size	_ZN2at4cuda3cub15calc_block_sumsILi512ELi16ELb0EffEEvPKT2_PT3_li, .Lfunc_end66-_ZN2at4cuda3cub15calc_block_sumsILi512ELi16ELb0EffEEvPKT2_PT3_li
                                        ; -- End function
	.section	.AMDGPU.csdata,"",@progbits
; Kernel info:
; codeLenInByte = 3128
; NumSgprs: 30
; NumVgprs: 41
; ScratchSize: 0
; MemoryBound: 0
; FloatMode: 240
; IeeeMode: 1
; LDSByteSize: 64 bytes/workgroup (compile time only)
; SGPRBlocks: 3
; VGPRBlocks: 5
; NumSGPRsForWavesPerEU: 30
; NumVGPRsForWavesPerEU: 41
; Occupancy: 16
; WaveLimiterHint : 1
; COMPUTE_PGM_RSRC2:SCRATCH_EN: 0
; COMPUTE_PGM_RSRC2:USER_SGPR: 15
; COMPUTE_PGM_RSRC2:TRAP_HANDLER: 0
; COMPUTE_PGM_RSRC2:TGID_X_EN: 1
; COMPUTE_PGM_RSRC2:TGID_Y_EN: 0
; COMPUTE_PGM_RSRC2:TGID_Z_EN: 0
; COMPUTE_PGM_RSRC2:TIDIG_COMP_CNT: 0
	.section	.text._ZN2at4cuda3cub17final_scan_kernelILi512ELi16EfEEvPKT1_PS3_S6_li,"axG",@progbits,_ZN2at4cuda3cub17final_scan_kernelILi512ELi16EfEEvPKT1_PS3_S6_li,comdat
	.protected	_ZN2at4cuda3cub17final_scan_kernelILi512ELi16EfEEvPKT1_PS3_S6_li ; -- Begin function _ZN2at4cuda3cub17final_scan_kernelILi512ELi16EfEEvPKT1_PS3_S6_li
	.globl	_ZN2at4cuda3cub17final_scan_kernelILi512ELi16EfEEvPKT1_PS3_S6_li
	.p2align	8
	.type	_ZN2at4cuda3cub17final_scan_kernelILi512ELi16EfEEvPKT1_PS3_S6_li,@function
_ZN2at4cuda3cub17final_scan_kernelILi512ELi16EfEEvPKT1_PS3_S6_li: ; @_ZN2at4cuda3cub17final_scan_kernelILi512ELi16EfEEvPKT1_PS3_S6_li
; %bb.0:
	s_clause 0x1
	s_load_b32 s30, s[0:1], 0x20
	s_load_b256 s[16:23], s[0:1], 0x0
	s_waitcnt lgkmcnt(0)
	s_lshl_b32 s2, s30, 13
	s_delay_alu instid0(SALU_CYCLE_1)
	s_ashr_i32 s3, s2, 31
	s_mul_hi_u32 s4, s2, s15
	s_mul_i32 s3, s3, s15
	s_mul_i32 s12, s2, s15
	s_add_i32 s13, s4, s3
	s_sub_u32 s28, s22, s12
	s_subb_u32 s29, s23, s13
	s_delay_alu instid0(SALU_CYCLE_1) | instskip(NEXT) | instid1(VALU_DEP_1)
	v_cmp_lt_i64_e64 s2, s[28:29], 1
	s_and_b32 vcc_lo, exec_lo, s2
	s_cbranch_vccnz .LBB67_98
; %bb.1:
	v_dual_mov_b32 v3, 0 :: v_dual_lshlrev_b32 v24, 2, v0
	s_mov_b32 s2, exec_lo
	v_cmpx_gt_u32_e64 s15, v0
	s_cbranch_execz .LBB67_3
; %bb.2:
	global_load_b32 v3, v24, s[20:21]
.LBB67_3:
	s_or_b32 exec_lo, exec_lo, s2
	s_load_b32 s0, s[0:1], 0x34
	s_waitcnt lgkmcnt(0)
	s_and_b32 s1, s0, 0xffff
	s_mov_b32 s0, exec_lo
	v_add_nc_u32_e32 v1, s1, v0
	s_delay_alu instid0(VALU_DEP_1)
	v_cmpx_gt_u32_e64 s15, v1
	s_cbranch_execz .LBB67_7
; %bb.4:
	v_mov_b32_e32 v2, 0
	s_mov_b32 s2, 0
.LBB67_5:                               ; =>This Inner Loop Header: Depth=1
	s_delay_alu instid0(VALU_DEP_1) | instskip(SKIP_1) | instid1(VALU_DEP_2)
	v_lshlrev_b64 v[4:5], 2, v[1:2]
	v_add_nc_u32_e32 v1, s1, v1
	v_add_co_u32 v4, vcc_lo, s20, v4
	s_delay_alu instid0(VALU_DEP_3) | instskip(NEXT) | instid1(VALU_DEP_3)
	v_add_co_ci_u32_e32 v5, vcc_lo, s21, v5, vcc_lo
	v_cmp_le_u32_e32 vcc_lo, s15, v1
	global_load_b32 v4, v[4:5], off
	s_or_b32 s2, vcc_lo, s2
	s_waitcnt vmcnt(0)
	v_add_f32_e32 v3, v3, v4
	s_and_not1_b32 exec_lo, exec_lo, s2
	s_cbranch_execnz .LBB67_5
; %bb.6:
	s_or_b32 exec_lo, exec_lo, s2
.LBB67_7:
	s_delay_alu instid0(SALU_CYCLE_1) | instskip(SKIP_2) | instid1(VALU_DEP_1)
	s_or_b32 exec_lo, exec_lo, s0
	s_waitcnt vmcnt(0)
	v_mov_b32_dpp v1, v3 quad_perm:[1,0,3,2] row_mask:0xf bank_mask:0xf
	v_add_f32_e32 v1, v3, v1
	s_delay_alu instid0(VALU_DEP_1) | instskip(NEXT) | instid1(VALU_DEP_1)
	v_mov_b32_dpp v2, v1 quad_perm:[2,3,0,1] row_mask:0xf bank_mask:0xf
	v_add_f32_e32 v1, v1, v2
	s_delay_alu instid0(VALU_DEP_1) | instskip(NEXT) | instid1(VALU_DEP_1)
	v_mov_b32_dpp v2, v1 row_ror:4 row_mask:0xf bank_mask:0xf
	v_add_f32_e32 v1, v1, v2
	s_delay_alu instid0(VALU_DEP_1) | instskip(NEXT) | instid1(VALU_DEP_1)
	v_mov_b32_dpp v2, v1 row_ror:8 row_mask:0xf bank_mask:0xf
	v_add_f32_e32 v1, v1, v2
	ds_swizzle_b32 v2, v1 offset:swizzle(BROADCAST,32,15)
	s_waitcnt lgkmcnt(0)
	v_dual_add_f32 v1, v1, v2 :: v_dual_mov_b32 v2, 0
	ds_bpermute_b32 v25, v2, v1 offset:124
	v_mbcnt_lo_u32_b32 v1, -1, 0
	s_delay_alu instid0(VALU_DEP_1) | instskip(NEXT) | instid1(VALU_DEP_1)
	v_cmp_eq_u32_e64 s0, 0, v1
	s_and_saveexec_b32 s1, s0
	s_cbranch_execz .LBB67_9
; %bb.8:
	v_lshrrev_b32_e32 v2, 3, v0
	s_delay_alu instid0(VALU_DEP_1)
	v_and_b32_e32 v2, 0x7c, v2
	s_waitcnt lgkmcnt(0)
	ds_store_b32 v2, v25
.LBB67_9:
	s_or_b32 exec_lo, exec_lo, s1
	v_cmp_lt_u32_e64 s1, 31, v0
	v_cmp_gt_u32_e64 s2, 32, v0
	v_and_b32_e32 v2, 15, v1
	s_waitcnt lgkmcnt(0)
	s_barrier
	buffer_gl0_inv
	s_and_saveexec_b32 s3, s2
	s_cbranch_execz .LBB67_11
; %bb.10:
	v_lshlrev_b32_e32 v3, 2, v2
	v_cmp_ne_u32_e32 vcc_lo, 15, v2
	ds_load_b32 v3, v3
	v_add_co_ci_u32_e32 v4, vcc_lo, 0, v1, vcc_lo
	v_cmp_gt_u32_e32 vcc_lo, 14, v2
	s_delay_alu instid0(VALU_DEP_2) | instskip(SKIP_2) | instid1(VALU_DEP_2)
	v_lshlrev_b32_e32 v4, 2, v4
	v_cndmask_b32_e64 v5, 0, 1, vcc_lo
	v_cmp_gt_u32_e32 vcc_lo, 12, v2
	v_lshlrev_b32_e32 v5, 1, v5
	s_delay_alu instid0(VALU_DEP_1)
	v_add_lshl_u32 v5, v5, v1, 2
	s_waitcnt lgkmcnt(0)
	ds_bpermute_b32 v4, v4, v3
	s_waitcnt lgkmcnt(0)
	v_add_f32_e32 v3, v3, v4
	ds_bpermute_b32 v4, v5, v3
	v_cndmask_b32_e64 v5, 0, 1, vcc_lo
	v_cmp_gt_u32_e32 vcc_lo, 8, v2
	s_delay_alu instid0(VALU_DEP_2) | instskip(NEXT) | instid1(VALU_DEP_1)
	v_lshlrev_b32_e32 v5, 2, v5
	v_add_lshl_u32 v5, v5, v1, 2
	s_waitcnt lgkmcnt(0)
	v_add_f32_e32 v3, v3, v4
	ds_bpermute_b32 v4, v5, v3
	v_cndmask_b32_e64 v5, 0, 1, vcc_lo
	s_delay_alu instid0(VALU_DEP_1) | instskip(SKIP_2) | instid1(VALU_DEP_2)
	v_lshlrev_b32_e32 v5, 3, v5
	s_waitcnt lgkmcnt(0)
	v_add_f32_e32 v3, v3, v4
	v_add_lshl_u32 v4, v5, v1, 2
	ds_bpermute_b32 v4, v4, v3
	s_waitcnt lgkmcnt(0)
	v_add_f32_e32 v25, v3, v4
.LBB67_11:
	s_or_b32 exec_lo, exec_lo, s3
	s_cmp_lt_i32 s30, 1
	s_barrier
	buffer_gl0_inv
	s_cbranch_scc1 .LBB67_98
; %bb.12:
	v_lshlrev_b32_e32 v3, 4, v0
	v_cmp_eq_u32_e64 s3, 0, v2
	v_cmp_lt_u32_e64 s4, 1, v2
	v_cmp_lt_u32_e64 s5, 3, v2
	;; [unrolled: 1-line block ×3, first 2 shown]
	v_and_b32_e32 v3, 0x3e00, v3
	s_lshl_b64 s[12:13], s[12:13], 2
	v_cmp_gt_u32_e64 s9, 16, v0
	v_cmp_eq_u32_e64 s10, 0, v0
	v_lshlrev_b32_e32 v62, 2, v1
	v_or_b32_e32 v26, v1, v3
	v_lshrrev_b32_e32 v3, 5, v3
	s_delay_alu instid0(VALU_DEP_2)
	v_or_b32_e32 v29, 0x60, v26
	v_or_b32_e32 v33, 0xe0, v26
	;; [unrolled: 1-line block ×4, first 2 shown]
	v_add_lshl_u32 v42, v3, v26, 2
	v_lshrrev_b32_e32 v3, 5, v29
	v_lshrrev_b32_e32 v7, 5, v33
	v_or_b32_e32 v30, 0x80, v26
	v_or_b32_e32 v32, 0xc0, v26
	v_lshrrev_b32_e32 v5, 5, v28
	v_add_lshl_u32 v45, v3, v29, 2
	v_add_lshl_u32 v49, v7, v33, 2
	v_lshrrev_b32_e32 v3, 5, v34
	v_and_b32_e32 v7, 0x3e0, v0
	v_or_b32_e32 v36, 0x140, v26
	v_or_b32_e32 v37, 0x160, v26
	v_lshrrev_b32_e32 v6, 5, v30
	v_add_lshl_u32 v44, v5, v28, 2
	v_lshrrev_b32_e32 v5, 5, v32
	v_add_lshl_u32 v50, v3, v34, 2
	v_or_b32_e32 v3, v1, v7
	v_or_b32_e32 v27, 32, v26
	v_or_b32_e32 v39, 0x1a0, v26
	v_or_b32_e32 v40, 0x1c0, v26
	v_add_lshl_u32 v46, v6, v30, 2
	v_add_lshl_u32 v48, v5, v32, 2
	v_lshrrev_b32_e32 v5, 5, v36
	v_lshrrev_b32_e32 v6, 5, v37
	v_lshlrev_b32_e32 v9, 4, v3
	v_bfe_u32 v3, v3, 1, 27
	v_or_b32_e32 v31, 0xa0, v26
	v_lshrrev_b32_e32 v4, 5, v27
	v_add_lshl_u32 v52, v5, v36, 2
	v_add_lshl_u32 v53, v6, v37, 2
	v_lshrrev_b32_e32 v5, 5, v39
	v_lshrrev_b32_e32 v6, 5, v40
	v_add_lshl_u32 v58, v3, v9, 2
	v_min_u32_e32 v3, 0x1e0, v7
	v_or_b32_e32 v35, 0x120, v26
	v_add_lshl_u32 v43, v4, v27, 2
	v_lshrrev_b32_e32 v4, 5, v31
	v_add_lshl_u32 v55, v5, v39, 2
	v_add_lshl_u32 v56, v6, v40, 2
	v_lshrrev_b32_e32 v5, 5, v0
	v_add_nc_u32_e32 v6, -1, v1
	v_or_b32_e32 v2, 31, v3
	v_or_b32_e32 v38, 0x180, v26
	v_add_lshl_u32 v47, v4, v31, 2
	v_lshrrev_b32_e32 v4, 5, v35
	v_cmp_gt_i32_e32 vcc_lo, 0, v6
	v_cmp_eq_u32_e64 s8, v2, v0
	v_lshlrev_b32_e32 v2, 11, v5
	v_lshlrev_b32_e32 v59, 2, v5
	v_add_lshl_u32 v51, v4, v35, 2
	v_lshrrev_b32_e32 v4, 5, v38
	v_cndmask_b32_e32 v3, v6, v1, vcc_lo
	v_add_co_u32 v0, s11, s12, v2
	v_add_nc_u32_e32 v60, -4, v59
	s_delay_alu instid0(VALU_DEP_4)
	v_add_lshl_u32 v54, v4, v38, 2
	v_dual_mov_b32 v1, 0 :: v_dual_and_b32 v4, 16, v1
	v_add_co_ci_u32_e64 v2, null, s13, 0, s11
	v_or_b32_e32 v41, 0x1e0, v26
	v_lshlrev_b32_e32 v61, 2, v3
	v_add_co_u32 v3, vcc_lo, v0, s18
	v_cmp_eq_u32_e64 s7, 0, v4
	v_add_co_ci_u32_e32 v4, vcc_lo, s19, v2, vcc_lo
	v_lshrrev_b32_e32 v8, 5, v41
	s_delay_alu instid0(VALU_DEP_4) | instskip(NEXT) | instid1(VALU_DEP_3)
	v_add_co_u32 v18, vcc_lo, 0x780, v3
	v_add_co_ci_u32_e32 v19, vcc_lo, 0, v4, vcc_lo
	v_add_co_u32 v20, vcc_lo, s16, v0
	s_delay_alu instid0(VALU_DEP_4)
	v_add_lshl_u32 v57, v8, v41, 2
	v_add_co_ci_u32_e32 v21, vcc_lo, s17, v2, vcc_lo
	s_mov_b32 s12, 0
	s_branch .LBB67_14
.LBB67_13:                              ;   in Loop: Header=BB67_14 Depth=1
	v_add_co_u32 v18, vcc_lo, 0x8000, v18
	v_add_co_ci_u32_e32 v19, vcc_lo, 0, v19, vcc_lo
	s_add_u32 s28, s28, 0xffffe000
	v_add_co_u32 v20, vcc_lo, 0x8000, v20
	s_addc_u32 s29, s29, -1
	s_add_i32 s30, s30, -1
	v_add_co_ci_u32_e32 v21, vcc_lo, 0, v21, vcc_lo
	s_cmp_eq_u32 s30, 0
	s_waitcnt lgkmcnt(0)
	s_waitcnt_vscnt null, 0x0
	s_cselect_b32 s11, -1, 0
	s_barrier
	buffer_gl0_inv
	s_and_not1_b32 vcc_lo, exec_lo, s11
	s_cbranch_vccz .LBB67_98
.LBB67_14:                              ; =>This Inner Loop Header: Depth=1
	v_cmp_lt_i64_e64 s11, 0x1fff, s[28:29]
	v_cmp_gt_i64_e64 s31, 0x2000, s[28:29]
	s_mov_b32 s13, -1
	s_delay_alu instid0(VALU_DEP_2)
	s_and_b32 vcc_lo, exec_lo, s11
	v_cmp_gt_u32_e64 s11, s28, v26
	s_cbranch_vccnz .LBB67_33
; %bb.15:                               ;   in Loop: Header=BB67_14 Depth=1
	s_mov_b32 s13, s12
	s_mov_b32 s14, s12
	;; [unrolled: 1-line block ×15, first 2 shown]
	v_add_co_u32 v22, vcc_lo, v20, v62
	s_waitcnt lgkmcnt(0)
	v_dual_mov_b32 v2, s12 :: v_dual_mov_b32 v3, s13
	v_dual_mov_b32 v4, s14 :: v_dual_mov_b32 v5, s15
	;; [unrolled: 1-line block ×8, first 2 shown]
	v_add_co_ci_u32_e32 v23, vcc_lo, 0, v21, vcc_lo
	s_and_saveexec_b32 s13, s11
	s_cbranch_execnz .LBB67_83
; %bb.16:                               ;   in Loop: Header=BB67_14 Depth=1
	s_or_b32 exec_lo, exec_lo, s13
	s_delay_alu instid0(SALU_CYCLE_1)
	s_mov_b32 s11, exec_lo
	v_cmpx_gt_u32_e64 s28, v27
	s_cbranch_execnz .LBB67_84
.LBB67_17:                              ;   in Loop: Header=BB67_14 Depth=1
	s_or_b32 exec_lo, exec_lo, s11
	s_delay_alu instid0(SALU_CYCLE_1)
	s_mov_b32 s11, exec_lo
	v_cmpx_gt_u32_e64 s28, v28
	s_cbranch_execnz .LBB67_85
.LBB67_18:                              ;   in Loop: Header=BB67_14 Depth=1
	s_or_b32 exec_lo, exec_lo, s11
	s_delay_alu instid0(SALU_CYCLE_1)
	s_mov_b32 s11, exec_lo
	v_cmpx_gt_u32_e64 s28, v29
	s_cbranch_execnz .LBB67_86
.LBB67_19:                              ;   in Loop: Header=BB67_14 Depth=1
	s_or_b32 exec_lo, exec_lo, s11
	s_delay_alu instid0(SALU_CYCLE_1)
	s_mov_b32 s11, exec_lo
	v_cmpx_gt_u32_e64 s28, v30
	s_cbranch_execnz .LBB67_87
.LBB67_20:                              ;   in Loop: Header=BB67_14 Depth=1
	s_or_b32 exec_lo, exec_lo, s11
	s_delay_alu instid0(SALU_CYCLE_1)
	s_mov_b32 s11, exec_lo
	v_cmpx_gt_u32_e64 s28, v31
	s_cbranch_execnz .LBB67_88
.LBB67_21:                              ;   in Loop: Header=BB67_14 Depth=1
	s_or_b32 exec_lo, exec_lo, s11
	s_delay_alu instid0(SALU_CYCLE_1)
	s_mov_b32 s11, exec_lo
	v_cmpx_gt_u32_e64 s28, v32
	s_cbranch_execnz .LBB67_89
.LBB67_22:                              ;   in Loop: Header=BB67_14 Depth=1
	s_or_b32 exec_lo, exec_lo, s11
	s_delay_alu instid0(SALU_CYCLE_1)
	s_mov_b32 s11, exec_lo
	v_cmpx_gt_u32_e64 s28, v33
	s_cbranch_execnz .LBB67_90
.LBB67_23:                              ;   in Loop: Header=BB67_14 Depth=1
	s_or_b32 exec_lo, exec_lo, s11
	s_delay_alu instid0(SALU_CYCLE_1)
	s_mov_b32 s11, exec_lo
	v_cmpx_gt_u32_e64 s28, v34
	s_cbranch_execnz .LBB67_91
.LBB67_24:                              ;   in Loop: Header=BB67_14 Depth=1
	s_or_b32 exec_lo, exec_lo, s11
	s_delay_alu instid0(SALU_CYCLE_1)
	s_mov_b32 s11, exec_lo
	v_cmpx_gt_u32_e64 s28, v35
	s_cbranch_execnz .LBB67_92
.LBB67_25:                              ;   in Loop: Header=BB67_14 Depth=1
	s_or_b32 exec_lo, exec_lo, s11
	s_delay_alu instid0(SALU_CYCLE_1)
	s_mov_b32 s11, exec_lo
	v_cmpx_gt_u32_e64 s28, v36
	s_cbranch_execnz .LBB67_93
.LBB67_26:                              ;   in Loop: Header=BB67_14 Depth=1
	s_or_b32 exec_lo, exec_lo, s11
	s_delay_alu instid0(SALU_CYCLE_1)
	s_mov_b32 s11, exec_lo
	v_cmpx_gt_u32_e64 s28, v37
	s_cbranch_execnz .LBB67_94
.LBB67_27:                              ;   in Loop: Header=BB67_14 Depth=1
	s_or_b32 exec_lo, exec_lo, s11
	s_delay_alu instid0(SALU_CYCLE_1)
	s_mov_b32 s11, exec_lo
	v_cmpx_gt_u32_e64 s28, v38
	s_cbranch_execnz .LBB67_95
.LBB67_28:                              ;   in Loop: Header=BB67_14 Depth=1
	s_or_b32 exec_lo, exec_lo, s11
	s_delay_alu instid0(SALU_CYCLE_1)
	s_mov_b32 s11, exec_lo
	v_cmpx_gt_u32_e64 s28, v39
	s_cbranch_execnz .LBB67_96
.LBB67_29:                              ;   in Loop: Header=BB67_14 Depth=1
	s_or_b32 exec_lo, exec_lo, s11
	s_delay_alu instid0(SALU_CYCLE_1)
	s_mov_b32 s11, exec_lo
	v_cmpx_gt_u32_e64 s28, v40
	s_cbranch_execnz .LBB67_97
.LBB67_30:                              ;   in Loop: Header=BB67_14 Depth=1
	s_or_b32 exec_lo, exec_lo, s11
	s_delay_alu instid0(SALU_CYCLE_1)
	s_mov_b32 s11, exec_lo
	v_cmpx_gt_u32_e64 s28, v41
	s_cbranch_execz .LBB67_32
.LBB67_31:                              ;   in Loop: Header=BB67_14 Depth=1
	global_load_b32 v17, v[22:23], off offset:1920
.LBB67_32:                              ;   in Loop: Header=BB67_14 Depth=1
	s_or_b32 exec_lo, exec_lo, s11
	s_mov_b32 s13, 0
	ds_store_b32 v42, v2
	s_waitcnt vmcnt(0)
	ds_store_b32 v43, v3
	ds_store_b32 v44, v4
	;; [unrolled: 1-line block ×15, first 2 shown]
	; wave barrier
.LBB67_33:                              ;   in Loop: Header=BB67_14 Depth=1
	s_and_b32 vcc_lo, exec_lo, s13
	s_cbranch_vccz .LBB67_35
; %bb.34:                               ;   in Loop: Header=BB67_14 Depth=1
	v_add_co_u32 v2, vcc_lo, v20, v62
	v_add_co_ci_u32_e32 v3, vcc_lo, 0, v21, vcc_lo
	s_clause 0x7
	global_load_b32 v0, v[2:3], off
	global_load_b32 v4, v[2:3], off offset:128
	global_load_b32 v5, v[2:3], off offset:256
	;; [unrolled: 1-line block ×7, first 2 shown]
	s_waitcnt lgkmcnt(0)
	s_clause 0x7
	global_load_b32 v11, v[2:3], off offset:1024
	global_load_b32 v12, v[2:3], off offset:1152
	global_load_b32 v13, v[2:3], off offset:1280
	global_load_b32 v14, v[2:3], off offset:1408
	global_load_b32 v15, v[2:3], off offset:1536
	global_load_b32 v16, v[2:3], off offset:1664
	global_load_b32 v17, v[2:3], off offset:1792
	global_load_b32 v2, v[2:3], off offset:1920
	s_waitcnt vmcnt(15)
	ds_store_b32 v42, v0
	s_waitcnt vmcnt(14)
	ds_store_b32 v43, v4
	;; [unrolled: 2-line block ×16, first 2 shown]
	; wave barrier
.LBB67_35:                              ;   in Loop: Header=BB67_14 Depth=1
	ds_load_2addr_b32 v[8:9], v58 offset1:1
	ds_load_2addr_b32 v[6:7], v58 offset0:2 offset1:3
	ds_load_2addr_b32 v[4:5], v58 offset0:4 offset1:5
	;; [unrolled: 1-line block ×6, first 2 shown]
	s_waitcnt lgkmcnt(7)
	ds_load_2addr_b32 v[10:11], v58 offset0:14 offset1:15
	s_waitcnt lgkmcnt(0)
	s_waitcnt_vscnt null, 0x0
	s_barrier
	buffer_gl0_inv
	v_add_f32_e32 v0, v8, v9
	s_delay_alu instid0(VALU_DEP_1) | instskip(NEXT) | instid1(VALU_DEP_1)
	v_add_f32_e32 v0, v6, v0
	v_add_f32_e32 v0, v7, v0
	s_delay_alu instid0(VALU_DEP_1) | instskip(NEXT) | instid1(VALU_DEP_1)
	v_add_f32_e32 v0, v4, v0
	;; [unrolled: 3-line block ×7, first 2 shown]
	v_add_f32_e32 v0, v11, v0
	s_delay_alu instid0(VALU_DEP_1) | instskip(NEXT) | instid1(VALU_DEP_1)
	v_mov_b32_dpp v22, v0 row_shr:1 row_mask:0xf bank_mask:0xf
	v_add_f32_e32 v22, v0, v22
	s_delay_alu instid0(VALU_DEP_1) | instskip(NEXT) | instid1(VALU_DEP_1)
	v_cndmask_b32_e64 v0, v22, v0, s3
	v_mov_b32_dpp v22, v0 row_shr:2 row_mask:0xf bank_mask:0xf
	s_delay_alu instid0(VALU_DEP_1) | instskip(NEXT) | instid1(VALU_DEP_1)
	v_add_f32_e32 v22, v0, v22
	v_cndmask_b32_e64 v0, v0, v22, s4
	s_delay_alu instid0(VALU_DEP_1) | instskip(NEXT) | instid1(VALU_DEP_1)
	v_mov_b32_dpp v22, v0 row_shr:4 row_mask:0xf bank_mask:0xf
	v_add_f32_e32 v22, v0, v22
	s_delay_alu instid0(VALU_DEP_1) | instskip(NEXT) | instid1(VALU_DEP_1)
	v_cndmask_b32_e64 v0, v0, v22, s5
	v_mov_b32_dpp v22, v0 row_shr:8 row_mask:0xf bank_mask:0xf
	s_delay_alu instid0(VALU_DEP_1) | instskip(NEXT) | instid1(VALU_DEP_1)
	v_add_f32_e32 v22, v0, v22
	v_cndmask_b32_e64 v0, v0, v22, s6
	ds_swizzle_b32 v22, v0 offset:swizzle(BROADCAST,32,15)
	s_waitcnt lgkmcnt(0)
	v_add_f32_e32 v22, v0, v22
	s_delay_alu instid0(VALU_DEP_1)
	v_cndmask_b32_e64 v0, v22, v0, s7
	s_and_saveexec_b32 s11, s8
	s_cbranch_execz .LBB67_37
; %bb.36:                               ;   in Loop: Header=BB67_14 Depth=1
	ds_store_b32 v59, v0
.LBB67_37:                              ;   in Loop: Header=BB67_14 Depth=1
	s_or_b32 exec_lo, exec_lo, s11
	s_waitcnt lgkmcnt(0)
	s_barrier
	buffer_gl0_inv
	s_and_saveexec_b32 s11, s9
	s_cbranch_execz .LBB67_39
; %bb.38:                               ;   in Loop: Header=BB67_14 Depth=1
	ds_load_b32 v22, v24
	s_waitcnt lgkmcnt(0)
	v_mov_b32_dpp v23, v22 row_shr:1 row_mask:0xf bank_mask:0xf
	s_delay_alu instid0(VALU_DEP_1) | instskip(NEXT) | instid1(VALU_DEP_1)
	v_add_f32_e32 v23, v22, v23
	v_cndmask_b32_e64 v22, v23, v22, s3
	s_delay_alu instid0(VALU_DEP_1) | instskip(NEXT) | instid1(VALU_DEP_1)
	v_mov_b32_dpp v23, v22 row_shr:2 row_mask:0xf bank_mask:0xf
	v_add_f32_e32 v23, v22, v23
	s_delay_alu instid0(VALU_DEP_1) | instskip(NEXT) | instid1(VALU_DEP_1)
	v_cndmask_b32_e64 v22, v22, v23, s4
	v_mov_b32_dpp v23, v22 row_shr:4 row_mask:0xf bank_mask:0xf
	s_delay_alu instid0(VALU_DEP_1) | instskip(NEXT) | instid1(VALU_DEP_1)
	v_add_f32_e32 v23, v22, v23
	v_cndmask_b32_e64 v22, v22, v23, s5
	s_delay_alu instid0(VALU_DEP_1) | instskip(NEXT) | instid1(VALU_DEP_1)
	v_mov_b32_dpp v23, v22 row_shr:8 row_mask:0xf bank_mask:0xf
	v_add_f32_e32 v23, v22, v23
	s_delay_alu instid0(VALU_DEP_1)
	v_cndmask_b32_e64 v22, v22, v23, s6
	ds_store_b32 v24, v22
.LBB67_39:                              ;   in Loop: Header=BB67_14 Depth=1
	s_or_b32 exec_lo, exec_lo, s11
	s_waitcnt lgkmcnt(0)
	s_barrier
	buffer_gl0_inv
                                        ; implicit-def: $vgpr22
	s_and_saveexec_b32 s11, s1
	s_cbranch_execz .LBB67_41
; %bb.40:                               ;   in Loop: Header=BB67_14 Depth=1
	ds_load_b32 v22, v60
	s_waitcnt lgkmcnt(0)
	v_add_f32_e32 v0, v0, v22
.LBB67_41:                              ;   in Loop: Header=BB67_14 Depth=1
	s_or_b32 exec_lo, exec_lo, s11
	ds_bpermute_b32 v0, v61, v0
	s_and_saveexec_b32 s11, s2
	s_cbranch_execz .LBB67_45
; %bb.42:                               ;   in Loop: Header=BB67_14 Depth=1
	ds_load_b32 v23, v1 offset:60
	s_and_saveexec_b32 s13, s10
	s_cbranch_execz .LBB67_44
; %bb.43:                               ;   in Loop: Header=BB67_14 Depth=1
	ds_store_b32 v1, v25 offset:60
.LBB67_44:                              ;   in Loop: Header=BB67_14 Depth=1
	s_or_b32 exec_lo, exec_lo, s13
	s_waitcnt lgkmcnt(0)
	v_add_f32_e32 v25, v25, v23
.LBB67_45:                              ;   in Loop: Header=BB67_14 Depth=1
	s_or_b32 exec_lo, exec_lo, s11
	s_waitcnt lgkmcnt(0)
	s_barrier
	buffer_gl0_inv
	ds_load_b32 v23, v1 offset:60
	v_cndmask_b32_e64 v0, v0, v22, s0
	s_and_b32 vcc_lo, exec_lo, s31
	s_waitcnt lgkmcnt(0)
	s_barrier
	buffer_gl0_inv
	v_add_f32_e32 v0, v8, v0
	s_delay_alu instid0(VALU_DEP_1) | instskip(NEXT) | instid1(VALU_DEP_1)
	v_cndmask_b32_e64 v0, v0, v8, s10
	v_add_f32_e32 v0, v0, v23
	s_delay_alu instid0(VALU_DEP_1) | instskip(NEXT) | instid1(VALU_DEP_1)
	v_add_f32_e32 v8, v9, v0
	v_add_f32_e32 v6, v6, v8
	s_delay_alu instid0(VALU_DEP_1) | instskip(NEXT) | instid1(VALU_DEP_1)
	v_add_f32_e32 v7, v7, v6
	;; [unrolled: 3-line block ×7, first 2 shown]
	v_add_f32_e32 v10, v10, v17
	s_delay_alu instid0(VALU_DEP_1)
	v_add_f32_e32 v23, v11, v10
	s_cbranch_vccz .LBB67_66
; %bb.46:                               ;   in Loop: Header=BB67_14 Depth=1
	ds_store_2addr_b32 v58, v0, v8 offset1:1
	ds_store_2addr_b32 v58, v6, v7 offset0:2 offset1:3
	ds_store_2addr_b32 v58, v4, v5 offset0:4 offset1:5
	;; [unrolled: 1-line block ×7, first 2 shown]
	; wave barrier
	ds_load_b32 v77, v42
	ds_load_b32 v76, v43
	;; [unrolled: 1-line block ×16, first 2 shown]
	v_add_co_u32 v2, vcc_lo, v18, v62
	v_add_co_ci_u32_e32 v3, vcc_lo, 0, v19, vcc_lo
	s_mov_b32 s11, exec_lo
	v_cmpx_gt_u32_e64 s28, v26
	s_cbranch_execnz .LBB67_69
; %bb.47:                               ;   in Loop: Header=BB67_14 Depth=1
	s_or_b32 exec_lo, exec_lo, s11
	s_delay_alu instid0(SALU_CYCLE_1)
	s_mov_b32 s11, exec_lo
	v_cmpx_gt_u32_e64 s28, v27
	s_cbranch_execnz .LBB67_70
.LBB67_48:                              ;   in Loop: Header=BB67_14 Depth=1
	s_or_b32 exec_lo, exec_lo, s11
	s_delay_alu instid0(SALU_CYCLE_1)
	s_mov_b32 s11, exec_lo
	v_cmpx_gt_u32_e64 s28, v28
	s_cbranch_execnz .LBB67_71
.LBB67_49:                              ;   in Loop: Header=BB67_14 Depth=1
	s_or_b32 exec_lo, exec_lo, s11
	s_delay_alu instid0(SALU_CYCLE_1)
	s_mov_b32 s11, exec_lo
	v_cmpx_gt_u32_e64 s28, v29
	s_cbranch_execnz .LBB67_72
.LBB67_50:                              ;   in Loop: Header=BB67_14 Depth=1
	s_or_b32 exec_lo, exec_lo, s11
	s_delay_alu instid0(SALU_CYCLE_1)
	s_mov_b32 s11, exec_lo
	v_cmpx_gt_u32_e64 s28, v30
	s_cbranch_execnz .LBB67_73
.LBB67_51:                              ;   in Loop: Header=BB67_14 Depth=1
	s_or_b32 exec_lo, exec_lo, s11
	s_delay_alu instid0(SALU_CYCLE_1)
	s_mov_b32 s11, exec_lo
	v_cmpx_gt_u32_e64 s28, v31
	s_cbranch_execnz .LBB67_74
.LBB67_52:                              ;   in Loop: Header=BB67_14 Depth=1
	s_or_b32 exec_lo, exec_lo, s11
	s_delay_alu instid0(SALU_CYCLE_1)
	s_mov_b32 s11, exec_lo
	v_cmpx_gt_u32_e64 s28, v32
	s_cbranch_execnz .LBB67_75
.LBB67_53:                              ;   in Loop: Header=BB67_14 Depth=1
	s_or_b32 exec_lo, exec_lo, s11
	s_delay_alu instid0(SALU_CYCLE_1)
	s_mov_b32 s11, exec_lo
	v_cmpx_gt_u32_e64 s28, v33
	s_cbranch_execnz .LBB67_76
.LBB67_54:                              ;   in Loop: Header=BB67_14 Depth=1
	s_or_b32 exec_lo, exec_lo, s11
	s_delay_alu instid0(SALU_CYCLE_1)
	s_mov_b32 s11, exec_lo
	v_cmpx_gt_u32_e64 s28, v34
	s_cbranch_execnz .LBB67_77
.LBB67_55:                              ;   in Loop: Header=BB67_14 Depth=1
	s_or_b32 exec_lo, exec_lo, s11
	s_delay_alu instid0(SALU_CYCLE_1)
	s_mov_b32 s11, exec_lo
	v_cmpx_gt_u32_e64 s28, v35
	s_cbranch_execnz .LBB67_78
.LBB67_56:                              ;   in Loop: Header=BB67_14 Depth=1
	s_or_b32 exec_lo, exec_lo, s11
	s_delay_alu instid0(SALU_CYCLE_1)
	s_mov_b32 s11, exec_lo
	v_cmpx_gt_u32_e64 s28, v36
	s_cbranch_execnz .LBB67_79
.LBB67_57:                              ;   in Loop: Header=BB67_14 Depth=1
	s_or_b32 exec_lo, exec_lo, s11
	s_delay_alu instid0(SALU_CYCLE_1)
	s_mov_b32 s11, exec_lo
	v_cmpx_gt_u32_e64 s28, v37
	s_cbranch_execnz .LBB67_80
.LBB67_58:                              ;   in Loop: Header=BB67_14 Depth=1
	s_or_b32 exec_lo, exec_lo, s11
	s_delay_alu instid0(SALU_CYCLE_1)
	s_mov_b32 s11, exec_lo
	v_cmpx_gt_u32_e64 s28, v38
	s_cbranch_execnz .LBB67_81
.LBB67_59:                              ;   in Loop: Header=BB67_14 Depth=1
	s_or_b32 exec_lo, exec_lo, s11
	s_delay_alu instid0(SALU_CYCLE_1)
	s_mov_b32 s11, exec_lo
	v_cmpx_gt_u32_e64 s28, v39
	s_cbranch_execnz .LBB67_82
.LBB67_60:                              ;   in Loop: Header=BB67_14 Depth=1
	s_or_b32 exec_lo, exec_lo, s11
	s_delay_alu instid0(SALU_CYCLE_1)
	s_mov_b32 s11, exec_lo
	v_cmpx_gt_u32_e64 s28, v40
	s_cbranch_execz .LBB67_62
.LBB67_61:                              ;   in Loop: Header=BB67_14 Depth=1
	s_waitcnt lgkmcnt(1)
	global_store_b32 v[2:3], v63, off offset:-128
.LBB67_62:                              ;   in Loop: Header=BB67_14 Depth=1
	s_or_b32 exec_lo, exec_lo, s11
	v_cmp_gt_u32_e64 s11, s28, v41
	s_branch .LBB67_64
.LBB67_63:                              ;   in Loop: Header=BB67_14 Depth=1
	ds_store_2addr_b32 v58, v0, v8 offset1:1
	ds_store_2addr_b32 v58, v6, v7 offset0:2 offset1:3
	ds_store_2addr_b32 v58, v4, v5 offset0:4 offset1:5
	;; [unrolled: 1-line block ×7, first 2 shown]
	; wave barrier
	ds_load_b32 v0, v42
	ds_load_b32 v4, v43
	;; [unrolled: 1-line block ×15, first 2 shown]
	s_waitcnt lgkmcnt(23)
	ds_load_b32 v11, v57
	v_add_co_u32 v2, vcc_lo, v18, v62
	v_add_co_ci_u32_e32 v3, vcc_lo, 0, v19, vcc_lo
	s_or_b32 s11, s11, exec_lo
	s_waitcnt lgkmcnt(15)
	global_store_b32 v[2:3], v0, off offset:-1920
	s_waitcnt lgkmcnt(14)
	global_store_b32 v[2:3], v4, off offset:-1792
	;; [unrolled: 2-line block ×15, first 2 shown]
.LBB67_64:                              ;   in Loop: Header=BB67_14 Depth=1
	s_delay_alu instid0(VALU_DEP_1)
	s_and_saveexec_b32 s13, s11
	s_cbranch_execnz .LBB67_67
; %bb.65:                               ;   in Loop: Header=BB67_14 Depth=1
	s_or_b32 exec_lo, exec_lo, s13
	v_cmp_gt_i64_e64 s11, 0x2001, s[28:29]
	s_delay_alu instid0(VALU_DEP_1)
	s_and_b32 vcc_lo, exec_lo, s11
	s_cbranch_vccz .LBB67_13
	s_branch .LBB67_68
.LBB67_66:                              ;   in Loop: Header=BB67_14 Depth=1
	s_mov_b32 s11, 0
                                        ; implicit-def: $vgpr11
	s_cbranch_execnz .LBB67_63
	s_branch .LBB67_64
.LBB67_67:                              ;   in Loop: Header=BB67_14 Depth=1
	v_add_co_u32 v2, vcc_lo, v18, v62
	v_add_co_ci_u32_e32 v3, vcc_lo, 0, v19, vcc_lo
	s_waitcnt lgkmcnt(0)
	global_store_b32 v[2:3], v11, off
	s_or_b32 exec_lo, exec_lo, s13
	v_cmp_gt_i64_e64 s11, 0x2001, s[28:29]
	s_delay_alu instid0(VALU_DEP_1)
	s_and_b32 vcc_lo, exec_lo, s11
	s_cbranch_vccz .LBB67_13
.LBB67_68:
                                        ; implicit-def: $vgpr25
                                        ; implicit-def: $sgpr28_sgpr29
                                        ; implicit-def: $sgpr30
                                        ; implicit-def: $vgpr18_vgpr19
                                        ; implicit-def: $vgpr20_vgpr21
	s_branch .LBB67_98
.LBB67_69:                              ;   in Loop: Header=BB67_14 Depth=1
	s_waitcnt lgkmcnt(15)
	global_store_b32 v[2:3], v77, off offset:-1920
	s_or_b32 exec_lo, exec_lo, s11
	s_delay_alu instid0(SALU_CYCLE_1)
	s_mov_b32 s11, exec_lo
	v_cmpx_gt_u32_e64 s28, v27
	s_cbranch_execz .LBB67_48
.LBB67_70:                              ;   in Loop: Header=BB67_14 Depth=1
	s_waitcnt lgkmcnt(14)
	global_store_b32 v[2:3], v76, off offset:-1792
	s_or_b32 exec_lo, exec_lo, s11
	s_delay_alu instid0(SALU_CYCLE_1)
	s_mov_b32 s11, exec_lo
	v_cmpx_gt_u32_e64 s28, v28
	s_cbranch_execz .LBB67_49
.LBB67_71:                              ;   in Loop: Header=BB67_14 Depth=1
	s_waitcnt lgkmcnt(13)
	global_store_b32 v[2:3], v75, off offset:-1664
	s_or_b32 exec_lo, exec_lo, s11
	s_delay_alu instid0(SALU_CYCLE_1)
	s_mov_b32 s11, exec_lo
	v_cmpx_gt_u32_e64 s28, v29
	s_cbranch_execz .LBB67_50
.LBB67_72:                              ;   in Loop: Header=BB67_14 Depth=1
	s_waitcnt lgkmcnt(12)
	global_store_b32 v[2:3], v74, off offset:-1536
	s_or_b32 exec_lo, exec_lo, s11
	s_delay_alu instid0(SALU_CYCLE_1)
	s_mov_b32 s11, exec_lo
	v_cmpx_gt_u32_e64 s28, v30
	s_cbranch_execz .LBB67_51
.LBB67_73:                              ;   in Loop: Header=BB67_14 Depth=1
	s_waitcnt lgkmcnt(11)
	global_store_b32 v[2:3], v73, off offset:-1408
	s_or_b32 exec_lo, exec_lo, s11
	s_delay_alu instid0(SALU_CYCLE_1)
	s_mov_b32 s11, exec_lo
	v_cmpx_gt_u32_e64 s28, v31
	s_cbranch_execz .LBB67_52
.LBB67_74:                              ;   in Loop: Header=BB67_14 Depth=1
	s_waitcnt lgkmcnt(10)
	global_store_b32 v[2:3], v72, off offset:-1280
	s_or_b32 exec_lo, exec_lo, s11
	s_delay_alu instid0(SALU_CYCLE_1)
	s_mov_b32 s11, exec_lo
	v_cmpx_gt_u32_e64 s28, v32
	s_cbranch_execz .LBB67_53
.LBB67_75:                              ;   in Loop: Header=BB67_14 Depth=1
	s_waitcnt lgkmcnt(9)
	global_store_b32 v[2:3], v71, off offset:-1152
	s_or_b32 exec_lo, exec_lo, s11
	s_delay_alu instid0(SALU_CYCLE_1)
	s_mov_b32 s11, exec_lo
	v_cmpx_gt_u32_e64 s28, v33
	s_cbranch_execz .LBB67_54
.LBB67_76:                              ;   in Loop: Header=BB67_14 Depth=1
	s_waitcnt lgkmcnt(8)
	global_store_b32 v[2:3], v70, off offset:-1024
	s_or_b32 exec_lo, exec_lo, s11
	s_delay_alu instid0(SALU_CYCLE_1)
	s_mov_b32 s11, exec_lo
	v_cmpx_gt_u32_e64 s28, v34
	s_cbranch_execz .LBB67_55
.LBB67_77:                              ;   in Loop: Header=BB67_14 Depth=1
	s_waitcnt lgkmcnt(7)
	global_store_b32 v[2:3], v69, off offset:-896
	s_or_b32 exec_lo, exec_lo, s11
	s_delay_alu instid0(SALU_CYCLE_1)
	s_mov_b32 s11, exec_lo
	v_cmpx_gt_u32_e64 s28, v35
	s_cbranch_execz .LBB67_56
.LBB67_78:                              ;   in Loop: Header=BB67_14 Depth=1
	s_waitcnt lgkmcnt(6)
	global_store_b32 v[2:3], v68, off offset:-768
	s_or_b32 exec_lo, exec_lo, s11
	s_delay_alu instid0(SALU_CYCLE_1)
	s_mov_b32 s11, exec_lo
	v_cmpx_gt_u32_e64 s28, v36
	s_cbranch_execz .LBB67_57
.LBB67_79:                              ;   in Loop: Header=BB67_14 Depth=1
	s_waitcnt lgkmcnt(5)
	global_store_b32 v[2:3], v67, off offset:-640
	s_or_b32 exec_lo, exec_lo, s11
	s_delay_alu instid0(SALU_CYCLE_1)
	s_mov_b32 s11, exec_lo
	v_cmpx_gt_u32_e64 s28, v37
	s_cbranch_execz .LBB67_58
.LBB67_80:                              ;   in Loop: Header=BB67_14 Depth=1
	s_waitcnt lgkmcnt(4)
	global_store_b32 v[2:3], v66, off offset:-512
	s_or_b32 exec_lo, exec_lo, s11
	s_delay_alu instid0(SALU_CYCLE_1)
	s_mov_b32 s11, exec_lo
	v_cmpx_gt_u32_e64 s28, v38
	s_cbranch_execz .LBB67_59
.LBB67_81:                              ;   in Loop: Header=BB67_14 Depth=1
	s_waitcnt lgkmcnt(3)
	global_store_b32 v[2:3], v65, off offset:-384
	s_or_b32 exec_lo, exec_lo, s11
	s_delay_alu instid0(SALU_CYCLE_1)
	s_mov_b32 s11, exec_lo
	v_cmpx_gt_u32_e64 s28, v39
	s_cbranch_execz .LBB67_60
.LBB67_82:                              ;   in Loop: Header=BB67_14 Depth=1
	s_waitcnt lgkmcnt(2)
	global_store_b32 v[2:3], v64, off offset:-256
	s_or_b32 exec_lo, exec_lo, s11
	s_delay_alu instid0(SALU_CYCLE_1)
	s_mov_b32 s11, exec_lo
	v_cmpx_gt_u32_e64 s28, v40
	s_cbranch_execnz .LBB67_61
	s_branch .LBB67_62
.LBB67_83:                              ;   in Loop: Header=BB67_14 Depth=1
	global_load_b32 v0, v[22:23], off
	v_mov_b32_e32 v15, v1
	v_mov_b32_e32 v2, v1
	;; [unrolled: 1-line block ×14, first 2 shown]
	s_waitcnt vmcnt(0)
	v_mov_b32_e32 v17, v15
	s_delay_alu instid0(VALU_DEP_2)
	v_dual_mov_b32 v16, v14 :: v_dual_mov_b32 v15, v13
	v_mov_b32_e32 v14, v12
	v_mov_b32_e32 v13, v11
	;; [unrolled: 1-line block ×13, first 2 shown]
	s_or_b32 exec_lo, exec_lo, s13
	s_delay_alu instid0(SALU_CYCLE_1)
	s_mov_b32 s11, exec_lo
	v_cmpx_gt_u32_e64 s28, v27
	s_cbranch_execz .LBB67_17
.LBB67_84:                              ;   in Loop: Header=BB67_14 Depth=1
	global_load_b32 v3, v[22:23], off offset:128
	s_or_b32 exec_lo, exec_lo, s11
	s_delay_alu instid0(SALU_CYCLE_1)
	s_mov_b32 s11, exec_lo
	v_cmpx_gt_u32_e64 s28, v28
	s_cbranch_execz .LBB67_18
.LBB67_85:                              ;   in Loop: Header=BB67_14 Depth=1
	global_load_b32 v4, v[22:23], off offset:256
	s_or_b32 exec_lo, exec_lo, s11
	s_delay_alu instid0(SALU_CYCLE_1)
	s_mov_b32 s11, exec_lo
	v_cmpx_gt_u32_e64 s28, v29
	s_cbranch_execz .LBB67_19
.LBB67_86:                              ;   in Loop: Header=BB67_14 Depth=1
	global_load_b32 v5, v[22:23], off offset:384
	s_or_b32 exec_lo, exec_lo, s11
	s_delay_alu instid0(SALU_CYCLE_1)
	s_mov_b32 s11, exec_lo
	v_cmpx_gt_u32_e64 s28, v30
	s_cbranch_execz .LBB67_20
.LBB67_87:                              ;   in Loop: Header=BB67_14 Depth=1
	global_load_b32 v6, v[22:23], off offset:512
	s_or_b32 exec_lo, exec_lo, s11
	s_delay_alu instid0(SALU_CYCLE_1)
	s_mov_b32 s11, exec_lo
	v_cmpx_gt_u32_e64 s28, v31
	s_cbranch_execz .LBB67_21
.LBB67_88:                              ;   in Loop: Header=BB67_14 Depth=1
	global_load_b32 v7, v[22:23], off offset:640
	s_or_b32 exec_lo, exec_lo, s11
	s_delay_alu instid0(SALU_CYCLE_1)
	s_mov_b32 s11, exec_lo
	v_cmpx_gt_u32_e64 s28, v32
	s_cbranch_execz .LBB67_22
.LBB67_89:                              ;   in Loop: Header=BB67_14 Depth=1
	global_load_b32 v8, v[22:23], off offset:768
	s_or_b32 exec_lo, exec_lo, s11
	s_delay_alu instid0(SALU_CYCLE_1)
	s_mov_b32 s11, exec_lo
	v_cmpx_gt_u32_e64 s28, v33
	s_cbranch_execz .LBB67_23
.LBB67_90:                              ;   in Loop: Header=BB67_14 Depth=1
	global_load_b32 v9, v[22:23], off offset:896
	s_or_b32 exec_lo, exec_lo, s11
	s_delay_alu instid0(SALU_CYCLE_1)
	s_mov_b32 s11, exec_lo
	v_cmpx_gt_u32_e64 s28, v34
	s_cbranch_execz .LBB67_24
.LBB67_91:                              ;   in Loop: Header=BB67_14 Depth=1
	global_load_b32 v10, v[22:23], off offset:1024
	s_or_b32 exec_lo, exec_lo, s11
	s_delay_alu instid0(SALU_CYCLE_1)
	s_mov_b32 s11, exec_lo
	v_cmpx_gt_u32_e64 s28, v35
	s_cbranch_execz .LBB67_25
.LBB67_92:                              ;   in Loop: Header=BB67_14 Depth=1
	global_load_b32 v11, v[22:23], off offset:1152
	s_or_b32 exec_lo, exec_lo, s11
	s_delay_alu instid0(SALU_CYCLE_1)
	s_mov_b32 s11, exec_lo
	v_cmpx_gt_u32_e64 s28, v36
	s_cbranch_execz .LBB67_26
.LBB67_93:                              ;   in Loop: Header=BB67_14 Depth=1
	global_load_b32 v12, v[22:23], off offset:1280
	s_or_b32 exec_lo, exec_lo, s11
	s_delay_alu instid0(SALU_CYCLE_1)
	s_mov_b32 s11, exec_lo
	v_cmpx_gt_u32_e64 s28, v37
	s_cbranch_execz .LBB67_27
.LBB67_94:                              ;   in Loop: Header=BB67_14 Depth=1
	global_load_b32 v13, v[22:23], off offset:1408
	s_or_b32 exec_lo, exec_lo, s11
	s_delay_alu instid0(SALU_CYCLE_1)
	s_mov_b32 s11, exec_lo
	v_cmpx_gt_u32_e64 s28, v38
	s_cbranch_execz .LBB67_28
.LBB67_95:                              ;   in Loop: Header=BB67_14 Depth=1
	global_load_b32 v14, v[22:23], off offset:1536
	s_or_b32 exec_lo, exec_lo, s11
	s_delay_alu instid0(SALU_CYCLE_1)
	s_mov_b32 s11, exec_lo
	v_cmpx_gt_u32_e64 s28, v39
	s_cbranch_execz .LBB67_29
.LBB67_96:                              ;   in Loop: Header=BB67_14 Depth=1
	global_load_b32 v15, v[22:23], off offset:1664
	s_or_b32 exec_lo, exec_lo, s11
	s_delay_alu instid0(SALU_CYCLE_1)
	s_mov_b32 s11, exec_lo
	v_cmpx_gt_u32_e64 s28, v40
	s_cbranch_execz .LBB67_30
.LBB67_97:                              ;   in Loop: Header=BB67_14 Depth=1
	global_load_b32 v16, v[22:23], off offset:1792
	s_or_b32 exec_lo, exec_lo, s11
	s_delay_alu instid0(SALU_CYCLE_1)
	s_mov_b32 s11, exec_lo
	v_cmpx_gt_u32_e64 s28, v41
	s_cbranch_execnz .LBB67_31
	s_branch .LBB67_32
.LBB67_98:
	s_nop 0
	s_sendmsg sendmsg(MSG_DEALLOC_VGPRS)
	s_endpgm
	.section	.rodata,"a",@progbits
	.p2align	6, 0x0
	.amdhsa_kernel _ZN2at4cuda3cub17final_scan_kernelILi512ELi16EfEEvPKT1_PS3_S6_li
		.amdhsa_group_segment_fixed_size 33792
		.amdhsa_private_segment_fixed_size 0
		.amdhsa_kernarg_size 296
		.amdhsa_user_sgpr_count 15
		.amdhsa_user_sgpr_dispatch_ptr 0
		.amdhsa_user_sgpr_queue_ptr 0
		.amdhsa_user_sgpr_kernarg_segment_ptr 1
		.amdhsa_user_sgpr_dispatch_id 0
		.amdhsa_user_sgpr_private_segment_size 0
		.amdhsa_wavefront_size32 1
		.amdhsa_uses_dynamic_stack 0
		.amdhsa_enable_private_segment 0
		.amdhsa_system_sgpr_workgroup_id_x 1
		.amdhsa_system_sgpr_workgroup_id_y 0
		.amdhsa_system_sgpr_workgroup_id_z 0
		.amdhsa_system_sgpr_workgroup_info 0
		.amdhsa_system_vgpr_workitem_id 0
		.amdhsa_next_free_vgpr 78
		.amdhsa_next_free_sgpr 32
		.amdhsa_reserve_vcc 1
		.amdhsa_float_round_mode_32 0
		.amdhsa_float_round_mode_16_64 0
		.amdhsa_float_denorm_mode_32 3
		.amdhsa_float_denorm_mode_16_64 3
		.amdhsa_dx10_clamp 1
		.amdhsa_ieee_mode 1
		.amdhsa_fp16_overflow 0
		.amdhsa_workgroup_processor_mode 1
		.amdhsa_memory_ordered 1
		.amdhsa_forward_progress 0
		.amdhsa_shared_vgpr_count 0
		.amdhsa_exception_fp_ieee_invalid_op 0
		.amdhsa_exception_fp_denorm_src 0
		.amdhsa_exception_fp_ieee_div_zero 0
		.amdhsa_exception_fp_ieee_overflow 0
		.amdhsa_exception_fp_ieee_underflow 0
		.amdhsa_exception_fp_ieee_inexact 0
		.amdhsa_exception_int_div_zero 0
	.end_amdhsa_kernel
	.section	.text._ZN2at4cuda3cub17final_scan_kernelILi512ELi16EfEEvPKT1_PS3_S6_li,"axG",@progbits,_ZN2at4cuda3cub17final_scan_kernelILi512ELi16EfEEvPKT1_PS3_S6_li,comdat
.Lfunc_end67:
	.size	_ZN2at4cuda3cub17final_scan_kernelILi512ELi16EfEEvPKT1_PS3_S6_li, .Lfunc_end67-_ZN2at4cuda3cub17final_scan_kernelILi512ELi16EfEEvPKT1_PS3_S6_li
                                        ; -- End function
	.section	.AMDGPU.csdata,"",@progbits
; Kernel info:
; codeLenInByte = 5308
; NumSgprs: 34
; NumVgprs: 78
; ScratchSize: 0
; MemoryBound: 0
; FloatMode: 240
; IeeeMode: 1
; LDSByteSize: 33792 bytes/workgroup (compile time only)
; SGPRBlocks: 4
; VGPRBlocks: 9
; NumSGPRsForWavesPerEU: 34
; NumVGPRsForWavesPerEU: 78
; Occupancy: 16
; WaveLimiterHint : 1
; COMPUTE_PGM_RSRC2:SCRATCH_EN: 0
; COMPUTE_PGM_RSRC2:USER_SGPR: 15
; COMPUTE_PGM_RSRC2:TRAP_HANDLER: 0
; COMPUTE_PGM_RSRC2:TGID_X_EN: 1
; COMPUTE_PGM_RSRC2:TGID_Y_EN: 0
; COMPUTE_PGM_RSRC2:TGID_Z_EN: 0
; COMPUTE_PGM_RSRC2:TIDIG_COMP_CNT: 0
	.section	.text._ZN7rocprim17ROCPRIM_304000_NS6detail31init_lookback_scan_state_kernelINS1_19lookback_scan_stateIfLb1ELb1EEEEEvT_jjPNS5_10value_typeE,"axG",@progbits,_ZN7rocprim17ROCPRIM_304000_NS6detail31init_lookback_scan_state_kernelINS1_19lookback_scan_stateIfLb1ELb1EEEEEvT_jjPNS5_10value_typeE,comdat
	.protected	_ZN7rocprim17ROCPRIM_304000_NS6detail31init_lookback_scan_state_kernelINS1_19lookback_scan_stateIfLb1ELb1EEEEEvT_jjPNS5_10value_typeE ; -- Begin function _ZN7rocprim17ROCPRIM_304000_NS6detail31init_lookback_scan_state_kernelINS1_19lookback_scan_stateIfLb1ELb1EEEEEvT_jjPNS5_10value_typeE
	.globl	_ZN7rocprim17ROCPRIM_304000_NS6detail31init_lookback_scan_state_kernelINS1_19lookback_scan_stateIfLb1ELb1EEEEEvT_jjPNS5_10value_typeE
	.p2align	8
	.type	_ZN7rocprim17ROCPRIM_304000_NS6detail31init_lookback_scan_state_kernelINS1_19lookback_scan_stateIfLb1ELb1EEEEEvT_jjPNS5_10value_typeE,@function
_ZN7rocprim17ROCPRIM_304000_NS6detail31init_lookback_scan_state_kernelINS1_19lookback_scan_stateIfLb1ELb1EEEEEvT_jjPNS5_10value_typeE: ; @_ZN7rocprim17ROCPRIM_304000_NS6detail31init_lookback_scan_state_kernelINS1_19lookback_scan_stateIfLb1ELb1EEEEEvT_jjPNS5_10value_typeE
; %bb.0:
	s_clause 0x2
	s_load_b32 s6, s[0:1], 0x24
	s_load_b64 s[4:5], s[0:1], 0x10
	s_load_b128 s[0:3], s[0:1], 0x0
	s_waitcnt lgkmcnt(0)
	s_and_b32 s6, s6, 0xffff
	s_cmp_eq_u64 s[4:5], 0
	v_mad_u64_u32 v[1:2], null, s15, s6, v[0:1]
	s_cbranch_scc1 .LBB68_9
; %bb.1:
	s_cmp_lt_u32 s3, s2
	s_mov_b32 s7, 0
	s_cselect_b32 s6, s3, 0
	s_mov_b32 s8, exec_lo
	s_delay_alu instid0(VALU_DEP_1)
	v_cmpx_eq_u32_e64 s6, v1
	s_cbranch_execz .LBB68_8
; %bb.2:
	s_add_i32 s6, s3, 32
	v_mov_b32_e32 v2, 0
	s_lshl_b64 s[6:7], s[6:7], 3
	s_delay_alu instid0(SALU_CYCLE_1) | instskip(SKIP_4) | instid1(VALU_DEP_1)
	s_add_u32 s6, s0, s6
	s_addc_u32 s7, s1, s7
	global_load_b64 v[4:5], v2, s[6:7] glc
	s_waitcnt vmcnt(0)
	v_and_b32_e32 v3, 0xff, v5
	v_cmp_ne_u64_e32 vcc_lo, 0, v[2:3]
	s_cbranch_vccnz .LBB68_7
; %bb.3:
	s_mov_b32 s3, 1
.LBB68_4:                               ; =>This Loop Header: Depth=1
                                        ;     Child Loop BB68_5 Depth 2
	s_delay_alu instid0(SALU_CYCLE_1)
	s_max_u32 s9, s3, 1
.LBB68_5:                               ;   Parent Loop BB68_4 Depth=1
                                        ; =>  This Inner Loop Header: Depth=2
	s_delay_alu instid0(SALU_CYCLE_1)
	s_add_i32 s9, s9, -1
	s_sleep 1
	s_cmp_eq_u32 s9, 0
	s_cbranch_scc0 .LBB68_5
; %bb.6:                                ;   in Loop: Header=BB68_4 Depth=1
	global_load_b64 v[4:5], v2, s[6:7] glc
	s_cmp_lt_u32 s3, 32
	s_cselect_b32 s9, -1, 0
	s_delay_alu instid0(SALU_CYCLE_1) | instskip(SKIP_3) | instid1(VALU_DEP_1)
	s_cmp_lg_u32 s9, 0
	s_addc_u32 s3, s3, 0
	s_waitcnt vmcnt(0)
	v_and_b32_e32 v3, 0xff, v5
	v_cmp_ne_u64_e32 vcc_lo, 0, v[2:3]
	s_cbranch_vccz .LBB68_4
.LBB68_7:
	v_mov_b32_e32 v0, 0
	global_store_b32 v0, v4, s[4:5]
.LBB68_8:
	s_or_b32 exec_lo, exec_lo, s8
.LBB68_9:
	s_delay_alu instid0(VALU_DEP_1)
	v_cmp_gt_u32_e32 vcc_lo, s2, v1
	s_and_saveexec_b32 s2, vcc_lo
	s_cbranch_execz .LBB68_11
; %bb.10:
	v_dual_mov_b32 v3, 0 :: v_dual_add_nc_u32 v2, 32, v1
	s_delay_alu instid0(VALU_DEP_1) | instskip(SKIP_1) | instid1(VALU_DEP_2)
	v_lshlrev_b64 v[4:5], 3, v[2:3]
	v_mov_b32_e32 v2, v3
	v_add_co_u32 v4, vcc_lo, s0, v4
	s_delay_alu instid0(VALU_DEP_3)
	v_add_co_ci_u32_e32 v5, vcc_lo, s1, v5, vcc_lo
	global_store_b64 v[4:5], v[2:3], off
.LBB68_11:
	s_or_b32 exec_lo, exec_lo, s2
	s_delay_alu instid0(SALU_CYCLE_1)
	s_mov_b32 s2, exec_lo
	v_cmpx_gt_u32_e32 32, v1
	s_cbranch_execz .LBB68_13
; %bb.12:
	v_dual_mov_b32 v2, 0 :: v_dual_mov_b32 v3, 0xff
	s_delay_alu instid0(VALU_DEP_1) | instskip(NEXT) | instid1(VALU_DEP_1)
	v_lshlrev_b64 v[0:1], 3, v[1:2]
	v_add_co_u32 v0, vcc_lo, s0, v0
	s_delay_alu instid0(VALU_DEP_2)
	v_add_co_ci_u32_e32 v1, vcc_lo, s1, v1, vcc_lo
	global_store_b64 v[0:1], v[2:3], off
.LBB68_13:
	s_nop 0
	s_sendmsg sendmsg(MSG_DEALLOC_VGPRS)
	s_endpgm
	.section	.rodata,"a",@progbits
	.p2align	6, 0x0
	.amdhsa_kernel _ZN7rocprim17ROCPRIM_304000_NS6detail31init_lookback_scan_state_kernelINS1_19lookback_scan_stateIfLb1ELb1EEEEEvT_jjPNS5_10value_typeE
		.amdhsa_group_segment_fixed_size 0
		.amdhsa_private_segment_fixed_size 0
		.amdhsa_kernarg_size 280
		.amdhsa_user_sgpr_count 15
		.amdhsa_user_sgpr_dispatch_ptr 0
		.amdhsa_user_sgpr_queue_ptr 0
		.amdhsa_user_sgpr_kernarg_segment_ptr 1
		.amdhsa_user_sgpr_dispatch_id 0
		.amdhsa_user_sgpr_private_segment_size 0
		.amdhsa_wavefront_size32 1
		.amdhsa_uses_dynamic_stack 0
		.amdhsa_enable_private_segment 0
		.amdhsa_system_sgpr_workgroup_id_x 1
		.amdhsa_system_sgpr_workgroup_id_y 0
		.amdhsa_system_sgpr_workgroup_id_z 0
		.amdhsa_system_sgpr_workgroup_info 0
		.amdhsa_system_vgpr_workitem_id 0
		.amdhsa_next_free_vgpr 6
		.amdhsa_next_free_sgpr 16
		.amdhsa_reserve_vcc 1
		.amdhsa_float_round_mode_32 0
		.amdhsa_float_round_mode_16_64 0
		.amdhsa_float_denorm_mode_32 3
		.amdhsa_float_denorm_mode_16_64 3
		.amdhsa_dx10_clamp 1
		.amdhsa_ieee_mode 1
		.amdhsa_fp16_overflow 0
		.amdhsa_workgroup_processor_mode 1
		.amdhsa_memory_ordered 1
		.amdhsa_forward_progress 0
		.amdhsa_shared_vgpr_count 0
		.amdhsa_exception_fp_ieee_invalid_op 0
		.amdhsa_exception_fp_denorm_src 0
		.amdhsa_exception_fp_ieee_div_zero 0
		.amdhsa_exception_fp_ieee_overflow 0
		.amdhsa_exception_fp_ieee_underflow 0
		.amdhsa_exception_fp_ieee_inexact 0
		.amdhsa_exception_int_div_zero 0
	.end_amdhsa_kernel
	.section	.text._ZN7rocprim17ROCPRIM_304000_NS6detail31init_lookback_scan_state_kernelINS1_19lookback_scan_stateIfLb1ELb1EEEEEvT_jjPNS5_10value_typeE,"axG",@progbits,_ZN7rocprim17ROCPRIM_304000_NS6detail31init_lookback_scan_state_kernelINS1_19lookback_scan_stateIfLb1ELb1EEEEEvT_jjPNS5_10value_typeE,comdat
.Lfunc_end68:
	.size	_ZN7rocprim17ROCPRIM_304000_NS6detail31init_lookback_scan_state_kernelINS1_19lookback_scan_stateIfLb1ELb1EEEEEvT_jjPNS5_10value_typeE, .Lfunc_end68-_ZN7rocprim17ROCPRIM_304000_NS6detail31init_lookback_scan_state_kernelINS1_19lookback_scan_stateIfLb1ELb1EEEEEvT_jjPNS5_10value_typeE
                                        ; -- End function
	.section	.AMDGPU.csdata,"",@progbits
; Kernel info:
; codeLenInByte = 380
; NumSgprs: 18
; NumVgprs: 6
; ScratchSize: 0
; MemoryBound: 0
; FloatMode: 240
; IeeeMode: 1
; LDSByteSize: 0 bytes/workgroup (compile time only)
; SGPRBlocks: 2
; VGPRBlocks: 0
; NumSGPRsForWavesPerEU: 18
; NumVGPRsForWavesPerEU: 6
; Occupancy: 16
; WaveLimiterHint : 0
; COMPUTE_PGM_RSRC2:SCRATCH_EN: 0
; COMPUTE_PGM_RSRC2:USER_SGPR: 15
; COMPUTE_PGM_RSRC2:TRAP_HANDLER: 0
; COMPUTE_PGM_RSRC2:TGID_X_EN: 1
; COMPUTE_PGM_RSRC2:TGID_Y_EN: 0
; COMPUTE_PGM_RSRC2:TGID_Z_EN: 0
; COMPUTE_PGM_RSRC2:TIDIG_COMP_CNT: 0
	.section	.text._ZN7rocprim17ROCPRIM_304000_NS6detail31init_lookback_scan_state_kernelINS1_19lookback_scan_stateIfLb0ELb1EEEEEvT_jjPNS5_10value_typeE,"axG",@progbits,_ZN7rocprim17ROCPRIM_304000_NS6detail31init_lookback_scan_state_kernelINS1_19lookback_scan_stateIfLb0ELb1EEEEEvT_jjPNS5_10value_typeE,comdat
	.protected	_ZN7rocprim17ROCPRIM_304000_NS6detail31init_lookback_scan_state_kernelINS1_19lookback_scan_stateIfLb0ELb1EEEEEvT_jjPNS5_10value_typeE ; -- Begin function _ZN7rocprim17ROCPRIM_304000_NS6detail31init_lookback_scan_state_kernelINS1_19lookback_scan_stateIfLb0ELb1EEEEEvT_jjPNS5_10value_typeE
	.globl	_ZN7rocprim17ROCPRIM_304000_NS6detail31init_lookback_scan_state_kernelINS1_19lookback_scan_stateIfLb0ELb1EEEEEvT_jjPNS5_10value_typeE
	.p2align	8
	.type	_ZN7rocprim17ROCPRIM_304000_NS6detail31init_lookback_scan_state_kernelINS1_19lookback_scan_stateIfLb0ELb1EEEEEvT_jjPNS5_10value_typeE,@function
_ZN7rocprim17ROCPRIM_304000_NS6detail31init_lookback_scan_state_kernelINS1_19lookback_scan_stateIfLb0ELb1EEEEEvT_jjPNS5_10value_typeE: ; @_ZN7rocprim17ROCPRIM_304000_NS6detail31init_lookback_scan_state_kernelINS1_19lookback_scan_stateIfLb0ELb1EEEEEvT_jjPNS5_10value_typeE
; %bb.0:
	s_clause 0x2
	s_load_b32 s6, s[0:1], 0x24
	s_load_b64 s[4:5], s[0:1], 0x10
	s_load_b128 s[0:3], s[0:1], 0x0
	s_waitcnt lgkmcnt(0)
	s_and_b32 s6, s6, 0xffff
	s_cmp_eq_u64 s[4:5], 0
	v_mad_u64_u32 v[1:2], null, s15, s6, v[0:1]
	s_cbranch_scc1 .LBB69_6
; %bb.1:
	s_cmp_lt_u32 s3, s2
	s_mov_b32 s7, 0
	s_cselect_b32 s6, s3, 0
	s_mov_b32 s8, exec_lo
	s_delay_alu instid0(VALU_DEP_1)
	v_cmpx_eq_u32_e64 s6, v1
	s_cbranch_execz .LBB69_5
; %bb.2:
	s_add_i32 s6, s3, 32
	v_mov_b32_e32 v4, 0
	s_lshl_b64 s[6:7], s[6:7], 3
	s_delay_alu instid0(SALU_CYCLE_1) | instskip(SKIP_4) | instid1(VALU_DEP_1)
	s_add_u32 s6, s0, s6
	s_addc_u32 s7, s1, s7
	global_load_b64 v[2:3], v4, s[6:7] glc
	s_waitcnt vmcnt(0)
	v_and_b32_e32 v5, 0xff, v3
	v_cmp_ne_u64_e32 vcc_lo, 0, v[4:5]
	s_cbranch_vccnz .LBB69_4
.LBB69_3:                               ; =>This Inner Loop Header: Depth=1
	global_load_b64 v[2:3], v4, s[6:7] glc
	s_waitcnt vmcnt(0)
	v_and_b32_e32 v5, 0xff, v3
	s_delay_alu instid0(VALU_DEP_1)
	v_cmp_eq_u64_e32 vcc_lo, 0, v[4:5]
	s_cbranch_vccnz .LBB69_3
.LBB69_4:
	v_mov_b32_e32 v0, 0
	global_store_b32 v0, v2, s[4:5]
.LBB69_5:
	s_or_b32 exec_lo, exec_lo, s8
.LBB69_6:
	s_delay_alu instid0(VALU_DEP_1)
	v_cmp_gt_u32_e32 vcc_lo, s2, v1
	s_and_saveexec_b32 s2, vcc_lo
	s_cbranch_execz .LBB69_8
; %bb.7:
	v_dual_mov_b32 v3, 0 :: v_dual_add_nc_u32 v2, 32, v1
	s_delay_alu instid0(VALU_DEP_1) | instskip(SKIP_1) | instid1(VALU_DEP_2)
	v_lshlrev_b64 v[4:5], 3, v[2:3]
	v_mov_b32_e32 v2, v3
	v_add_co_u32 v4, vcc_lo, s0, v4
	s_delay_alu instid0(VALU_DEP_3)
	v_add_co_ci_u32_e32 v5, vcc_lo, s1, v5, vcc_lo
	global_store_b64 v[4:5], v[2:3], off
.LBB69_8:
	s_or_b32 exec_lo, exec_lo, s2
	s_delay_alu instid0(SALU_CYCLE_1)
	s_mov_b32 s2, exec_lo
	v_cmpx_gt_u32_e32 32, v1
	s_cbranch_execz .LBB69_10
; %bb.9:
	v_dual_mov_b32 v2, 0 :: v_dual_mov_b32 v3, 0xff
	s_delay_alu instid0(VALU_DEP_1) | instskip(NEXT) | instid1(VALU_DEP_1)
	v_lshlrev_b64 v[0:1], 3, v[1:2]
	v_add_co_u32 v0, vcc_lo, s0, v0
	s_delay_alu instid0(VALU_DEP_2)
	v_add_co_ci_u32_e32 v1, vcc_lo, s1, v1, vcc_lo
	global_store_b64 v[0:1], v[2:3], off
.LBB69_10:
	s_nop 0
	s_sendmsg sendmsg(MSG_DEALLOC_VGPRS)
	s_endpgm
	.section	.rodata,"a",@progbits
	.p2align	6, 0x0
	.amdhsa_kernel _ZN7rocprim17ROCPRIM_304000_NS6detail31init_lookback_scan_state_kernelINS1_19lookback_scan_stateIfLb0ELb1EEEEEvT_jjPNS5_10value_typeE
		.amdhsa_group_segment_fixed_size 0
		.amdhsa_private_segment_fixed_size 0
		.amdhsa_kernarg_size 280
		.amdhsa_user_sgpr_count 15
		.amdhsa_user_sgpr_dispatch_ptr 0
		.amdhsa_user_sgpr_queue_ptr 0
		.amdhsa_user_sgpr_kernarg_segment_ptr 1
		.amdhsa_user_sgpr_dispatch_id 0
		.amdhsa_user_sgpr_private_segment_size 0
		.amdhsa_wavefront_size32 1
		.amdhsa_uses_dynamic_stack 0
		.amdhsa_enable_private_segment 0
		.amdhsa_system_sgpr_workgroup_id_x 1
		.amdhsa_system_sgpr_workgroup_id_y 0
		.amdhsa_system_sgpr_workgroup_id_z 0
		.amdhsa_system_sgpr_workgroup_info 0
		.amdhsa_system_vgpr_workitem_id 0
		.amdhsa_next_free_vgpr 6
		.amdhsa_next_free_sgpr 16
		.amdhsa_reserve_vcc 1
		.amdhsa_float_round_mode_32 0
		.amdhsa_float_round_mode_16_64 0
		.amdhsa_float_denorm_mode_32 3
		.amdhsa_float_denorm_mode_16_64 3
		.amdhsa_dx10_clamp 1
		.amdhsa_ieee_mode 1
		.amdhsa_fp16_overflow 0
		.amdhsa_workgroup_processor_mode 1
		.amdhsa_memory_ordered 1
		.amdhsa_forward_progress 0
		.amdhsa_shared_vgpr_count 0
		.amdhsa_exception_fp_ieee_invalid_op 0
		.amdhsa_exception_fp_denorm_src 0
		.amdhsa_exception_fp_ieee_div_zero 0
		.amdhsa_exception_fp_ieee_overflow 0
		.amdhsa_exception_fp_ieee_underflow 0
		.amdhsa_exception_fp_ieee_inexact 0
		.amdhsa_exception_int_div_zero 0
	.end_amdhsa_kernel
	.section	.text._ZN7rocprim17ROCPRIM_304000_NS6detail31init_lookback_scan_state_kernelINS1_19lookback_scan_stateIfLb0ELb1EEEEEvT_jjPNS5_10value_typeE,"axG",@progbits,_ZN7rocprim17ROCPRIM_304000_NS6detail31init_lookback_scan_state_kernelINS1_19lookback_scan_stateIfLb0ELb1EEEEEvT_jjPNS5_10value_typeE,comdat
.Lfunc_end69:
	.size	_ZN7rocprim17ROCPRIM_304000_NS6detail31init_lookback_scan_state_kernelINS1_19lookback_scan_stateIfLb0ELb1EEEEEvT_jjPNS5_10value_typeE, .Lfunc_end69-_ZN7rocprim17ROCPRIM_304000_NS6detail31init_lookback_scan_state_kernelINS1_19lookback_scan_stateIfLb0ELb1EEEEEvT_jjPNS5_10value_typeE
                                        ; -- End function
	.section	.AMDGPU.csdata,"",@progbits
; Kernel info:
; codeLenInByte = 332
; NumSgprs: 18
; NumVgprs: 6
; ScratchSize: 0
; MemoryBound: 0
; FloatMode: 240
; IeeeMode: 1
; LDSByteSize: 0 bytes/workgroup (compile time only)
; SGPRBlocks: 2
; VGPRBlocks: 0
; NumSGPRsForWavesPerEU: 18
; NumVGPRsForWavesPerEU: 6
; Occupancy: 16
; WaveLimiterHint : 0
; COMPUTE_PGM_RSRC2:SCRATCH_EN: 0
; COMPUTE_PGM_RSRC2:USER_SGPR: 15
; COMPUTE_PGM_RSRC2:TRAP_HANDLER: 0
; COMPUTE_PGM_RSRC2:TGID_X_EN: 1
; COMPUTE_PGM_RSRC2:TGID_Y_EN: 0
; COMPUTE_PGM_RSRC2:TGID_Z_EN: 0
; COMPUTE_PGM_RSRC2:TIDIG_COMP_CNT: 0
	.section	.text._ZN7rocprim17ROCPRIM_304000_NS6detail20lookback_scan_kernelILNS1_25lookback_scan_determinismE0ELb0ENS1_19wrapped_scan_configINS0_14default_configEfEEPKfPfSt4plusIfEffNS1_19lookback_scan_stateIfLb1ELb1EEEEEvT2_T3_mT5_T4_T7_jPT6_SK_bb,"axG",@progbits,_ZN7rocprim17ROCPRIM_304000_NS6detail20lookback_scan_kernelILNS1_25lookback_scan_determinismE0ELb0ENS1_19wrapped_scan_configINS0_14default_configEfEEPKfPfSt4plusIfEffNS1_19lookback_scan_stateIfLb1ELb1EEEEEvT2_T3_mT5_T4_T7_jPT6_SK_bb,comdat
	.protected	_ZN7rocprim17ROCPRIM_304000_NS6detail20lookback_scan_kernelILNS1_25lookback_scan_determinismE0ELb0ENS1_19wrapped_scan_configINS0_14default_configEfEEPKfPfSt4plusIfEffNS1_19lookback_scan_stateIfLb1ELb1EEEEEvT2_T3_mT5_T4_T7_jPT6_SK_bb ; -- Begin function _ZN7rocprim17ROCPRIM_304000_NS6detail20lookback_scan_kernelILNS1_25lookback_scan_determinismE0ELb0ENS1_19wrapped_scan_configINS0_14default_configEfEEPKfPfSt4plusIfEffNS1_19lookback_scan_stateIfLb1ELb1EEEEEvT2_T3_mT5_T4_T7_jPT6_SK_bb
	.globl	_ZN7rocprim17ROCPRIM_304000_NS6detail20lookback_scan_kernelILNS1_25lookback_scan_determinismE0ELb0ENS1_19wrapped_scan_configINS0_14default_configEfEEPKfPfSt4plusIfEffNS1_19lookback_scan_stateIfLb1ELb1EEEEEvT2_T3_mT5_T4_T7_jPT6_SK_bb
	.p2align	8
	.type	_ZN7rocprim17ROCPRIM_304000_NS6detail20lookback_scan_kernelILNS1_25lookback_scan_determinismE0ELb0ENS1_19wrapped_scan_configINS0_14default_configEfEEPKfPfSt4plusIfEffNS1_19lookback_scan_stateIfLb1ELb1EEEEEvT2_T3_mT5_T4_T7_jPT6_SK_bb,@function
_ZN7rocprim17ROCPRIM_304000_NS6detail20lookback_scan_kernelILNS1_25lookback_scan_determinismE0ELb0ENS1_19wrapped_scan_configINS0_14default_configEfEEPKfPfSt4plusIfEffNS1_19lookback_scan_stateIfLb1ELb1EEEEEvT2_T3_mT5_T4_T7_jPT6_SK_bb: ; @_ZN7rocprim17ROCPRIM_304000_NS6detail20lookback_scan_kernelILNS1_25lookback_scan_determinismE0ELb0ENS1_19wrapped_scan_configINS0_14default_configEfEEPKfPfSt4plusIfEffNS1_19lookback_scan_stateIfLb1ELb1EEEEEvT2_T3_mT5_T4_T7_jPT6_SK_bb
; %bb.0:
	s_endpgm
	.section	.rodata,"a",@progbits
	.p2align	6, 0x0
	.amdhsa_kernel _ZN7rocprim17ROCPRIM_304000_NS6detail20lookback_scan_kernelILNS1_25lookback_scan_determinismE0ELb0ENS1_19wrapped_scan_configINS0_14default_configEfEEPKfPfSt4plusIfEffNS1_19lookback_scan_stateIfLb1ELb1EEEEEvT2_T3_mT5_T4_T7_jPT6_SK_bb
		.amdhsa_group_segment_fixed_size 0
		.amdhsa_private_segment_fixed_size 0
		.amdhsa_kernarg_size 68
		.amdhsa_user_sgpr_count 15
		.amdhsa_user_sgpr_dispatch_ptr 0
		.amdhsa_user_sgpr_queue_ptr 0
		.amdhsa_user_sgpr_kernarg_segment_ptr 1
		.amdhsa_user_sgpr_dispatch_id 0
		.amdhsa_user_sgpr_private_segment_size 0
		.amdhsa_wavefront_size32 1
		.amdhsa_uses_dynamic_stack 0
		.amdhsa_enable_private_segment 0
		.amdhsa_system_sgpr_workgroup_id_x 1
		.amdhsa_system_sgpr_workgroup_id_y 0
		.amdhsa_system_sgpr_workgroup_id_z 0
		.amdhsa_system_sgpr_workgroup_info 0
		.amdhsa_system_vgpr_workitem_id 0
		.amdhsa_next_free_vgpr 1
		.amdhsa_next_free_sgpr 1
		.amdhsa_reserve_vcc 0
		.amdhsa_float_round_mode_32 0
		.amdhsa_float_round_mode_16_64 0
		.amdhsa_float_denorm_mode_32 3
		.amdhsa_float_denorm_mode_16_64 3
		.amdhsa_dx10_clamp 1
		.amdhsa_ieee_mode 1
		.amdhsa_fp16_overflow 0
		.amdhsa_workgroup_processor_mode 1
		.amdhsa_memory_ordered 1
		.amdhsa_forward_progress 0
		.amdhsa_shared_vgpr_count 0
		.amdhsa_exception_fp_ieee_invalid_op 0
		.amdhsa_exception_fp_denorm_src 0
		.amdhsa_exception_fp_ieee_div_zero 0
		.amdhsa_exception_fp_ieee_overflow 0
		.amdhsa_exception_fp_ieee_underflow 0
		.amdhsa_exception_fp_ieee_inexact 0
		.amdhsa_exception_int_div_zero 0
	.end_amdhsa_kernel
	.section	.text._ZN7rocprim17ROCPRIM_304000_NS6detail20lookback_scan_kernelILNS1_25lookback_scan_determinismE0ELb0ENS1_19wrapped_scan_configINS0_14default_configEfEEPKfPfSt4plusIfEffNS1_19lookback_scan_stateIfLb1ELb1EEEEEvT2_T3_mT5_T4_T7_jPT6_SK_bb,"axG",@progbits,_ZN7rocprim17ROCPRIM_304000_NS6detail20lookback_scan_kernelILNS1_25lookback_scan_determinismE0ELb0ENS1_19wrapped_scan_configINS0_14default_configEfEEPKfPfSt4plusIfEffNS1_19lookback_scan_stateIfLb1ELb1EEEEEvT2_T3_mT5_T4_T7_jPT6_SK_bb,comdat
.Lfunc_end70:
	.size	_ZN7rocprim17ROCPRIM_304000_NS6detail20lookback_scan_kernelILNS1_25lookback_scan_determinismE0ELb0ENS1_19wrapped_scan_configINS0_14default_configEfEEPKfPfSt4plusIfEffNS1_19lookback_scan_stateIfLb1ELb1EEEEEvT2_T3_mT5_T4_T7_jPT6_SK_bb, .Lfunc_end70-_ZN7rocprim17ROCPRIM_304000_NS6detail20lookback_scan_kernelILNS1_25lookback_scan_determinismE0ELb0ENS1_19wrapped_scan_configINS0_14default_configEfEEPKfPfSt4plusIfEffNS1_19lookback_scan_stateIfLb1ELb1EEEEEvT2_T3_mT5_T4_T7_jPT6_SK_bb
                                        ; -- End function
	.section	.AMDGPU.csdata,"",@progbits
; Kernel info:
; codeLenInByte = 4
; NumSgprs: 0
; NumVgprs: 0
; ScratchSize: 0
; MemoryBound: 0
; FloatMode: 240
; IeeeMode: 1
; LDSByteSize: 0 bytes/workgroup (compile time only)
; SGPRBlocks: 0
; VGPRBlocks: 0
; NumSGPRsForWavesPerEU: 1
; NumVGPRsForWavesPerEU: 1
; Occupancy: 16
; WaveLimiterHint : 0
; COMPUTE_PGM_RSRC2:SCRATCH_EN: 0
; COMPUTE_PGM_RSRC2:USER_SGPR: 15
; COMPUTE_PGM_RSRC2:TRAP_HANDLER: 0
; COMPUTE_PGM_RSRC2:TGID_X_EN: 1
; COMPUTE_PGM_RSRC2:TGID_Y_EN: 0
; COMPUTE_PGM_RSRC2:TGID_Z_EN: 0
; COMPUTE_PGM_RSRC2:TIDIG_COMP_CNT: 0
	.section	.text._ZN7rocprim17ROCPRIM_304000_NS6detail20lookback_scan_kernelILNS1_25lookback_scan_determinismE0ELb0ENS1_19wrapped_scan_configINS0_14default_configEfEEPKfPfSt4plusIfEffNS1_19lookback_scan_stateIfLb0ELb1EEEEEvT2_T3_mT5_T4_T7_jPT6_SK_bb,"axG",@progbits,_ZN7rocprim17ROCPRIM_304000_NS6detail20lookback_scan_kernelILNS1_25lookback_scan_determinismE0ELb0ENS1_19wrapped_scan_configINS0_14default_configEfEEPKfPfSt4plusIfEffNS1_19lookback_scan_stateIfLb0ELb1EEEEEvT2_T3_mT5_T4_T7_jPT6_SK_bb,comdat
	.protected	_ZN7rocprim17ROCPRIM_304000_NS6detail20lookback_scan_kernelILNS1_25lookback_scan_determinismE0ELb0ENS1_19wrapped_scan_configINS0_14default_configEfEEPKfPfSt4plusIfEffNS1_19lookback_scan_stateIfLb0ELb1EEEEEvT2_T3_mT5_T4_T7_jPT6_SK_bb ; -- Begin function _ZN7rocprim17ROCPRIM_304000_NS6detail20lookback_scan_kernelILNS1_25lookback_scan_determinismE0ELb0ENS1_19wrapped_scan_configINS0_14default_configEfEEPKfPfSt4plusIfEffNS1_19lookback_scan_stateIfLb0ELb1EEEEEvT2_T3_mT5_T4_T7_jPT6_SK_bb
	.globl	_ZN7rocprim17ROCPRIM_304000_NS6detail20lookback_scan_kernelILNS1_25lookback_scan_determinismE0ELb0ENS1_19wrapped_scan_configINS0_14default_configEfEEPKfPfSt4plusIfEffNS1_19lookback_scan_stateIfLb0ELb1EEEEEvT2_T3_mT5_T4_T7_jPT6_SK_bb
	.p2align	8
	.type	_ZN7rocprim17ROCPRIM_304000_NS6detail20lookback_scan_kernelILNS1_25lookback_scan_determinismE0ELb0ENS1_19wrapped_scan_configINS0_14default_configEfEEPKfPfSt4plusIfEffNS1_19lookback_scan_stateIfLb0ELb1EEEEEvT2_T3_mT5_T4_T7_jPT6_SK_bb,@function
_ZN7rocprim17ROCPRIM_304000_NS6detail20lookback_scan_kernelILNS1_25lookback_scan_determinismE0ELb0ENS1_19wrapped_scan_configINS0_14default_configEfEEPKfPfSt4plusIfEffNS1_19lookback_scan_stateIfLb0ELb1EEEEEvT2_T3_mT5_T4_T7_jPT6_SK_bb: ; @_ZN7rocprim17ROCPRIM_304000_NS6detail20lookback_scan_kernelILNS1_25lookback_scan_determinismE0ELb0ENS1_19wrapped_scan_configINS0_14default_configEfEEPKfPfSt4plusIfEffNS1_19lookback_scan_stateIfLb0ELb1EEEEEvT2_T3_mT5_T4_T7_jPT6_SK_bb
; %bb.0:
	s_clause 0x2
	s_load_b32 s10, s[0:1], 0x28
	s_load_b64 s[2:3], s[0:1], 0x10
	s_load_b128 s[4:7], s[0:1], 0x0
	s_lshl_b32 s8, s15, 10
	s_mov_b32 s9, 0
	v_lshlrev_b32_e32 v48, 2, v0
	v_lshrrev_b32_e32 v19, 3, v0
	v_or_b32_e32 v47, 64, v0
	v_or_b32_e32 v46, 0x80, v0
	;; [unrolled: 1-line block ×13, first 2 shown]
	s_waitcnt lgkmcnt(0)
	s_add_i32 s10, s10, -1
	v_or_b32_e32 v34, 0x380, v0
	s_lshl_b32 s11, s10, 10
	v_or_b32_e32 v33, 0x3c0, v0
	s_sub_u32 s14, s2, s11
	s_subb_u32 s33, s3, 0
	s_cmp_lg_u32 s15, s10
	s_mov_b32 s3, -1
	s_cselect_b32 s34, -1, 0
	s_lshl_b64 s[12:13], s[8:9], 2
	s_delay_alu instid0(SALU_CYCLE_1)
	s_add_u32 s4, s4, s12
	s_addc_u32 s5, s5, s13
	s_and_b32 vcc_lo, exec_lo, s34
	s_cbranch_vccz .LBB71_2
; %bb.1:
	s_clause 0xf
	global_load_b32 v1, v48, s[4:5]
	global_load_b32 v2, v48, s[4:5] offset:256
	global_load_b32 v3, v48, s[4:5] offset:512
	;; [unrolled: 1-line block ×15, first 2 shown]
	v_lshrrev_b32_e32 v18, 3, v47
	v_lshrrev_b32_e32 v20, 3, v46
	;; [unrolled: 1-line block ×4, first 2 shown]
	v_and_b32_e32 v17, 4, v19
	v_lshrrev_b32_e32 v23, 3, v43
	v_lshrrev_b32_e32 v24, 3, v42
	;; [unrolled: 1-line block ×11, first 2 shown]
	v_and_b32_e32 v18, 12, v18
	v_and_b32_e32 v20, 20, v20
	;; [unrolled: 1-line block ×4, first 2 shown]
	v_add_nc_u32_e32 v17, v17, v48
	v_and_b32_e32 v23, 44, v23
	v_and_b32_e32 v24, 52, v24
	;; [unrolled: 1-line block ×11, first 2 shown]
	v_add_nc_u32_e32 v18, v18, v48
	v_add_nc_u32_e32 v20, v20, v48
	;; [unrolled: 1-line block ×4, first 2 shown]
	s_mov_b32 s3, 0
	v_add_nc_u32_e32 v23, v23, v48
	v_add_nc_u32_e32 v24, v24, v48
	;; [unrolled: 1-line block ×11, first 2 shown]
	s_waitcnt vmcnt(15)
	ds_store_b32 v17, v1
	s_waitcnt vmcnt(14)
	ds_store_b32 v18, v2 offset:256
	s_waitcnt vmcnt(13)
	ds_store_b32 v20, v3 offset:512
	;; [unrolled: 2-line block ×15, first 2 shown]
	s_waitcnt lgkmcnt(0)
	s_barrier
.LBB71_2:
	v_cmp_gt_u32_e64 s2, s14, v0
	s_and_not1_b32 vcc_lo, exec_lo, s3
	s_cbranch_vccnz .LBB71_21
; %bb.3:
	s_load_b32 s16, s[4:5], 0x0
	v_add_co_u32 v17, s3, s4, v48
	s_delay_alu instid0(VALU_DEP_1)
	v_add_co_ci_u32_e64 v18, null, s5, 0, s3
	s_waitcnt lgkmcnt(0)
	s_mov_b32 s17, s16
	s_mov_b32 s18, s16
	;; [unrolled: 1-line block ×15, first 2 shown]
	v_dual_mov_b32 v1, s16 :: v_dual_mov_b32 v2, s17
	v_dual_mov_b32 v3, s18 :: v_dual_mov_b32 v4, s19
	;; [unrolled: 1-line block ×8, first 2 shown]
	v_mov_b32_e32 v20, s16
	s_and_saveexec_b32 s3, s2
	s_cbranch_execnz .LBB71_135
; %bb.4:
	s_or_b32 exec_lo, exec_lo, s3
	s_delay_alu instid0(SALU_CYCLE_1)
	s_mov_b32 s2, exec_lo
	v_cmpx_gt_u32_e64 s14, v47
	s_cbranch_execnz .LBB71_136
.LBB71_5:
	s_or_b32 exec_lo, exec_lo, s2
	s_delay_alu instid0(SALU_CYCLE_1)
	s_mov_b32 s2, exec_lo
	v_cmpx_gt_u32_e64 s14, v46
	s_cbranch_execnz .LBB71_137
.LBB71_6:
	s_or_b32 exec_lo, exec_lo, s2
	s_delay_alu instid0(SALU_CYCLE_1)
	s_mov_b32 s2, exec_lo
	v_cmpx_gt_u32_e64 s14, v45
	s_cbranch_execnz .LBB71_138
.LBB71_7:
	s_or_b32 exec_lo, exec_lo, s2
	s_delay_alu instid0(SALU_CYCLE_1)
	s_mov_b32 s2, exec_lo
	v_cmpx_gt_u32_e64 s14, v44
	s_cbranch_execnz .LBB71_139
.LBB71_8:
	s_or_b32 exec_lo, exec_lo, s2
	s_delay_alu instid0(SALU_CYCLE_1)
	s_mov_b32 s2, exec_lo
	v_cmpx_gt_u32_e64 s14, v43
	s_cbranch_execnz .LBB71_140
.LBB71_9:
	s_or_b32 exec_lo, exec_lo, s2
	s_delay_alu instid0(SALU_CYCLE_1)
	s_mov_b32 s2, exec_lo
	v_cmpx_gt_u32_e64 s14, v42
	s_cbranch_execnz .LBB71_141
.LBB71_10:
	s_or_b32 exec_lo, exec_lo, s2
	s_delay_alu instid0(SALU_CYCLE_1)
	s_mov_b32 s2, exec_lo
	v_cmpx_gt_u32_e64 s14, v41
	s_cbranch_execnz .LBB71_142
.LBB71_11:
	s_or_b32 exec_lo, exec_lo, s2
	s_delay_alu instid0(SALU_CYCLE_1)
	s_mov_b32 s2, exec_lo
	v_cmpx_gt_u32_e64 s14, v40
	s_cbranch_execnz .LBB71_143
.LBB71_12:
	s_or_b32 exec_lo, exec_lo, s2
	s_delay_alu instid0(SALU_CYCLE_1)
	s_mov_b32 s2, exec_lo
	v_cmpx_gt_u32_e64 s14, v39
	s_cbranch_execnz .LBB71_144
.LBB71_13:
	s_or_b32 exec_lo, exec_lo, s2
	s_delay_alu instid0(SALU_CYCLE_1)
	s_mov_b32 s2, exec_lo
	v_cmpx_gt_u32_e64 s14, v38
	s_cbranch_execnz .LBB71_145
.LBB71_14:
	s_or_b32 exec_lo, exec_lo, s2
	s_delay_alu instid0(SALU_CYCLE_1)
	s_mov_b32 s2, exec_lo
	v_cmpx_gt_u32_e64 s14, v37
	s_cbranch_execnz .LBB71_146
.LBB71_15:
	s_or_b32 exec_lo, exec_lo, s2
	s_delay_alu instid0(SALU_CYCLE_1)
	s_mov_b32 s2, exec_lo
	v_cmpx_gt_u32_e64 s14, v36
	s_cbranch_execnz .LBB71_147
.LBB71_16:
	s_or_b32 exec_lo, exec_lo, s2
	s_delay_alu instid0(SALU_CYCLE_1)
	s_mov_b32 s2, exec_lo
	v_cmpx_gt_u32_e64 s14, v35
	s_cbranch_execnz .LBB71_148
.LBB71_17:
	s_or_b32 exec_lo, exec_lo, s2
	s_delay_alu instid0(SALU_CYCLE_1)
	s_mov_b32 s2, exec_lo
	v_cmpx_gt_u32_e64 s14, v34
	s_cbranch_execnz .LBB71_149
.LBB71_18:
	s_or_b32 exec_lo, exec_lo, s2
	s_delay_alu instid0(SALU_CYCLE_1)
	s_mov_b32 s2, exec_lo
	v_cmpx_gt_u32_e64 s14, v33
	s_cbranch_execz .LBB71_20
.LBB71_19:
	global_load_b32 v16, v[17:18], off offset:3840
.LBB71_20:
	s_or_b32 exec_lo, exec_lo, s2
	v_lshrrev_b32_e32 v1, 3, v47
	v_lshrrev_b32_e32 v17, 3, v46
	v_and_b32_e32 v18, 4, v19
	v_lshrrev_b32_e32 v19, 3, v45
	v_lshrrev_b32_e32 v21, 3, v44
	;; [unrolled: 1-line block ×5, first 2 shown]
	v_and_b32_e32 v1, 12, v1
	v_and_b32_e32 v17, 28, v17
	;; [unrolled: 1-line block ×4, first 2 shown]
	v_add_nc_u32_e32 v18, v18, v48
	v_and_b32_e32 v22, 60, v22
	v_and_b32_e32 v23, 60, v23
	v_and_b32_e32 v24, 60, v24
	v_add_nc_u32_e32 v1, v1, v48
	v_add_nc_u32_e32 v17, v17, v48
	v_lshrrev_b32_e32 v25, 3, v40
	v_add_nc_u32_e32 v19, v19, v48
	v_lshrrev_b32_e32 v26, 3, v39
	;; [unrolled: 2-line block ×3, first 2 shown]
	v_add_nc_u32_e32 v22, v22, v48
	v_add_nc_u32_e32 v23, v23, v48
	;; [unrolled: 1-line block ×3, first 2 shown]
	s_waitcnt vmcnt(0)
	ds_store_b32 v18, v20
	ds_store_b32 v1, v2 offset:256
	ds_store_b32 v17, v3 offset:512
	;; [unrolled: 1-line block ×7, first 2 shown]
	v_lshrrev_b32_e32 v4, 3, v37
	v_lshrrev_b32_e32 v5, 3, v36
	v_and_b32_e32 v25, 0x7c, v25
	v_lshrrev_b32_e32 v6, 3, v35
	v_lshrrev_b32_e32 v7, 3, v34
	;; [unrolled: 1-line block ×3, first 2 shown]
	v_and_b32_e32 v26, 0x7c, v26
	v_and_b32_e32 v27, 0x7c, v27
	;; [unrolled: 1-line block ×4, first 2 shown]
	v_add_nc_u32_e32 v1, v25, v48
	v_and_b32_e32 v6, 0x7c, v6
	v_and_b32_e32 v7, 0x7c, v7
	;; [unrolled: 1-line block ×3, first 2 shown]
	v_add_nc_u32_e32 v2, v26, v48
	v_add_nc_u32_e32 v3, v27, v48
	;; [unrolled: 1-line block ×7, first 2 shown]
	ds_store_b32 v1, v9 offset:2048
	ds_store_b32 v2, v10 offset:2304
	;; [unrolled: 1-line block ×8, first 2 shown]
	s_waitcnt lgkmcnt(0)
	s_barrier
.LBB71_21:
	v_lshlrev_b32_e32 v1, 4, v0
	v_lshrrev_b32_e32 v50, 1, v0
	buffer_gl0_inv
	s_load_b64 s[4:5], s[0:1], 0x20
	v_mbcnt_lo_u32_b32 v51, -1, 0
	v_lshrrev_b32_e32 v49, 5, v0
	v_add_lshl_u32 v1, v50, v1, 2
	v_or_b32_e32 v52, 31, v0
	s_cmp_lg_u32 s15, 0
	ds_load_2addr_b32 v[29:30], v1 offset1:1
	ds_load_2addr_b32 v[31:32], v1 offset0:2 offset1:3
	ds_load_2addr_b32 v[27:28], v1 offset0:4 offset1:5
	;; [unrolled: 1-line block ×7, first 2 shown]
	s_waitcnt lgkmcnt(0)
	s_barrier
	buffer_gl0_inv
	s_cbranch_scc0 .LBB71_47
; %bb.22:
	v_add_f32_e32 v1, v29, v30
	s_mov_b32 s2, exec_lo
	s_delay_alu instid0(VALU_DEP_1) | instskip(NEXT) | instid1(VALU_DEP_1)
	v_add_f32_e32 v1, v31, v1
	v_add_f32_e32 v1, v32, v1
	s_delay_alu instid0(VALU_DEP_1) | instskip(NEXT) | instid1(VALU_DEP_1)
	v_add_f32_e32 v1, v27, v1
	v_add_f32_e32 v1, v28, v1
	;; [unrolled: 3-line block ×7, first 2 shown]
	s_delay_alu instid0(VALU_DEP_1) | instskip(NEXT) | instid1(VALU_DEP_1)
	v_mov_b32_dpp v2, v1 row_shr:1 row_mask:0xf bank_mask:0xf
	v_dual_add_f32 v2, v1, v2 :: v_dual_and_b32 v3, 15, v51
	s_delay_alu instid0(VALU_DEP_1) | instskip(NEXT) | instid1(VALU_DEP_2)
	v_cmp_eq_u32_e32 vcc_lo, 0, v3
	v_cndmask_b32_e32 v1, v2, v1, vcc_lo
	v_cmp_lt_u32_e32 vcc_lo, 1, v3
	s_delay_alu instid0(VALU_DEP_2) | instskip(NEXT) | instid1(VALU_DEP_1)
	v_mov_b32_dpp v2, v1 row_shr:2 row_mask:0xf bank_mask:0xf
	v_add_f32_e32 v2, v1, v2
	s_delay_alu instid0(VALU_DEP_1) | instskip(SKIP_1) | instid1(VALU_DEP_2)
	v_cndmask_b32_e32 v1, v1, v2, vcc_lo
	v_cmp_lt_u32_e32 vcc_lo, 3, v3
	v_mov_b32_dpp v2, v1 row_shr:4 row_mask:0xf bank_mask:0xf
	s_delay_alu instid0(VALU_DEP_1) | instskip(NEXT) | instid1(VALU_DEP_1)
	v_add_f32_e32 v2, v1, v2
	v_cndmask_b32_e32 v1, v1, v2, vcc_lo
	v_cmp_lt_u32_e32 vcc_lo, 7, v3
	v_and_b32_e32 v3, 16, v51
	s_delay_alu instid0(VALU_DEP_3) | instskip(NEXT) | instid1(VALU_DEP_1)
	v_mov_b32_dpp v2, v1 row_shr:8 row_mask:0xf bank_mask:0xf
	v_add_f32_e32 v2, v1, v2
	s_delay_alu instid0(VALU_DEP_1) | instskip(NEXT) | instid1(VALU_DEP_4)
	v_cndmask_b32_e32 v1, v1, v2, vcc_lo
	v_cmp_eq_u32_e32 vcc_lo, 0, v3
	ds_swizzle_b32 v2, v1 offset:swizzle(BROADCAST,32,15)
	s_waitcnt lgkmcnt(0)
	v_add_f32_e32 v2, v1, v2
	s_delay_alu instid0(VALU_DEP_1)
	v_cndmask_b32_e32 v1, v2, v1, vcc_lo
	v_cmpx_eq_u32_e64 v52, v0
	s_cbranch_execz .LBB71_24
; %bb.23:
	v_lshlrev_b32_e32 v2, 2, v49
	ds_store_b32 v2, v1
.LBB71_24:
	s_or_b32 exec_lo, exec_lo, s2
	s_delay_alu instid0(SALU_CYCLE_1)
	s_mov_b32 s2, exec_lo
	s_waitcnt lgkmcnt(0)
	s_barrier
	buffer_gl0_inv
	v_cmpx_gt_u32_e32 2, v0
	s_cbranch_execz .LBB71_26
; %bb.25:
	ds_load_b32 v2, v48
	v_and_b32_e32 v4, 1, v51
	s_delay_alu instid0(VALU_DEP_1) | instskip(SKIP_2) | instid1(VALU_DEP_1)
	v_cmp_eq_u32_e32 vcc_lo, 0, v4
	s_waitcnt lgkmcnt(0)
	v_mov_b32_dpp v3, v2 row_shr:1 row_mask:0xf bank_mask:0xf
	v_add_f32_e32 v3, v2, v3
	s_delay_alu instid0(VALU_DEP_1)
	v_cndmask_b32_e32 v2, v3, v2, vcc_lo
	ds_store_b32 v48, v2
.LBB71_26:
	s_or_b32 exec_lo, exec_lo, s2
	v_cmp_gt_u32_e32 vcc_lo, 32, v0
	s_mov_b32 s3, exec_lo
	s_waitcnt lgkmcnt(0)
	s_barrier
	buffer_gl0_inv
                                        ; implicit-def: $vgpr8
	v_cmpx_lt_u32_e32 31, v0
	s_cbranch_execz .LBB71_28
; %bb.27:
	v_lshl_add_u32 v2, v49, 2, -4
	ds_load_b32 v8, v2
	s_waitcnt lgkmcnt(0)
	v_add_f32_e32 v1, v1, v8
.LBB71_28:
	s_or_b32 exec_lo, exec_lo, s3
	v_add_nc_u32_e32 v2, -1, v51
	s_delay_alu instid0(VALU_DEP_1) | instskip(NEXT) | instid1(VALU_DEP_1)
	v_cmp_gt_i32_e64 s2, 0, v2
	v_cndmask_b32_e64 v2, v2, v51, s2
	v_cmp_eq_u32_e64 s2, 0, v51
	s_delay_alu instid0(VALU_DEP_2)
	v_lshlrev_b32_e32 v2, 2, v2
	ds_bpermute_b32 v9, v2, v1
	s_and_saveexec_b32 s8, vcc_lo
	s_cbranch_execz .LBB71_46
; %bb.29:
	v_mov_b32_e32 v4, 0
	ds_load_b32 v1, v4 offset:4
	s_and_saveexec_b32 s3, s2
	s_cbranch_execz .LBB71_31
; %bb.30:
	s_add_i32 s10, s15, 32
	s_mov_b32 s11, 0
	v_mov_b32_e32 v2, 1
	s_lshl_b64 s[10:11], s[10:11], 3
	s_delay_alu instid0(SALU_CYCLE_1)
	s_add_u32 s10, s4, s10
	s_addc_u32 s11, s5, s11
	s_waitcnt lgkmcnt(0)
	global_store_b64 v4, v[1:2], s[10:11]
.LBB71_31:
	s_or_b32 exec_lo, exec_lo, s3
	v_xad_u32 v2, v51, -1, s15
	s_mov_b32 s3, exec_lo
	s_delay_alu instid0(VALU_DEP_1) | instskip(NEXT) | instid1(VALU_DEP_1)
	v_add_nc_u32_e32 v3, 32, v2
	v_lshlrev_b64 v[3:4], 3, v[3:4]
	s_delay_alu instid0(VALU_DEP_1) | instskip(NEXT) | instid1(VALU_DEP_2)
	v_add_co_u32 v6, vcc_lo, s4, v3
	v_add_co_ci_u32_e32 v7, vcc_lo, s5, v4, vcc_lo
	global_load_b64 v[4:5], v[6:7], off glc
	s_waitcnt vmcnt(0)
	v_and_b32_e32 v3, 0xff, v5
	s_delay_alu instid0(VALU_DEP_1)
	v_cmpx_eq_u16_e32 0, v3
	s_cbranch_execz .LBB71_34
.LBB71_32:                              ; =>This Inner Loop Header: Depth=1
	global_load_b64 v[4:5], v[6:7], off glc
	s_waitcnt vmcnt(0)
	v_and_b32_e32 v3, 0xff, v5
	s_delay_alu instid0(VALU_DEP_1) | instskip(SKIP_1) | instid1(SALU_CYCLE_1)
	v_cmp_ne_u16_e32 vcc_lo, 0, v3
	s_or_b32 s9, vcc_lo, s9
	s_and_not1_b32 exec_lo, exec_lo, s9
	s_cbranch_execnz .LBB71_32
; %bb.33:
	s_or_b32 exec_lo, exec_lo, s9
.LBB71_34:
	s_delay_alu instid0(SALU_CYCLE_1)
	s_or_b32 exec_lo, exec_lo, s3
	v_cmp_ne_u32_e32 vcc_lo, 31, v51
	v_and_b32_e32 v6, 0xff, v5
	v_lshlrev_b32_e64 v11, v51, -1
	v_add_nc_u32_e32 v12, 1, v51
	v_cmp_gt_u32_e64 s3, 30, v51
	v_add_co_ci_u32_e32 v3, vcc_lo, 0, v51, vcc_lo
	v_cmp_eq_u16_e32 vcc_lo, 2, v6
	v_add_nc_u32_e32 v14, 2, v51
	s_delay_alu instid0(VALU_DEP_4) | instskip(SKIP_4) | instid1(VALU_DEP_2)
	v_cndmask_b32_e64 v6, 0, 1, s3
	v_add_nc_u32_e32 v16, 4, v51
	v_add_nc_u32_e32 v55, 8, v51
	v_and_or_b32 v7, vcc_lo, v11, 0x80000000
	v_add_nc_u32_e32 v57, 16, v51
	v_ctz_i32_b32_e32 v7, v7
	s_delay_alu instid0(VALU_DEP_1) | instskip(SKIP_4) | instid1(VALU_DEP_1)
	v_cmp_gt_u32_e32 vcc_lo, v12, v7
	v_lshlrev_b32_e32 v10, 2, v3
	ds_bpermute_b32 v3, v10, v4
	s_waitcnt lgkmcnt(0)
	v_add_f32_e32 v3, v4, v3
	v_dual_cndmask_b32 v3, v3, v4 :: v_dual_lshlrev_b32 v6, 1, v6
	v_cmp_gt_u32_e32 vcc_lo, 28, v51
	s_delay_alu instid0(VALU_DEP_2)
	v_add_lshl_u32 v13, v6, v51, 2
	v_cndmask_b32_e64 v6, 0, 1, vcc_lo
	v_cmp_gt_u32_e32 vcc_lo, v14, v7
	ds_bpermute_b32 v4, v13, v3
	s_waitcnt lgkmcnt(0)
	v_add_f32_e32 v4, v3, v4
	s_delay_alu instid0(VALU_DEP_1) | instskip(SKIP_1) | instid1(VALU_DEP_2)
	v_dual_cndmask_b32 v3, v4, v3 :: v_dual_lshlrev_b32 v6, 2, v6
	v_cmp_gt_u32_e32 vcc_lo, 24, v51
	v_add_lshl_u32 v15, v6, v51, 2
	v_cndmask_b32_e64 v6, 0, 1, vcc_lo
	v_cmp_gt_u32_e32 vcc_lo, v16, v7
	ds_bpermute_b32 v4, v15, v3
	s_waitcnt lgkmcnt(0)
	v_add_f32_e32 v4, v3, v4
	s_delay_alu instid0(VALU_DEP_1) | instskip(SKIP_1) | instid1(VALU_DEP_2)
	v_dual_cndmask_b32 v3, v4, v3 :: v_dual_lshlrev_b32 v6, 3, v6
	v_cmp_gt_u32_e32 vcc_lo, 16, v51
	v_add_lshl_u32 v53, v6, v51, 2
	v_cndmask_b32_e64 v6, 0, 1, vcc_lo
	v_cmp_gt_u32_e32 vcc_lo, v55, v7
	ds_bpermute_b32 v4, v53, v3
	v_lshlrev_b32_e32 v6, 4, v6
	s_delay_alu instid0(VALU_DEP_1) | instskip(SKIP_2) | instid1(VALU_DEP_1)
	v_add_lshl_u32 v56, v6, v51, 2
	s_waitcnt lgkmcnt(0)
	v_add_f32_e32 v4, v3, v4
	v_cndmask_b32_e32 v3, v4, v3, vcc_lo
	v_cmp_gt_u32_e32 vcc_lo, v57, v7
	ds_bpermute_b32 v4, v56, v3
	s_waitcnt lgkmcnt(0)
	v_add_f32_e32 v4, v3, v4
	s_delay_alu instid0(VALU_DEP_1)
	v_dual_cndmask_b32 v4, v4, v3 :: v_dual_mov_b32 v3, 0
	s_branch .LBB71_36
.LBB71_35:                              ;   in Loop: Header=BB71_36 Depth=1
	s_or_b32 exec_lo, exec_lo, s3
	ds_bpermute_b32 v6, v10, v4
	v_and_b32_e32 v7, 0xff, v5
	v_subrev_nc_u32_e32 v2, 32, v2
	s_waitcnt lgkmcnt(0)
	v_add_f32_e32 v6, v4, v6
	s_delay_alu instid0(VALU_DEP_3) | instskip(SKIP_1) | instid1(VALU_DEP_1)
	v_cmp_eq_u16_e32 vcc_lo, 2, v7
	v_and_or_b32 v7, vcc_lo, v11, 0x80000000
	v_ctz_i32_b32_e32 v7, v7
	s_delay_alu instid0(VALU_DEP_1)
	v_cmp_gt_u32_e32 vcc_lo, v12, v7
	v_cndmask_b32_e32 v4, v6, v4, vcc_lo
	v_cmp_gt_u32_e32 vcc_lo, v14, v7
	ds_bpermute_b32 v6, v13, v4
	s_waitcnt lgkmcnt(0)
	v_add_f32_e32 v6, v4, v6
	s_delay_alu instid0(VALU_DEP_1) | instskip(SKIP_4) | instid1(VALU_DEP_1)
	v_cndmask_b32_e32 v4, v6, v4, vcc_lo
	v_cmp_gt_u32_e32 vcc_lo, v16, v7
	ds_bpermute_b32 v6, v15, v4
	s_waitcnt lgkmcnt(0)
	v_add_f32_e32 v6, v4, v6
	v_cndmask_b32_e32 v4, v6, v4, vcc_lo
	v_cmp_gt_u32_e32 vcc_lo, v55, v7
	ds_bpermute_b32 v6, v53, v4
	s_waitcnt lgkmcnt(0)
	v_add_f32_e32 v6, v4, v6
	s_delay_alu instid0(VALU_DEP_1) | instskip(SKIP_4) | instid1(VALU_DEP_1)
	v_cndmask_b32_e32 v4, v6, v4, vcc_lo
	v_cmp_gt_u32_e32 vcc_lo, v57, v7
	ds_bpermute_b32 v6, v56, v4
	s_waitcnt lgkmcnt(0)
	v_add_f32_e32 v6, v4, v6
	v_cndmask_b32_e32 v4, v6, v4, vcc_lo
	s_delay_alu instid0(VALU_DEP_1)
	v_add_f32_e32 v4, v54, v4
.LBB71_36:                              ; =>This Loop Header: Depth=1
                                        ;     Child Loop BB71_39 Depth 2
	s_delay_alu instid0(VALU_DEP_1) | instskip(NEXT) | instid1(VALU_DEP_1)
	v_dual_mov_b32 v54, v4 :: v_dual_and_b32 v5, 0xff, v5
	v_cmp_ne_u16_e32 vcc_lo, 2, v5
	v_cndmask_b32_e64 v5, 0, 1, vcc_lo
	;;#ASMSTART
	;;#ASMEND
	s_delay_alu instid0(VALU_DEP_1)
	v_cmp_ne_u32_e32 vcc_lo, 0, v5
	s_cmp_lg_u32 vcc_lo, exec_lo
	s_cbranch_scc1 .LBB71_41
; %bb.37:                               ;   in Loop: Header=BB71_36 Depth=1
	v_lshlrev_b64 v[4:5], 3, v[2:3]
	s_mov_b32 s3, exec_lo
	s_delay_alu instid0(VALU_DEP_1) | instskip(NEXT) | instid1(VALU_DEP_2)
	v_add_co_u32 v6, vcc_lo, s4, v4
	v_add_co_ci_u32_e32 v7, vcc_lo, s5, v5, vcc_lo
	global_load_b64 v[4:5], v[6:7], off glc
	s_waitcnt vmcnt(0)
	v_and_b32_e32 v58, 0xff, v5
	s_delay_alu instid0(VALU_DEP_1)
	v_cmpx_eq_u16_e32 0, v58
	s_cbranch_execz .LBB71_35
; %bb.38:                               ;   in Loop: Header=BB71_36 Depth=1
	s_mov_b32 s9, 0
.LBB71_39:                              ;   Parent Loop BB71_36 Depth=1
                                        ; =>  This Inner Loop Header: Depth=2
	global_load_b64 v[4:5], v[6:7], off glc
	s_waitcnt vmcnt(0)
	v_and_b32_e32 v58, 0xff, v5
	s_delay_alu instid0(VALU_DEP_1) | instskip(SKIP_1) | instid1(SALU_CYCLE_1)
	v_cmp_ne_u16_e32 vcc_lo, 0, v58
	s_or_b32 s9, vcc_lo, s9
	s_and_not1_b32 exec_lo, exec_lo, s9
	s_cbranch_execnz .LBB71_39
; %bb.40:                               ;   in Loop: Header=BB71_36 Depth=1
	s_or_b32 exec_lo, exec_lo, s9
	s_branch .LBB71_35
.LBB71_41:                              ;   in Loop: Header=BB71_36 Depth=1
                                        ; implicit-def: $vgpr4
                                        ; implicit-def: $vgpr5
	s_cbranch_execz .LBB71_36
; %bb.42:
	s_and_saveexec_b32 s3, s2
	s_cbranch_execz .LBB71_44
; %bb.43:
	s_add_i32 s10, s15, 32
	s_mov_b32 s11, 0
	v_dual_mov_b32 v3, 0 :: v_dual_mov_b32 v2, 2
	s_lshl_b64 s[10:11], s[10:11], 3
	v_add_f32_e32 v1, v1, v54
	s_add_u32 s10, s4, s10
	s_addc_u32 s11, s5, s11
	global_store_b64 v3, v[1:2], s[10:11]
.LBB71_44:
	s_or_b32 exec_lo, exec_lo, s3
	v_cmp_eq_u32_e32 vcc_lo, 0, v0
	s_and_b32 exec_lo, exec_lo, vcc_lo
	s_cbranch_execz .LBB71_46
; %bb.45:
	v_mov_b32_e32 v1, 0
	ds_store_b32 v1, v54 offset:4
.LBB71_46:
	s_or_b32 exec_lo, exec_lo, s8
	s_waitcnt lgkmcnt(0)
	v_cndmask_b32_e64 v2, v9, v8, s2
	v_mov_b32_e32 v1, 0
	s_waitcnt_vscnt null, 0x0
	s_barrier
	buffer_gl0_inv
	v_add_f32_e32 v2, v29, v2
	ds_load_b32 v1, v1 offset:4
	v_cmp_eq_u32_e32 vcc_lo, 0, v0
	v_cndmask_b32_e32 v2, v2, v29, vcc_lo
	s_waitcnt lgkmcnt(0)
	s_delay_alu instid0(VALU_DEP_1) | instskip(NEXT) | instid1(VALU_DEP_1)
	v_add_f32_e32 v1, v2, v1
	v_add_f32_e32 v2, v30, v1
	s_delay_alu instid0(VALU_DEP_1) | instskip(NEXT) | instid1(VALU_DEP_1)
	v_add_f32_e32 v3, v31, v2
	v_add_f32_e32 v4, v32, v3
	;; [unrolled: 3-line block ×8, first 2 shown]
	s_load_b128 s[8:11], s[0:1], 0x30
	s_branch .LBB71_59
.LBB71_47:
                                        ; implicit-def: $vgpr1_vgpr2_vgpr3_vgpr4_vgpr5_vgpr6_vgpr7_vgpr8_vgpr9_vgpr10_vgpr11_vgpr12_vgpr13_vgpr14_vgpr15_vgpr16
	s_load_b128 s[8:11], s[0:1], 0x30
	s_cbranch_execz .LBB71_59
; %bb.48:
	s_load_b32 s2, s[0:1], 0x40
	v_cmp_eq_u32_e32 vcc_lo, 0, v0
	s_waitcnt lgkmcnt(0)
	s_bitcmp1_b32 s2, 0
	s_cselect_b32 s2, -1, 0
	s_delay_alu instid0(SALU_CYCLE_1) | instskip(NEXT) | instid1(SALU_CYCLE_1)
	s_and_b32 s3, vcc_lo, s2
	s_and_saveexec_b32 s2, s3
	s_cbranch_execz .LBB71_50
; %bb.49:
	s_load_b32 s3, s[8:9], 0x0
	s_waitcnt lgkmcnt(0)
	v_add_f32_e32 v29, s3, v29
.LBB71_50:
	s_or_b32 exec_lo, exec_lo, s2
	s_delay_alu instid0(VALU_DEP_1) | instskip(SKIP_1) | instid1(VALU_DEP_1)
	v_add_f32_e32 v1, v29, v30
	s_mov_b32 s3, exec_lo
	v_add_f32_e32 v1, v31, v1
	s_delay_alu instid0(VALU_DEP_1) | instskip(NEXT) | instid1(VALU_DEP_1)
	v_add_f32_e32 v1, v32, v1
	v_add_f32_e32 v1, v27, v1
	s_delay_alu instid0(VALU_DEP_1) | instskip(NEXT) | instid1(VALU_DEP_1)
	v_add_f32_e32 v1, v28, v1
	;; [unrolled: 3-line block ×7, first 2 shown]
	v_mov_b32_dpp v2, v1 row_shr:1 row_mask:0xf bank_mask:0xf
	s_delay_alu instid0(VALU_DEP_1) | instskip(NEXT) | instid1(VALU_DEP_1)
	v_dual_add_f32 v2, v1, v2 :: v_dual_and_b32 v3, 15, v51
	v_cmp_eq_u32_e64 s2, 0, v3
	s_delay_alu instid0(VALU_DEP_1) | instskip(SKIP_1) | instid1(VALU_DEP_2)
	v_cndmask_b32_e64 v1, v2, v1, s2
	v_cmp_lt_u32_e64 s2, 1, v3
	v_mov_b32_dpp v2, v1 row_shr:2 row_mask:0xf bank_mask:0xf
	s_delay_alu instid0(VALU_DEP_1) | instskip(NEXT) | instid1(VALU_DEP_1)
	v_add_f32_e32 v2, v1, v2
	v_cndmask_b32_e64 v1, v1, v2, s2
	v_cmp_lt_u32_e64 s2, 3, v3
	s_delay_alu instid0(VALU_DEP_2) | instskip(NEXT) | instid1(VALU_DEP_1)
	v_mov_b32_dpp v2, v1 row_shr:4 row_mask:0xf bank_mask:0xf
	v_add_f32_e32 v2, v1, v2
	s_delay_alu instid0(VALU_DEP_1) | instskip(SKIP_2) | instid1(VALU_DEP_3)
	v_cndmask_b32_e64 v1, v1, v2, s2
	v_cmp_lt_u32_e64 s2, 7, v3
	v_and_b32_e32 v3, 16, v51
	v_mov_b32_dpp v2, v1 row_shr:8 row_mask:0xf bank_mask:0xf
	s_delay_alu instid0(VALU_DEP_1) | instskip(NEXT) | instid1(VALU_DEP_1)
	v_add_f32_e32 v2, v1, v2
	v_cndmask_b32_e64 v1, v1, v2, s2
	s_delay_alu instid0(VALU_DEP_4) | instskip(SKIP_3) | instid1(VALU_DEP_1)
	v_cmp_eq_u32_e64 s2, 0, v3
	ds_swizzle_b32 v2, v1 offset:swizzle(BROADCAST,32,15)
	s_waitcnt lgkmcnt(0)
	v_add_f32_e32 v2, v1, v2
	v_cndmask_b32_e64 v1, v2, v1, s2
	v_cmpx_eq_u32_e64 v52, v0
	s_cbranch_execz .LBB71_52
; %bb.51:
	v_lshlrev_b32_e32 v2, 2, v49
	ds_store_b32 v2, v1
.LBB71_52:
	s_or_b32 exec_lo, exec_lo, s3
	s_delay_alu instid0(SALU_CYCLE_1)
	s_mov_b32 s3, exec_lo
	s_waitcnt lgkmcnt(0)
	s_barrier
	buffer_gl0_inv
	v_cmpx_gt_u32_e32 2, v0
	s_cbranch_execz .LBB71_54
; %bb.53:
	ds_load_b32 v2, v48
	v_and_b32_e32 v4, 1, v51
	s_delay_alu instid0(VALU_DEP_1) | instskip(SKIP_2) | instid1(VALU_DEP_1)
	v_cmp_eq_u32_e64 s2, 0, v4
	s_waitcnt lgkmcnt(0)
	v_mov_b32_dpp v3, v2 row_shr:1 row_mask:0xf bank_mask:0xf
	v_add_f32_e32 v3, v2, v3
	s_delay_alu instid0(VALU_DEP_1)
	v_cndmask_b32_e64 v2, v3, v2, s2
	ds_store_b32 v48, v2
.LBB71_54:
	s_or_b32 exec_lo, exec_lo, s3
	s_delay_alu instid0(SALU_CYCLE_1)
	s_mov_b32 s3, exec_lo
	s_waitcnt lgkmcnt(0)
	s_barrier
	buffer_gl0_inv
                                        ; implicit-def: $vgpr2
	v_cmpx_lt_u32_e32 31, v0
	s_cbranch_execz .LBB71_56
; %bb.55:
	v_lshl_add_u32 v2, v49, 2, -4
	ds_load_b32 v2, v2
	s_waitcnt lgkmcnt(0)
	v_add_f32_e32 v1, v1, v2
.LBB71_56:
	s_or_b32 exec_lo, exec_lo, s3
	v_add_nc_u32_e32 v3, -1, v51
	s_delay_alu instid0(VALU_DEP_1) | instskip(NEXT) | instid1(VALU_DEP_1)
	v_cmp_gt_i32_e64 s2, 0, v3
	v_cndmask_b32_e64 v3, v3, v51, s2
	v_cmp_eq_u32_e64 s2, 0, v51
	s_delay_alu instid0(VALU_DEP_2) | instskip(SKIP_3) | instid1(VALU_DEP_1)
	v_lshlrev_b32_e32 v3, 2, v3
	ds_bpermute_b32 v1, v3, v1
	s_waitcnt lgkmcnt(0)
	v_cndmask_b32_e64 v1, v1, v2, s2
	v_add_f32_e32 v1, v29, v1
	s_delay_alu instid0(VALU_DEP_1) | instskip(NEXT) | instid1(VALU_DEP_1)
	v_cndmask_b32_e32 v1, v1, v29, vcc_lo
	v_add_f32_e32 v2, v30, v1
	s_delay_alu instid0(VALU_DEP_1) | instskip(NEXT) | instid1(VALU_DEP_1)
	v_add_f32_e32 v3, v31, v2
	v_add_f32_e32 v4, v32, v3
	s_delay_alu instid0(VALU_DEP_1) | instskip(NEXT) | instid1(VALU_DEP_1)
	v_add_f32_e32 v5, v27, v4
	v_add_f32_e32 v6, v28, v5
	s_delay_alu instid0(VALU_DEP_1) | instskip(NEXT) | instid1(VALU_DEP_1)
	v_add_f32_e32 v7, v25, v6
	v_add_f32_e32 v8, v26, v7
	s_delay_alu instid0(VALU_DEP_1) | instskip(NEXT) | instid1(VALU_DEP_1)
	v_add_f32_e32 v9, v23, v8
	v_add_f32_e32 v10, v24, v9
	s_delay_alu instid0(VALU_DEP_1) | instskip(NEXT) | instid1(VALU_DEP_1)
	v_add_f32_e32 v11, v21, v10
	v_add_f32_e32 v12, v22, v11
	s_delay_alu instid0(VALU_DEP_1) | instskip(NEXT) | instid1(VALU_DEP_1)
	v_add_f32_e32 v13, v19, v12
	v_add_f32_e32 v14, v20, v13
	s_delay_alu instid0(VALU_DEP_1) | instskip(NEXT) | instid1(VALU_DEP_1)
	v_add_f32_e32 v15, v17, v14
	v_add_f32_e32 v16, v18, v15
	s_and_saveexec_b32 s2, vcc_lo
	s_cbranch_execz .LBB71_58
; %bb.57:
	v_dual_mov_b32 v19, 0 :: v_dual_mov_b32 v18, 2
	ds_load_b32 v17, v19 offset:4
	s_waitcnt lgkmcnt(0)
	global_store_b64 v19, v[17:18], s[4:5] offset:256
.LBB71_58:
	s_or_b32 exec_lo, exec_lo, s2
.LBB71_59:
	v_lshlrev_b32_e32 v17, 6, v0
	s_add_u32 s2, s6, s12
	s_addc_u32 s3, s7, s13
	s_and_b32 vcc_lo, exec_lo, s34
	s_mov_b32 s4, -1
	s_waitcnt lgkmcnt(0)
	s_waitcnt_vscnt null, 0x0
	s_barrier
	buffer_gl0_inv
	s_cbranch_vccz .LBB71_61
; %bb.60:
	v_lshl_add_u32 v18, v50, 2, v17
	v_lshrrev_b32_e32 v26, 5, v40
	v_lshrrev_b32_e32 v27, 5, v39
	;; [unrolled: 1-line block ×4, first 2 shown]
	ds_store_2addr_b32 v18, v1, v2 offset1:1
	ds_store_2addr_b32 v18, v3, v4 offset0:2 offset1:3
	ds_store_2addr_b32 v18, v5, v6 offset0:4 offset1:5
	ds_store_2addr_b32 v18, v7, v8 offset0:6 offset1:7
	ds_store_2addr_b32 v18, v9, v10 offset0:8 offset1:9
	ds_store_2addr_b32 v18, v11, v12 offset0:10 offset1:11
	ds_store_2addr_b32 v18, v13, v14 offset0:12 offset1:13
	ds_store_2addr_b32 v18, v15, v16 offset0:14 offset1:15
	v_lshrrev_b32_e32 v18, 5, v47
	v_lshrrev_b32_e32 v21, 5, v45
	;; [unrolled: 1-line block ×11, first 2 shown]
	v_add_lshl_u32 v20, v49, v0, 2
	v_add_lshl_u32 v26, v26, v0, 2
	;; [unrolled: 1-line block ×16, first 2 shown]
	s_waitcnt lgkmcnt(0)
	s_barrier
	buffer_gl0_inv
	ds_load_b32 v20, v20
	ds_load_b32 v18, v18 offset:256
	ds_load_b32 v19, v19 offset:512
	;; [unrolled: 1-line block ×15, first 2 shown]
	s_waitcnt lgkmcnt(15)
	global_store_b32 v48, v20, s[2:3]
	s_waitcnt lgkmcnt(14)
	global_store_b32 v48, v18, s[2:3] offset:256
	s_waitcnt lgkmcnt(13)
	global_store_b32 v48, v19, s[2:3] offset:512
	;; [unrolled: 2-line block ×7, first 2 shown]
	s_mov_b32 s4, 0
	s_waitcnt lgkmcnt(7)
	global_store_b32 v48, v26, s[2:3] offset:2048
	s_waitcnt lgkmcnt(6)
	global_store_b32 v48, v27, s[2:3] offset:2304
	;; [unrolled: 2-line block ×8, first 2 shown]
.LBB71_61:
	s_and_not1_b32 vcc_lo, exec_lo, s4
	s_cbranch_vccnz .LBB71_134
; %bb.62:
	v_lshl_add_u32 v17, v50, 2, v17
	ds_store_2addr_b32 v17, v1, v2 offset1:1
	ds_store_2addr_b32 v17, v3, v4 offset0:2 offset1:3
	ds_store_2addr_b32 v17, v5, v6 offset0:4 offset1:5
	;; [unrolled: 1-line block ×7, first 2 shown]
	v_lshrrev_b32_e32 v1, 5, v47
	v_lshrrev_b32_e32 v2, 5, v46
	;; [unrolled: 1-line block ×6, first 2 shown]
	v_add_lshl_u32 v3, v49, v0, 2
	v_lshrrev_b32_e32 v8, 5, v41
	v_add_lshl_u32 v1, v1, v0, 2
	v_lshrrev_b32_e32 v14, 5, v40
	;; [unrolled: 2-line block ×3, first 2 shown]
	v_lshrrev_b32_e32 v16, 5, v38
	v_add_lshl_u32 v9, v4, v0, 2
	v_add_lshl_u32 v10, v5, v0, 2
	;; [unrolled: 1-line block ×4, first 2 shown]
	s_waitcnt lgkmcnt(0)
	s_waitcnt_vscnt null, 0x0
	s_barrier
	buffer_gl0_inv
	v_add_lshl_u32 v13, v8, v0, 2
	ds_load_b32 v5, v3
	ds_load_b32 v4, v1 offset:256
	ds_load_b32 v6, v2 offset:512
	;; [unrolled: 1-line block ×7, first 2 shown]
	v_lshrrev_b32_e32 v12, 5, v37
	v_add_lshl_u32 v1, v14, v0, 2
	v_lshrrev_b32_e32 v13, 5, v36
	v_lshrrev_b32_e32 v14, 5, v35
	v_add_lshl_u32 v2, v15, v0, 2
	v_add_lshl_u32 v3, v16, v0, 2
	v_lshrrev_b32_e32 v15, 5, v34
	v_lshrrev_b32_e32 v16, 5, v33
	v_add_lshl_u32 v17, v12, v0, 2
	v_add_lshl_u32 v18, v13, v0, 2
	v_add_lshl_u32 v19, v14, v0, 2
	v_add_lshl_u32 v20, v15, v0, 2
	v_add_lshl_u32 v21, v16, v0, 2
	ds_load_b32 v12, v1 offset:2048
	ds_load_b32 v13, v2 offset:2304
	;; [unrolled: 1-line block ×8, first 2 shown]
	v_add_co_u32 v2, s2, s2, v48
	v_mov_b32_e32 v1, 0
	v_add_co_ci_u32_e64 v3, null, s3, 0, s2
	s_mov_b32 s2, exec_lo
	v_cmpx_gt_u32_e64 s14, v0
	s_cbranch_execnz .LBB71_150
; %bb.63:
	s_or_b32 exec_lo, exec_lo, s2
	s_delay_alu instid0(SALU_CYCLE_1)
	s_mov_b32 s2, exec_lo
	v_cmpx_gt_u32_e64 s14, v47
	s_cbranch_execnz .LBB71_151
.LBB71_64:
	s_or_b32 exec_lo, exec_lo, s2
	s_delay_alu instid0(SALU_CYCLE_1)
	s_mov_b32 s2, exec_lo
	v_cmpx_gt_u32_e64 s14, v46
	s_cbranch_execnz .LBB71_152
.LBB71_65:
	s_or_b32 exec_lo, exec_lo, s2
	s_delay_alu instid0(SALU_CYCLE_1)
	s_mov_b32 s2, exec_lo
	v_cmpx_gt_u32_e64 s14, v45
	s_cbranch_execnz .LBB71_153
.LBB71_66:
	s_or_b32 exec_lo, exec_lo, s2
	s_delay_alu instid0(SALU_CYCLE_1)
	s_mov_b32 s2, exec_lo
	v_cmpx_gt_u32_e64 s14, v44
	s_cbranch_execnz .LBB71_154
.LBB71_67:
	s_or_b32 exec_lo, exec_lo, s2
	s_delay_alu instid0(SALU_CYCLE_1)
	s_mov_b32 s2, exec_lo
	v_cmpx_gt_u32_e64 s14, v43
	s_cbranch_execnz .LBB71_155
.LBB71_68:
	s_or_b32 exec_lo, exec_lo, s2
	s_delay_alu instid0(SALU_CYCLE_1)
	s_mov_b32 s2, exec_lo
	v_cmpx_gt_u32_e64 s14, v42
	s_cbranch_execnz .LBB71_156
.LBB71_69:
	s_or_b32 exec_lo, exec_lo, s2
	s_delay_alu instid0(SALU_CYCLE_1)
	s_mov_b32 s2, exec_lo
	v_cmpx_gt_u32_e64 s14, v41
	s_cbranch_execnz .LBB71_157
.LBB71_70:
	s_or_b32 exec_lo, exec_lo, s2
	s_delay_alu instid0(SALU_CYCLE_1)
	s_mov_b32 s2, exec_lo
	v_cmpx_gt_u32_e64 s14, v40
	s_cbranch_execnz .LBB71_158
.LBB71_71:
	s_or_b32 exec_lo, exec_lo, s2
	s_delay_alu instid0(SALU_CYCLE_1)
	s_mov_b32 s2, exec_lo
	v_cmpx_gt_u32_e64 s14, v39
	s_cbranch_execnz .LBB71_159
.LBB71_72:
	s_or_b32 exec_lo, exec_lo, s2
	s_delay_alu instid0(SALU_CYCLE_1)
	s_mov_b32 s2, exec_lo
	v_cmpx_gt_u32_e64 s14, v38
	s_cbranch_execnz .LBB71_160
.LBB71_73:
	s_or_b32 exec_lo, exec_lo, s2
	s_delay_alu instid0(SALU_CYCLE_1)
	s_mov_b32 s2, exec_lo
	v_cmpx_gt_u32_e64 s14, v37
	s_cbranch_execnz .LBB71_161
.LBB71_74:
	s_or_b32 exec_lo, exec_lo, s2
	s_delay_alu instid0(SALU_CYCLE_1)
	s_mov_b32 s2, exec_lo
	v_cmpx_gt_u32_e64 s14, v36
	s_cbranch_execnz .LBB71_162
.LBB71_75:
	s_or_b32 exec_lo, exec_lo, s2
	s_delay_alu instid0(SALU_CYCLE_1)
	s_mov_b32 s2, exec_lo
	v_cmpx_gt_u32_e64 s14, v35
	s_cbranch_execnz .LBB71_163
.LBB71_76:
	s_or_b32 exec_lo, exec_lo, s2
	s_delay_alu instid0(SALU_CYCLE_1)
	s_mov_b32 s2, exec_lo
	v_cmpx_gt_u32_e64 s14, v34
	s_cbranch_execnz .LBB71_164
.LBB71_77:
	s_or_b32 exec_lo, exec_lo, s2
	s_delay_alu instid0(SALU_CYCLE_1)
	s_mov_b32 s2, exec_lo
	v_cmpx_gt_u32_e64 s14, v33
	s_cbranch_execz .LBB71_79
.LBB71_78:
	s_waitcnt lgkmcnt(0)
	global_store_b32 v[2:3], v19, off offset:3840
.LBB71_79:
	s_or_b32 exec_lo, exec_lo, s2
	s_load_b32 s0, s[0:1], 0x40
	s_waitcnt lgkmcnt(0)
	s_bfe_u32 s0, s0, 0x10008
	s_delay_alu instid0(SALU_CYCLE_1)
	s_cmp_eq_u32 s0, 0
	s_cbranch_scc1 .LBB71_134
; %bb.80:
	s_add_u32 s0, s14, -1
	s_addc_u32 s1, s33, -1
	s_delay_alu instid0(SALU_CYCLE_1)
	s_lshr_b64 s[2:3], s[0:1], 4
	s_mov_b32 s1, exec_lo
	v_cmpx_eq_u64_e64 s[2:3], v[0:1]
	s_cbranch_execz .LBB71_134
; %bb.81:
	s_and_b32 s0, s0, 15
	s_mov_b32 s1, 0
	s_delay_alu instid0(SALU_CYCLE_1) | instskip(NEXT) | instid1(VALU_DEP_1)
	v_cmp_lt_i64_e64 s2, s[0:1], 8
	s_and_b32 vcc_lo, exec_lo, s2
	s_mov_b32 s2, -1
	s_cbranch_vccnz .LBB71_108
; %bb.82:
	v_cmp_lt_i64_e64 s2, s[0:1], 12
	s_delay_alu instid0(VALU_DEP_1)
	s_and_b32 vcc_lo, exec_lo, s2
	s_mov_b32 s2, -1
	s_cbranch_vccnz .LBB71_95
; %bb.83:
	v_cmp_lt_i64_e64 s2, s[0:1], 14
	s_delay_alu instid0(VALU_DEP_1)
	s_and_b32 vcc_lo, exec_lo, s2
	s_mov_b32 s2, -1
	s_cbranch_vccnz .LBB71_89
; %bb.84:
	v_cmp_gt_i64_e64 s2, s[0:1], 14
	s_delay_alu instid0(VALU_DEP_1)
	s_and_b32 vcc_lo, exec_lo, s2
	s_mov_b32 s2, -1
	s_cbranch_vccz .LBB71_86
; %bb.85:
	v_mov_b32_e32 v0, 0
	s_mov_b32 s2, 0
	global_store_b32 v0, v19, s[10:11]
.LBB71_86:
	s_and_not1_b32 vcc_lo, exec_lo, s2
	s_cbranch_vccnz .LBB71_88
; %bb.87:
	v_mov_b32_e32 v0, 0
	global_store_b32 v0, v18, s[10:11]
.LBB71_88:
	s_mov_b32 s2, 0
.LBB71_89:
	s_delay_alu instid0(SALU_CYCLE_1)
	s_and_not1_b32 vcc_lo, exec_lo, s2
	s_cbranch_vccnz .LBB71_94
; %bb.90:
	v_cmp_gt_i64_e64 s2, s[0:1], 12
	s_delay_alu instid0(VALU_DEP_1)
	s_and_b32 vcc_lo, exec_lo, s2
	s_mov_b32 s2, -1
	s_cbranch_vccz .LBB71_92
; %bb.91:
	v_mov_b32_e32 v0, 0
	s_mov_b32 s2, 0
	global_store_b32 v0, v17, s[10:11]
.LBB71_92:
	s_and_not1_b32 vcc_lo, exec_lo, s2
	s_cbranch_vccnz .LBB71_94
; %bb.93:
	v_mov_b32_e32 v0, 0
	global_store_b32 v0, v16, s[10:11]
.LBB71_94:
	s_mov_b32 s2, 0
.LBB71_95:
	s_delay_alu instid0(SALU_CYCLE_1)
	s_and_not1_b32 vcc_lo, exec_lo, s2
	s_cbranch_vccnz .LBB71_107
; %bb.96:
	v_cmp_lt_i64_e64 s2, s[0:1], 10
	s_delay_alu instid0(VALU_DEP_1)
	s_and_b32 vcc_lo, exec_lo, s2
	s_mov_b32 s2, -1
	s_cbranch_vccnz .LBB71_102
; %bb.97:
	v_cmp_gt_i64_e64 s2, s[0:1], 10
	s_delay_alu instid0(VALU_DEP_1)
	s_and_b32 vcc_lo, exec_lo, s2
	s_mov_b32 s2, -1
	s_cbranch_vccz .LBB71_99
; %bb.98:
	v_mov_b32_e32 v0, 0
	s_mov_b32 s2, 0
	global_store_b32 v0, v15, s[10:11]
.LBB71_99:
	s_and_not1_b32 vcc_lo, exec_lo, s2
	s_cbranch_vccnz .LBB71_101
; %bb.100:
	v_mov_b32_e32 v0, 0
	global_store_b32 v0, v14, s[10:11]
.LBB71_101:
	s_mov_b32 s2, 0
.LBB71_102:
	s_delay_alu instid0(SALU_CYCLE_1)
	s_and_not1_b32 vcc_lo, exec_lo, s2
	s_cbranch_vccnz .LBB71_107
; %bb.103:
	v_cmp_gt_i64_e64 s2, s[0:1], 8
	s_delay_alu instid0(VALU_DEP_1)
	s_and_b32 vcc_lo, exec_lo, s2
	s_mov_b32 s2, -1
	s_cbranch_vccz .LBB71_105
; %bb.104:
	v_mov_b32_e32 v0, 0
	s_mov_b32 s2, 0
	global_store_b32 v0, v13, s[10:11]
.LBB71_105:
	s_and_not1_b32 vcc_lo, exec_lo, s2
	s_cbranch_vccnz .LBB71_107
; %bb.106:
	v_mov_b32_e32 v0, 0
	global_store_b32 v0, v12, s[10:11]
.LBB71_107:
	s_mov_b32 s2, 0
.LBB71_108:
	s_delay_alu instid0(SALU_CYCLE_1)
	s_and_not1_b32 vcc_lo, exec_lo, s2
	s_cbranch_vccnz .LBB71_134
; %bb.109:
	v_cmp_lt_i64_e64 s2, s[0:1], 4
	s_delay_alu instid0(VALU_DEP_1)
	s_and_b32 vcc_lo, exec_lo, s2
	s_mov_b32 s2, -1
	s_cbranch_vccnz .LBB71_122
; %bb.110:
	v_cmp_lt_i64_e64 s2, s[0:1], 6
	s_delay_alu instid0(VALU_DEP_1)
	s_and_b32 vcc_lo, exec_lo, s2
	s_mov_b32 s2, -1
	s_cbranch_vccnz .LBB71_116
; %bb.111:
	v_cmp_gt_i64_e64 s2, s[0:1], 6
	s_delay_alu instid0(VALU_DEP_1)
	s_and_b32 vcc_lo, exec_lo, s2
	s_mov_b32 s2, -1
	s_cbranch_vccz .LBB71_113
; %bb.112:
	v_mov_b32_e32 v0, 0
	s_mov_b32 s2, 0
	global_store_b32 v0, v11, s[10:11]
.LBB71_113:
	s_and_not1_b32 vcc_lo, exec_lo, s2
	s_cbranch_vccnz .LBB71_115
; %bb.114:
	v_mov_b32_e32 v0, 0
	global_store_b32 v0, v10, s[10:11]
.LBB71_115:
	s_mov_b32 s2, 0
.LBB71_116:
	s_delay_alu instid0(SALU_CYCLE_1)
	s_and_not1_b32 vcc_lo, exec_lo, s2
	s_cbranch_vccnz .LBB71_121
; %bb.117:
	v_cmp_gt_i64_e64 s2, s[0:1], 4
	s_delay_alu instid0(VALU_DEP_1)
	s_and_b32 vcc_lo, exec_lo, s2
	s_mov_b32 s2, -1
	s_cbranch_vccz .LBB71_119
; %bb.118:
	v_mov_b32_e32 v0, 0
	s_mov_b32 s2, 0
	global_store_b32 v0, v9, s[10:11]
.LBB71_119:
	s_and_not1_b32 vcc_lo, exec_lo, s2
	s_cbranch_vccnz .LBB71_121
; %bb.120:
	v_mov_b32_e32 v0, 0
	global_store_b32 v0, v8, s[10:11]
.LBB71_121:
	s_mov_b32 s2, 0
.LBB71_122:
	s_delay_alu instid0(SALU_CYCLE_1)
	s_and_not1_b32 vcc_lo, exec_lo, s2
	s_cbranch_vccnz .LBB71_134
; %bb.123:
	v_cmp_lt_i64_e64 s2, s[0:1], 2
	s_delay_alu instid0(VALU_DEP_1)
	s_and_b32 vcc_lo, exec_lo, s2
	s_mov_b32 s2, -1
	s_cbranch_vccnz .LBB71_129
; %bb.124:
	v_cmp_gt_i64_e64 s2, s[0:1], 2
	s_delay_alu instid0(VALU_DEP_1)
	s_and_b32 vcc_lo, exec_lo, s2
	s_mov_b32 s2, -1
	s_cbranch_vccz .LBB71_126
; %bb.125:
	v_mov_b32_e32 v0, 0
	s_mov_b32 s2, 0
	global_store_b32 v0, v7, s[10:11]
.LBB71_126:
	s_and_not1_b32 vcc_lo, exec_lo, s2
	s_cbranch_vccnz .LBB71_128
; %bb.127:
	v_mov_b32_e32 v0, 0
	global_store_b32 v0, v6, s[10:11]
.LBB71_128:
	s_mov_b32 s2, 0
.LBB71_129:
	s_delay_alu instid0(SALU_CYCLE_1)
	s_and_not1_b32 vcc_lo, exec_lo, s2
	s_cbranch_vccnz .LBB71_134
; %bb.130:
	s_cmp_eq_u64 s[0:1], 1
	s_mov_b32 s0, -1
	s_cbranch_scc1 .LBB71_132
; %bb.131:
	v_mov_b32_e32 v0, 0
	s_mov_b32 s0, 0
	global_store_b32 v0, v5, s[10:11]
.LBB71_132:
	s_and_not1_b32 vcc_lo, exec_lo, s0
	s_cbranch_vccnz .LBB71_134
; %bb.133:
	v_mov_b32_e32 v0, 0
	global_store_b32 v0, v4, s[10:11]
.LBB71_134:
	s_nop 0
	s_sendmsg sendmsg(MSG_DEALLOC_VGPRS)
	s_endpgm
.LBB71_135:
	global_load_b32 v20, v[17:18], off
	v_dual_mov_b32 v1, s16 :: v_dual_mov_b32 v2, s17
	v_dual_mov_b32 v3, s18 :: v_dual_mov_b32 v4, s19
	;; [unrolled: 1-line block ×8, first 2 shown]
                                        ; kill: def $vgpr1 killed $vgpr20 killed $exec
	s_or_b32 exec_lo, exec_lo, s3
	s_delay_alu instid0(SALU_CYCLE_1)
	s_mov_b32 s2, exec_lo
	v_cmpx_gt_u32_e64 s14, v47
	s_cbranch_execz .LBB71_5
.LBB71_136:
	global_load_b32 v2, v[17:18], off offset:256
	s_or_b32 exec_lo, exec_lo, s2
	s_delay_alu instid0(SALU_CYCLE_1)
	s_mov_b32 s2, exec_lo
	v_cmpx_gt_u32_e64 s14, v46
	s_cbranch_execz .LBB71_6
.LBB71_137:
	global_load_b32 v3, v[17:18], off offset:512
	s_or_b32 exec_lo, exec_lo, s2
	s_delay_alu instid0(SALU_CYCLE_1)
	s_mov_b32 s2, exec_lo
	v_cmpx_gt_u32_e64 s14, v45
	s_cbranch_execz .LBB71_7
.LBB71_138:
	global_load_b32 v4, v[17:18], off offset:768
	s_or_b32 exec_lo, exec_lo, s2
	s_delay_alu instid0(SALU_CYCLE_1)
	s_mov_b32 s2, exec_lo
	v_cmpx_gt_u32_e64 s14, v44
	s_cbranch_execz .LBB71_8
.LBB71_139:
	global_load_b32 v5, v[17:18], off offset:1024
	s_or_b32 exec_lo, exec_lo, s2
	s_delay_alu instid0(SALU_CYCLE_1)
	s_mov_b32 s2, exec_lo
	v_cmpx_gt_u32_e64 s14, v43
	s_cbranch_execz .LBB71_9
.LBB71_140:
	global_load_b32 v6, v[17:18], off offset:1280
	s_or_b32 exec_lo, exec_lo, s2
	s_delay_alu instid0(SALU_CYCLE_1)
	s_mov_b32 s2, exec_lo
	v_cmpx_gt_u32_e64 s14, v42
	s_cbranch_execz .LBB71_10
.LBB71_141:
	global_load_b32 v7, v[17:18], off offset:1536
	s_or_b32 exec_lo, exec_lo, s2
	s_delay_alu instid0(SALU_CYCLE_1)
	s_mov_b32 s2, exec_lo
	v_cmpx_gt_u32_e64 s14, v41
	s_cbranch_execz .LBB71_11
.LBB71_142:
	global_load_b32 v8, v[17:18], off offset:1792
	s_or_b32 exec_lo, exec_lo, s2
	s_delay_alu instid0(SALU_CYCLE_1)
	s_mov_b32 s2, exec_lo
	v_cmpx_gt_u32_e64 s14, v40
	s_cbranch_execz .LBB71_12
.LBB71_143:
	global_load_b32 v9, v[17:18], off offset:2048
	s_or_b32 exec_lo, exec_lo, s2
	s_delay_alu instid0(SALU_CYCLE_1)
	s_mov_b32 s2, exec_lo
	v_cmpx_gt_u32_e64 s14, v39
	s_cbranch_execz .LBB71_13
.LBB71_144:
	global_load_b32 v10, v[17:18], off offset:2304
	s_or_b32 exec_lo, exec_lo, s2
	s_delay_alu instid0(SALU_CYCLE_1)
	s_mov_b32 s2, exec_lo
	v_cmpx_gt_u32_e64 s14, v38
	s_cbranch_execz .LBB71_14
.LBB71_145:
	global_load_b32 v11, v[17:18], off offset:2560
	s_or_b32 exec_lo, exec_lo, s2
	s_delay_alu instid0(SALU_CYCLE_1)
	s_mov_b32 s2, exec_lo
	v_cmpx_gt_u32_e64 s14, v37
	s_cbranch_execz .LBB71_15
.LBB71_146:
	global_load_b32 v12, v[17:18], off offset:2816
	s_or_b32 exec_lo, exec_lo, s2
	s_delay_alu instid0(SALU_CYCLE_1)
	s_mov_b32 s2, exec_lo
	v_cmpx_gt_u32_e64 s14, v36
	s_cbranch_execz .LBB71_16
.LBB71_147:
	global_load_b32 v13, v[17:18], off offset:3072
	s_or_b32 exec_lo, exec_lo, s2
	s_delay_alu instid0(SALU_CYCLE_1)
	s_mov_b32 s2, exec_lo
	v_cmpx_gt_u32_e64 s14, v35
	s_cbranch_execz .LBB71_17
.LBB71_148:
	global_load_b32 v14, v[17:18], off offset:3328
	s_or_b32 exec_lo, exec_lo, s2
	s_delay_alu instid0(SALU_CYCLE_1)
	s_mov_b32 s2, exec_lo
	v_cmpx_gt_u32_e64 s14, v34
	s_cbranch_execz .LBB71_18
.LBB71_149:
	global_load_b32 v15, v[17:18], off offset:3584
	s_or_b32 exec_lo, exec_lo, s2
	s_delay_alu instid0(SALU_CYCLE_1)
	s_mov_b32 s2, exec_lo
	v_cmpx_gt_u32_e64 s14, v33
	s_cbranch_execnz .LBB71_19
	s_branch .LBB71_20
.LBB71_150:
	s_waitcnt lgkmcnt(15)
	global_store_b32 v[2:3], v5, off
	s_or_b32 exec_lo, exec_lo, s2
	s_delay_alu instid0(SALU_CYCLE_1)
	s_mov_b32 s2, exec_lo
	v_cmpx_gt_u32_e64 s14, v47
	s_cbranch_execz .LBB71_64
.LBB71_151:
	s_waitcnt lgkmcnt(14)
	global_store_b32 v[2:3], v4, off offset:256
	s_or_b32 exec_lo, exec_lo, s2
	s_delay_alu instid0(SALU_CYCLE_1)
	s_mov_b32 s2, exec_lo
	v_cmpx_gt_u32_e64 s14, v46
	s_cbranch_execz .LBB71_65
.LBB71_152:
	s_waitcnt lgkmcnt(13)
	global_store_b32 v[2:3], v6, off offset:512
	s_or_b32 exec_lo, exec_lo, s2
	s_delay_alu instid0(SALU_CYCLE_1)
	s_mov_b32 s2, exec_lo
	v_cmpx_gt_u32_e64 s14, v45
	s_cbranch_execz .LBB71_66
.LBB71_153:
	s_waitcnt lgkmcnt(12)
	global_store_b32 v[2:3], v7, off offset:768
	s_or_b32 exec_lo, exec_lo, s2
	s_delay_alu instid0(SALU_CYCLE_1)
	s_mov_b32 s2, exec_lo
	v_cmpx_gt_u32_e64 s14, v44
	s_cbranch_execz .LBB71_67
.LBB71_154:
	s_waitcnt lgkmcnt(11)
	global_store_b32 v[2:3], v8, off offset:1024
	s_or_b32 exec_lo, exec_lo, s2
	s_delay_alu instid0(SALU_CYCLE_1)
	s_mov_b32 s2, exec_lo
	v_cmpx_gt_u32_e64 s14, v43
	s_cbranch_execz .LBB71_68
.LBB71_155:
	s_waitcnt lgkmcnt(10)
	global_store_b32 v[2:3], v9, off offset:1280
	s_or_b32 exec_lo, exec_lo, s2
	s_delay_alu instid0(SALU_CYCLE_1)
	s_mov_b32 s2, exec_lo
	v_cmpx_gt_u32_e64 s14, v42
	s_cbranch_execz .LBB71_69
.LBB71_156:
	s_waitcnt lgkmcnt(9)
	global_store_b32 v[2:3], v10, off offset:1536
	s_or_b32 exec_lo, exec_lo, s2
	s_delay_alu instid0(SALU_CYCLE_1)
	s_mov_b32 s2, exec_lo
	v_cmpx_gt_u32_e64 s14, v41
	s_cbranch_execz .LBB71_70
.LBB71_157:
	s_waitcnt lgkmcnt(8)
	global_store_b32 v[2:3], v11, off offset:1792
	s_or_b32 exec_lo, exec_lo, s2
	s_delay_alu instid0(SALU_CYCLE_1)
	s_mov_b32 s2, exec_lo
	v_cmpx_gt_u32_e64 s14, v40
	s_cbranch_execz .LBB71_71
.LBB71_158:
	s_waitcnt lgkmcnt(7)
	global_store_b32 v[2:3], v12, off offset:2048
	s_or_b32 exec_lo, exec_lo, s2
	s_delay_alu instid0(SALU_CYCLE_1)
	s_mov_b32 s2, exec_lo
	v_cmpx_gt_u32_e64 s14, v39
	s_cbranch_execz .LBB71_72
.LBB71_159:
	s_waitcnt lgkmcnt(6)
	global_store_b32 v[2:3], v13, off offset:2304
	s_or_b32 exec_lo, exec_lo, s2
	s_delay_alu instid0(SALU_CYCLE_1)
	s_mov_b32 s2, exec_lo
	v_cmpx_gt_u32_e64 s14, v38
	s_cbranch_execz .LBB71_73
.LBB71_160:
	s_waitcnt lgkmcnt(5)
	global_store_b32 v[2:3], v14, off offset:2560
	s_or_b32 exec_lo, exec_lo, s2
	s_delay_alu instid0(SALU_CYCLE_1)
	s_mov_b32 s2, exec_lo
	v_cmpx_gt_u32_e64 s14, v37
	s_cbranch_execz .LBB71_74
.LBB71_161:
	s_waitcnt lgkmcnt(4)
	global_store_b32 v[2:3], v15, off offset:2816
	s_or_b32 exec_lo, exec_lo, s2
	s_delay_alu instid0(SALU_CYCLE_1)
	s_mov_b32 s2, exec_lo
	v_cmpx_gt_u32_e64 s14, v36
	s_cbranch_execz .LBB71_75
.LBB71_162:
	s_waitcnt lgkmcnt(3)
	global_store_b32 v[2:3], v16, off offset:3072
	s_or_b32 exec_lo, exec_lo, s2
	s_delay_alu instid0(SALU_CYCLE_1)
	s_mov_b32 s2, exec_lo
	v_cmpx_gt_u32_e64 s14, v35
	s_cbranch_execz .LBB71_76
.LBB71_163:
	s_waitcnt lgkmcnt(2)
	global_store_b32 v[2:3], v17, off offset:3328
	s_or_b32 exec_lo, exec_lo, s2
	s_delay_alu instid0(SALU_CYCLE_1)
	s_mov_b32 s2, exec_lo
	v_cmpx_gt_u32_e64 s14, v34
	s_cbranch_execz .LBB71_77
.LBB71_164:
	s_waitcnt lgkmcnt(1)
	global_store_b32 v[2:3], v18, off offset:3584
	s_or_b32 exec_lo, exec_lo, s2
	s_delay_alu instid0(SALU_CYCLE_1)
	s_mov_b32 s2, exec_lo
	v_cmpx_gt_u32_e64 s14, v33
	s_cbranch_execnz .LBB71_78
	s_branch .LBB71_79
	.section	.rodata,"a",@progbits
	.p2align	6, 0x0
	.amdhsa_kernel _ZN7rocprim17ROCPRIM_304000_NS6detail20lookback_scan_kernelILNS1_25lookback_scan_determinismE0ELb0ENS1_19wrapped_scan_configINS0_14default_configEfEEPKfPfSt4plusIfEffNS1_19lookback_scan_stateIfLb0ELb1EEEEEvT2_T3_mT5_T4_T7_jPT6_SK_bb
		.amdhsa_group_segment_fixed_size 4224
		.amdhsa_private_segment_fixed_size 0
		.amdhsa_kernarg_size 68
		.amdhsa_user_sgpr_count 15
		.amdhsa_user_sgpr_dispatch_ptr 0
		.amdhsa_user_sgpr_queue_ptr 0
		.amdhsa_user_sgpr_kernarg_segment_ptr 1
		.amdhsa_user_sgpr_dispatch_id 0
		.amdhsa_user_sgpr_private_segment_size 0
		.amdhsa_wavefront_size32 1
		.amdhsa_uses_dynamic_stack 0
		.amdhsa_enable_private_segment 0
		.amdhsa_system_sgpr_workgroup_id_x 1
		.amdhsa_system_sgpr_workgroup_id_y 0
		.amdhsa_system_sgpr_workgroup_id_z 0
		.amdhsa_system_sgpr_workgroup_info 0
		.amdhsa_system_vgpr_workitem_id 0
		.amdhsa_next_free_vgpr 59
		.amdhsa_next_free_sgpr 35
		.amdhsa_reserve_vcc 1
		.amdhsa_float_round_mode_32 0
		.amdhsa_float_round_mode_16_64 0
		.amdhsa_float_denorm_mode_32 3
		.amdhsa_float_denorm_mode_16_64 3
		.amdhsa_dx10_clamp 1
		.amdhsa_ieee_mode 1
		.amdhsa_fp16_overflow 0
		.amdhsa_workgroup_processor_mode 1
		.amdhsa_memory_ordered 1
		.amdhsa_forward_progress 0
		.amdhsa_shared_vgpr_count 0
		.amdhsa_exception_fp_ieee_invalid_op 0
		.amdhsa_exception_fp_denorm_src 0
		.amdhsa_exception_fp_ieee_div_zero 0
		.amdhsa_exception_fp_ieee_overflow 0
		.amdhsa_exception_fp_ieee_underflow 0
		.amdhsa_exception_fp_ieee_inexact 0
		.amdhsa_exception_int_div_zero 0
	.end_amdhsa_kernel
	.section	.text._ZN7rocprim17ROCPRIM_304000_NS6detail20lookback_scan_kernelILNS1_25lookback_scan_determinismE0ELb0ENS1_19wrapped_scan_configINS0_14default_configEfEEPKfPfSt4plusIfEffNS1_19lookback_scan_stateIfLb0ELb1EEEEEvT2_T3_mT5_T4_T7_jPT6_SK_bb,"axG",@progbits,_ZN7rocprim17ROCPRIM_304000_NS6detail20lookback_scan_kernelILNS1_25lookback_scan_determinismE0ELb0ENS1_19wrapped_scan_configINS0_14default_configEfEEPKfPfSt4plusIfEffNS1_19lookback_scan_stateIfLb0ELb1EEEEEvT2_T3_mT5_T4_T7_jPT6_SK_bb,comdat
.Lfunc_end71:
	.size	_ZN7rocprim17ROCPRIM_304000_NS6detail20lookback_scan_kernelILNS1_25lookback_scan_determinismE0ELb0ENS1_19wrapped_scan_configINS0_14default_configEfEEPKfPfSt4plusIfEffNS1_19lookback_scan_stateIfLb0ELb1EEEEEvT2_T3_mT5_T4_T7_jPT6_SK_bb, .Lfunc_end71-_ZN7rocprim17ROCPRIM_304000_NS6detail20lookback_scan_kernelILNS1_25lookback_scan_determinismE0ELb0ENS1_19wrapped_scan_configINS0_14default_configEfEEPKfPfSt4plusIfEffNS1_19lookback_scan_stateIfLb0ELb1EEEEEvT2_T3_mT5_T4_T7_jPT6_SK_bb
                                        ; -- End function
	.section	.AMDGPU.csdata,"",@progbits
; Kernel info:
; codeLenInByte = 7520
; NumSgprs: 37
; NumVgprs: 59
; ScratchSize: 0
; MemoryBound: 0
; FloatMode: 240
; IeeeMode: 1
; LDSByteSize: 4224 bytes/workgroup (compile time only)
; SGPRBlocks: 4
; VGPRBlocks: 7
; NumSGPRsForWavesPerEU: 37
; NumVGPRsForWavesPerEU: 59
; Occupancy: 16
; WaveLimiterHint : 1
; COMPUTE_PGM_RSRC2:SCRATCH_EN: 0
; COMPUTE_PGM_RSRC2:USER_SGPR: 15
; COMPUTE_PGM_RSRC2:TRAP_HANDLER: 0
; COMPUTE_PGM_RSRC2:TGID_X_EN: 1
; COMPUTE_PGM_RSRC2:TGID_Y_EN: 0
; COMPUTE_PGM_RSRC2:TGID_Z_EN: 0
; COMPUTE_PGM_RSRC2:TIDIG_COMP_CNT: 0
	.section	.text._ZN7rocprim17ROCPRIM_304000_NS6detail16transform_kernelINS1_24wrapped_transform_configINS0_14default_configEfEEfPfS6_NS0_8identityIfEEEEvT1_mT2_T3_,"axG",@progbits,_ZN7rocprim17ROCPRIM_304000_NS6detail16transform_kernelINS1_24wrapped_transform_configINS0_14default_configEfEEfPfS6_NS0_8identityIfEEEEvT1_mT2_T3_,comdat
	.protected	_ZN7rocprim17ROCPRIM_304000_NS6detail16transform_kernelINS1_24wrapped_transform_configINS0_14default_configEfEEfPfS6_NS0_8identityIfEEEEvT1_mT2_T3_ ; -- Begin function _ZN7rocprim17ROCPRIM_304000_NS6detail16transform_kernelINS1_24wrapped_transform_configINS0_14default_configEfEEfPfS6_NS0_8identityIfEEEEvT1_mT2_T3_
	.globl	_ZN7rocprim17ROCPRIM_304000_NS6detail16transform_kernelINS1_24wrapped_transform_configINS0_14default_configEfEEfPfS6_NS0_8identityIfEEEEvT1_mT2_T3_
	.p2align	8
	.type	_ZN7rocprim17ROCPRIM_304000_NS6detail16transform_kernelINS1_24wrapped_transform_configINS0_14default_configEfEEfPfS6_NS0_8identityIfEEEEvT1_mT2_T3_,@function
_ZN7rocprim17ROCPRIM_304000_NS6detail16transform_kernelINS1_24wrapped_transform_configINS0_14default_configEfEEfPfS6_NS0_8identityIfEEEEvT1_mT2_T3_: ; @_ZN7rocprim17ROCPRIM_304000_NS6detail16transform_kernelINS1_24wrapped_transform_configINS0_14default_configEfEEfPfS6_NS0_8identityIfEEEEvT1_mT2_T3_
; %bb.0:
	s_clause 0x2
	s_load_b32 s3, s[0:1], 0x20
	s_load_b128 s[4:7], s[0:1], 0x0
	s_load_b64 s[0:1], s[0:1], 0x10
	v_lshlrev_b32_e32 v1, 2, v0
	s_lshl_b32 s2, s15, 10
	s_waitcnt lgkmcnt(0)
	s_add_i32 s7, s3, -1
	s_mov_b32 s3, 0
	s_cmp_lg_u32 s15, s7
	s_mov_b32 s7, -1
	s_cbranch_scc0 .LBB72_2
; %bb.1:
	s_lshl_b64 s[8:9], s[2:3], 2
	s_mov_b32 s7, s3
	s_add_u32 s10, s4, s8
	s_addc_u32 s11, s5, s9
	s_add_u32 s8, s0, s8
	global_load_b32 v2, v1, s[10:11]
	s_addc_u32 s9, s1, s9
	s_waitcnt vmcnt(0)
	global_store_b32 v1, v2, s[8:9]
.LBB72_2:
	s_and_not1_b32 vcc_lo, exec_lo, s7
	s_cbranch_vccnz .LBB72_7
; %bb.3:
	s_sub_i32 s6, s6, s2
	s_delay_alu instid0(SALU_CYCLE_1)
	v_cmp_gt_u32_e32 vcc_lo, s6, v0
                                        ; implicit-def: $vgpr0
	s_and_saveexec_b32 s6, vcc_lo
	s_cbranch_execz .LBB72_5
; %bb.4:
	s_lshl_b64 s[8:9], s[2:3], 2
	s_delay_alu instid0(SALU_CYCLE_1)
	s_add_u32 s4, s4, s8
	s_addc_u32 s5, s5, s9
	global_load_b32 v0, v1, s[4:5]
.LBB72_5:
	s_or_b32 exec_lo, exec_lo, s6
	s_and_saveexec_b32 s4, vcc_lo
	s_cbranch_execz .LBB72_7
; %bb.6:
	s_lshl_b64 s[2:3], s[2:3], 2
	s_delay_alu instid0(SALU_CYCLE_1)
	s_add_u32 s0, s0, s2
	s_addc_u32 s1, s1, s3
	s_waitcnt vmcnt(0)
	global_store_b32 v1, v0, s[0:1]
.LBB72_7:
	s_nop 0
	s_sendmsg sendmsg(MSG_DEALLOC_VGPRS)
	s_endpgm
	.section	.rodata,"a",@progbits
	.p2align	6, 0x0
	.amdhsa_kernel _ZN7rocprim17ROCPRIM_304000_NS6detail16transform_kernelINS1_24wrapped_transform_configINS0_14default_configEfEEfPfS6_NS0_8identityIfEEEEvT1_mT2_T3_
		.amdhsa_group_segment_fixed_size 0
		.amdhsa_private_segment_fixed_size 0
		.amdhsa_kernarg_size 288
		.amdhsa_user_sgpr_count 15
		.amdhsa_user_sgpr_dispatch_ptr 0
		.amdhsa_user_sgpr_queue_ptr 0
		.amdhsa_user_sgpr_kernarg_segment_ptr 1
		.amdhsa_user_sgpr_dispatch_id 0
		.amdhsa_user_sgpr_private_segment_size 0
		.amdhsa_wavefront_size32 1
		.amdhsa_uses_dynamic_stack 0
		.amdhsa_enable_private_segment 0
		.amdhsa_system_sgpr_workgroup_id_x 1
		.amdhsa_system_sgpr_workgroup_id_y 0
		.amdhsa_system_sgpr_workgroup_id_z 0
		.amdhsa_system_sgpr_workgroup_info 0
		.amdhsa_system_vgpr_workitem_id 0
		.amdhsa_next_free_vgpr 3
		.amdhsa_next_free_sgpr 16
		.amdhsa_reserve_vcc 1
		.amdhsa_float_round_mode_32 0
		.amdhsa_float_round_mode_16_64 0
		.amdhsa_float_denorm_mode_32 3
		.amdhsa_float_denorm_mode_16_64 3
		.amdhsa_dx10_clamp 1
		.amdhsa_ieee_mode 1
		.amdhsa_fp16_overflow 0
		.amdhsa_workgroup_processor_mode 1
		.amdhsa_memory_ordered 1
		.amdhsa_forward_progress 0
		.amdhsa_shared_vgpr_count 0
		.amdhsa_exception_fp_ieee_invalid_op 0
		.amdhsa_exception_fp_denorm_src 0
		.amdhsa_exception_fp_ieee_div_zero 0
		.amdhsa_exception_fp_ieee_overflow 0
		.amdhsa_exception_fp_ieee_underflow 0
		.amdhsa_exception_fp_ieee_inexact 0
		.amdhsa_exception_int_div_zero 0
	.end_amdhsa_kernel
	.section	.text._ZN7rocprim17ROCPRIM_304000_NS6detail16transform_kernelINS1_24wrapped_transform_configINS0_14default_configEfEEfPfS6_NS0_8identityIfEEEEvT1_mT2_T3_,"axG",@progbits,_ZN7rocprim17ROCPRIM_304000_NS6detail16transform_kernelINS1_24wrapped_transform_configINS0_14default_configEfEEfPfS6_NS0_8identityIfEEEEvT1_mT2_T3_,comdat
.Lfunc_end72:
	.size	_ZN7rocprim17ROCPRIM_304000_NS6detail16transform_kernelINS1_24wrapped_transform_configINS0_14default_configEfEEfPfS6_NS0_8identityIfEEEEvT1_mT2_T3_, .Lfunc_end72-_ZN7rocprim17ROCPRIM_304000_NS6detail16transform_kernelINS1_24wrapped_transform_configINS0_14default_configEfEEfPfS6_NS0_8identityIfEEEEvT1_mT2_T3_
                                        ; -- End function
	.section	.AMDGPU.csdata,"",@progbits
; Kernel info:
; codeLenInByte = 208
; NumSgprs: 18
; NumVgprs: 3
; ScratchSize: 0
; MemoryBound: 0
; FloatMode: 240
; IeeeMode: 1
; LDSByteSize: 0 bytes/workgroup (compile time only)
; SGPRBlocks: 2
; VGPRBlocks: 0
; NumSGPRsForWavesPerEU: 18
; NumVGPRsForWavesPerEU: 3
; Occupancy: 16
; WaveLimiterHint : 0
; COMPUTE_PGM_RSRC2:SCRATCH_EN: 0
; COMPUTE_PGM_RSRC2:USER_SGPR: 15
; COMPUTE_PGM_RSRC2:TRAP_HANDLER: 0
; COMPUTE_PGM_RSRC2:TGID_X_EN: 1
; COMPUTE_PGM_RSRC2:TGID_Y_EN: 0
; COMPUTE_PGM_RSRC2:TGID_Z_EN: 0
; COMPUTE_PGM_RSRC2:TIDIG_COMP_CNT: 0
	.section	.text._ZN7rocprim17ROCPRIM_304000_NS6detail18single_scan_kernelILb0ENS1_19wrapped_scan_configINS0_14default_configEfEEPKfPfSt4plusIfEffEEvT1_mT4_T2_T3_,"axG",@progbits,_ZN7rocprim17ROCPRIM_304000_NS6detail18single_scan_kernelILb0ENS1_19wrapped_scan_configINS0_14default_configEfEEPKfPfSt4plusIfEffEEvT1_mT4_T2_T3_,comdat
	.protected	_ZN7rocprim17ROCPRIM_304000_NS6detail18single_scan_kernelILb0ENS1_19wrapped_scan_configINS0_14default_configEfEEPKfPfSt4plusIfEffEEvT1_mT4_T2_T3_ ; -- Begin function _ZN7rocprim17ROCPRIM_304000_NS6detail18single_scan_kernelILb0ENS1_19wrapped_scan_configINS0_14default_configEfEEPKfPfSt4plusIfEffEEvT1_mT4_T2_T3_
	.globl	_ZN7rocprim17ROCPRIM_304000_NS6detail18single_scan_kernelILb0ENS1_19wrapped_scan_configINS0_14default_configEfEEPKfPfSt4plusIfEffEEvT1_mT4_T2_T3_
	.p2align	8
	.type	_ZN7rocprim17ROCPRIM_304000_NS6detail18single_scan_kernelILb0ENS1_19wrapped_scan_configINS0_14default_configEfEEPKfPfSt4plusIfEffEEvT1_mT4_T2_T3_,@function
_ZN7rocprim17ROCPRIM_304000_NS6detail18single_scan_kernelILb0ENS1_19wrapped_scan_configINS0_14default_configEfEEPKfPfSt4plusIfEffEEvT1_mT4_T2_T3_: ; @_ZN7rocprim17ROCPRIM_304000_NS6detail18single_scan_kernelILb0ENS1_19wrapped_scan_configINS0_14default_configEfEEPKfPfSt4plusIfEffEEvT1_mT4_T2_T3_
; %bb.0:
	s_load_b128 s[20:23], s[0:1], 0x0
	s_waitcnt lgkmcnt(0)
	s_load_b32 s4, s[20:21], 0x0
	v_cmp_gt_u32_e32 vcc_lo, s22, v0
	s_waitcnt lgkmcnt(0)
	s_mov_b32 s5, s4
	s_mov_b32 s6, s4
	;; [unrolled: 1-line block ×15, first 2 shown]
	v_lshlrev_b32_e32 v19, 2, v0
	v_dual_mov_b32 v1, s4 :: v_dual_mov_b32 v4, s7
	v_dual_mov_b32 v2, s5 :: v_dual_mov_b32 v3, s6
	v_mov_b32_e32 v6, s9
	s_delay_alu instid0(VALU_DEP_4) | instskip(NEXT) | instid1(VALU_DEP_1)
	v_add_co_u32 v17, s2, s20, v19
	v_add_co_ci_u32_e64 v18, null, s21, 0, s2
	v_dual_mov_b32 v5, s8 :: v_dual_mov_b32 v8, s11
	v_dual_mov_b32 v7, s10 :: v_dual_mov_b32 v10, s13
	v_dual_mov_b32 v9, s12 :: v_dual_mov_b32 v12, s15
	v_dual_mov_b32 v11, s14 :: v_dual_mov_b32 v14, s17
	v_dual_mov_b32 v13, s16 :: v_dual_mov_b32 v16, s19
	v_dual_mov_b32 v15, s18 :: v_dual_mov_b32 v20, s4
	s_and_saveexec_b32 s2, vcc_lo
	s_cbranch_execz .LBB73_2
; %bb.1:
	global_load_b32 v20, v[17:18], off
	v_dual_mov_b32 v1, s4 :: v_dual_mov_b32 v2, s5
	v_dual_mov_b32 v3, s6 :: v_dual_mov_b32 v4, s7
	;; [unrolled: 1-line block ×8, first 2 shown]
                                        ; kill: def $vgpr1 killed $vgpr20 killed $exec
.LBB73_2:
	s_or_b32 exec_lo, exec_lo, s2
	v_or_b32_e32 v1, 64, v0
	s_delay_alu instid0(VALU_DEP_1) | instskip(NEXT) | instid1(VALU_DEP_1)
	v_cmp_gt_u32_e64 s2, s22, v1
	s_and_saveexec_b32 s3, s2
	s_cbranch_execz .LBB73_4
; %bb.3:
	global_load_b32 v2, v[17:18], off offset:256
.LBB73_4:
	s_or_b32 exec_lo, exec_lo, s3
	v_or_b32_e32 v21, 0x80, v0
	s_delay_alu instid0(VALU_DEP_1) | instskip(NEXT) | instid1(VALU_DEP_1)
	v_cmp_gt_u32_e64 s3, s22, v21
	s_and_saveexec_b32 s4, s3
	s_cbranch_execz .LBB73_6
; %bb.5:
	global_load_b32 v3, v[17:18], off offset:512
.LBB73_6:
	;; [unrolled: 9-line block ×15, first 2 shown]
	s_or_b32 exec_lo, exec_lo, s17
	v_lshrrev_b32_e32 v17, 3, v0
	v_lshrrev_b32_e32 v1, 3, v1
	;; [unrolled: 1-line block ×5, first 2 shown]
	v_and_b32_e32 v29, 4, v17
	v_and_b32_e32 v1, 12, v1
	v_lshrrev_b32_e32 v23, 3, v24
	v_and_b32_e32 v24, 28, v18
	v_and_b32_e32 v22, 60, v22
	v_add_nc_u32_e32 v17, v29, v19
	v_add_nc_u32_e32 v18, v1, v19
	v_and_b32_e32 v1, 28, v21
	v_add_nc_u32_e32 v21, v24, v19
	v_add_nc_u32_e32 v22, v22, v19
	s_waitcnt vmcnt(0)
	ds_store_b32 v17, v20
	ds_store_b32 v18, v2 offset:256
	v_and_b32_e32 v2, 60, v23
	v_add_nc_u32_e32 v20, v1, v19
	v_lshrrev_b32_e32 v1, 3, v25
	ds_store_b32 v21, v3 offset:512
	v_lshrrev_b32_e32 v3, 3, v27
	v_add_nc_u32_e32 v23, v2, v19
	v_lshrrev_b32_e32 v2, 3, v26
	v_and_b32_e32 v1, 60, v1
	ds_store_b32 v20, v4 offset:768
	ds_store_b32 v22, v5 offset:1024
	v_and_b32_e32 v3, 0x7c, v3
	v_lshrrev_b32_e32 v4, 3, v28
	ds_store_b32 v23, v6 offset:1280
	v_add_nc_u32_e32 v24, v1, v19
	v_and_b32_e32 v1, 60, v2
	v_lshrrev_b32_e32 v2, 3, v30
	v_add_nc_u32_e32 v26, v3, v19
	v_lshrrev_b32_e32 v3, 3, v33
	v_and_b32_e32 v4, 0x7c, v4
	v_add_nc_u32_e32 v25, v1, v19
	v_and_b32_e32 v1, 0x7c, v2
	v_lshrrev_b32_e32 v2, 3, v31
	v_and_b32_e32 v3, 0x7c, v3
	v_add_nc_u32_e32 v27, v4, v19
	v_lshrrev_b32_e32 v4, 3, v34
	v_add_nc_u32_e32 v28, v1, v19
	v_and_b32_e32 v1, 0x7c, v2
	v_lshrrev_b32_e32 v2, 3, v32
	v_add_nc_u32_e32 v32, v3, v19
	v_lshrrev_b32_e32 v3, 1, v0
	v_and_b32_e32 v4, 0x7c, v4
	v_add_nc_u32_e32 v30, v1, v19
	v_and_b32_e32 v1, 0x7c, v2
	v_lshrrev_b32_e32 v2, 3, v35
	ds_store_b32 v24, v7 offset:1536
	v_add_nc_u32_e32 v33, v4, v19
	ds_store_b32 v25, v8 offset:1792
	v_add_nc_u32_e32 v31, v1, v19
	v_and_b32_e32 v1, 0x7c, v2
	v_lshlrev_b32_e32 v2, 4, v0
	ds_store_b32 v26, v9 offset:2048
	ds_store_b32 v27, v10 offset:2304
	ds_store_b32 v28, v11 offset:2560
	ds_store_b32 v30, v12 offset:2816
	v_add_nc_u32_e32 v34, v1, v19
	v_add_lshl_u32 v35, v3, v2, 2
	ds_store_b32 v31, v13 offset:3072
	ds_store_b32 v32, v14 offset:3328
	;; [unrolled: 1-line block ×3, first 2 shown]
	v_or_b32_e32 v40, 31, v0
	s_mov_b32 s18, exec_lo
	ds_store_b32 v34, v16 offset:3840
	s_waitcnt lgkmcnt(0)
	s_barrier
	buffer_gl0_inv
	ds_load_2addr_b32 v[7:8], v35 offset1:1
	ds_load_2addr_b32 v[5:6], v35 offset0:2 offset1:3
	ds_load_2addr_b32 v[3:4], v35 offset0:4 offset1:5
	;; [unrolled: 1-line block ×5, first 2 shown]
	s_waitcnt lgkmcnt(5)
	v_add_f32_e32 v9, v7, v8
	s_waitcnt lgkmcnt(4)
	s_delay_alu instid0(VALU_DEP_1) | instskip(NEXT) | instid1(VALU_DEP_1)
	v_add_f32_e32 v9, v9, v5
	v_add_f32_e32 v9, v9, v6
	s_waitcnt lgkmcnt(3)
	s_delay_alu instid0(VALU_DEP_1) | instskip(NEXT) | instid1(VALU_DEP_1)
	v_add_f32_e32 v9, v9, v3
	;; [unrolled: 4-line block ×3, first 2 shown]
	v_add_f32_e32 v36, v9, v2
	ds_load_2addr_b32 v[15:16], v35 offset0:12 offset1:13
	ds_load_2addr_b32 v[9:10], v35 offset0:14 offset1:15
	s_waitcnt lgkmcnt(0)
	s_barrier
	buffer_gl0_inv
	v_add_f32_e32 v36, v36, v11
	s_delay_alu instid0(VALU_DEP_1) | instskip(NEXT) | instid1(VALU_DEP_1)
	v_add_f32_e32 v36, v36, v12
	v_add_f32_e32 v36, v36, v13
	s_delay_alu instid0(VALU_DEP_1) | instskip(NEXT) | instid1(VALU_DEP_1)
	v_add_f32_e32 v36, v36, v14
	;; [unrolled: 3-line block ×3, first 2 shown]
	v_add_f32_e32 v36, v36, v9
	s_delay_alu instid0(VALU_DEP_1) | instskip(SKIP_1) | instid1(VALU_DEP_2)
	v_add_f32_e32 v37, v36, v10
	v_mbcnt_lo_u32_b32 v36, -1, 0
	v_mov_b32_dpp v38, v37 row_shr:1 row_mask:0xf bank_mask:0xf
	s_delay_alu instid0(VALU_DEP_1) | instskip(NEXT) | instid1(VALU_DEP_1)
	v_dual_add_f32 v38, v37, v38 :: v_dual_and_b32 v39, 15, v36
	v_cmp_eq_u32_e64 s17, 0, v39
	s_delay_alu instid0(VALU_DEP_1) | instskip(SKIP_1) | instid1(VALU_DEP_2)
	v_cndmask_b32_e64 v37, v38, v37, s17
	v_cmp_lt_u32_e64 s17, 1, v39
	v_mov_b32_dpp v38, v37 row_shr:2 row_mask:0xf bank_mask:0xf
	s_delay_alu instid0(VALU_DEP_1) | instskip(NEXT) | instid1(VALU_DEP_1)
	v_add_f32_e32 v38, v37, v38
	v_cndmask_b32_e64 v37, v37, v38, s17
	v_cmp_lt_u32_e64 s17, 3, v39
	s_delay_alu instid0(VALU_DEP_2) | instskip(NEXT) | instid1(VALU_DEP_1)
	v_mov_b32_dpp v38, v37 row_shr:4 row_mask:0xf bank_mask:0xf
	v_add_f32_e32 v38, v37, v38
	s_delay_alu instid0(VALU_DEP_1) | instskip(SKIP_2) | instid1(VALU_DEP_3)
	v_cndmask_b32_e64 v37, v37, v38, s17
	v_cmp_lt_u32_e64 s17, 7, v39
	v_and_b32_e32 v39, 16, v36
	v_mov_b32_dpp v38, v37 row_shr:8 row_mask:0xf bank_mask:0xf
	s_delay_alu instid0(VALU_DEP_1) | instskip(NEXT) | instid1(VALU_DEP_1)
	v_add_f32_e32 v38, v37, v38
	v_cndmask_b32_e64 v37, v37, v38, s17
	s_delay_alu instid0(VALU_DEP_4) | instskip(SKIP_3) | instid1(VALU_DEP_1)
	v_cmp_eq_u32_e64 s17, 0, v39
	ds_swizzle_b32 v38, v37 offset:swizzle(BROADCAST,32,15)
	s_waitcnt lgkmcnt(0)
	v_add_f32_e32 v38, v37, v38
	v_cndmask_b32_e64 v37, v38, v37, s17
	v_cmpx_eq_u32_e64 v40, v0
	s_cbranch_execz .LBB73_34
; %bb.33:
	ds_store_b32 v29, v37
.LBB73_34:
	s_or_b32 exec_lo, exec_lo, s18
	s_delay_alu instid0(SALU_CYCLE_1)
	s_mov_b32 s18, exec_lo
	s_waitcnt lgkmcnt(0)
	s_barrier
	buffer_gl0_inv
	v_cmpx_gt_u32_e32 2, v0
	s_cbranch_execz .LBB73_36
; %bb.35:
	ds_load_b32 v38, v19
	s_waitcnt lgkmcnt(0)
	v_mov_b32_dpp v39, v38 row_shr:1 row_mask:0xf bank_mask:0xf
	s_delay_alu instid0(VALU_DEP_1) | instskip(NEXT) | instid1(VALU_DEP_1)
	v_dual_add_f32 v39, v38, v39 :: v_dual_and_b32 v40, 1, v36
	v_cmp_eq_u32_e64 s17, 0, v40
	s_delay_alu instid0(VALU_DEP_1)
	v_cndmask_b32_e64 v38, v39, v38, s17
	ds_store_b32 v19, v38
.LBB73_36:
	s_or_b32 exec_lo, exec_lo, s18
	s_delay_alu instid0(SALU_CYCLE_1)
	s_mov_b32 s18, exec_lo
	s_waitcnt lgkmcnt(0)
	s_barrier
	buffer_gl0_inv
                                        ; implicit-def: $vgpr38
	v_cmpx_lt_u32_e32 31, v0
	s_cbranch_execz .LBB73_38
; %bb.37:
	v_add_nc_u32_e32 v29, -4, v29
	ds_load_b32 v38, v29
	s_waitcnt lgkmcnt(0)
	v_add_f32_e32 v37, v37, v38
.LBB73_38:
	s_or_b32 exec_lo, exec_lo, s18
	v_add_nc_u32_e32 v29, -1, v36
	s_barrier
	buffer_gl0_inv
	s_load_b64 s[0:1], s[0:1], 0x18
	v_cmp_gt_i32_e64 s17, 0, v29
	s_delay_alu instid0(VALU_DEP_1) | instskip(SKIP_1) | instid1(VALU_DEP_2)
	v_cndmask_b32_e64 v29, v29, v36, s17
	v_cmp_eq_u32_e64 s17, 0, v36
	v_lshlrev_b32_e32 v29, 2, v29
	ds_bpermute_b32 v29, v29, v37
	s_waitcnt lgkmcnt(0)
	v_cndmask_b32_e64 v29, v29, v38, s17
	v_cmp_eq_u32_e64 s17, 0, v0
	s_delay_alu instid0(VALU_DEP_2) | instskip(NEXT) | instid1(VALU_DEP_1)
	v_add_f32_e32 v29, v7, v29
	v_cndmask_b32_e64 v0, v29, v7, s17
	s_delay_alu instid0(VALU_DEP_1) | instskip(NEXT) | instid1(VALU_DEP_1)
	v_add_f32_e32 v7, v8, v0
	v_add_f32_e32 v5, v5, v7
	s_delay_alu instid0(VALU_DEP_1) | instskip(NEXT) | instid1(VALU_DEP_1)
	v_add_f32_e32 v6, v6, v5
	v_add_f32_e32 v3, v3, v6
	s_delay_alu instid0(VALU_DEP_1) | instskip(NEXT) | instid1(VALU_DEP_1)
	v_add_f32_e32 v4, v4, v3
	v_add_f32_e32 v1, v1, v4
	s_delay_alu instid0(VALU_DEP_1) | instskip(NEXT) | instid1(VALU_DEP_1)
	v_add_f32_e32 v2, v2, v1
	v_add_f32_e32 v8, v11, v2
	s_delay_alu instid0(VALU_DEP_1) | instskip(NEXT) | instid1(VALU_DEP_1)
	v_add_f32_e32 v11, v12, v8
	v_add_f32_e32 v12, v13, v11
	s_delay_alu instid0(VALU_DEP_1) | instskip(NEXT) | instid1(VALU_DEP_1)
	v_add_f32_e32 v13, v14, v12
	v_add_f32_e32 v14, v15, v13
	s_delay_alu instid0(VALU_DEP_1) | instskip(NEXT) | instid1(VALU_DEP_1)
	v_add_f32_e32 v15, v16, v14
	v_add_f32_e32 v9, v9, v15
	s_delay_alu instid0(VALU_DEP_1)
	v_add_f32_e32 v10, v10, v9
	ds_store_2addr_b32 v35, v0, v7 offset1:1
	ds_store_2addr_b32 v35, v5, v6 offset0:2 offset1:3
	ds_store_2addr_b32 v35, v3, v4 offset0:4 offset1:5
	;; [unrolled: 1-line block ×7, first 2 shown]
	s_waitcnt lgkmcnt(0)
	s_barrier
	buffer_gl0_inv
	ds_load_b32 v16, v18 offset:256
	ds_load_b32 v15, v21 offset:512
	;; [unrolled: 1-line block ×15, first 2 shown]
	v_add_co_u32 v0, s0, s0, v19
	s_delay_alu instid0(VALU_DEP_1)
	v_add_co_ci_u32_e64 v1, null, s1, 0, s0
	s_and_saveexec_b32 s0, vcc_lo
	s_cbranch_execnz .LBB73_55
; %bb.39:
	s_or_b32 exec_lo, exec_lo, s0
	s_and_saveexec_b32 s0, s2
	s_cbranch_execnz .LBB73_56
.LBB73_40:
	s_or_b32 exec_lo, exec_lo, s0
	s_and_saveexec_b32 s0, s3
	s_cbranch_execnz .LBB73_57
.LBB73_41:
	s_or_b32 exec_lo, exec_lo, s0
	s_and_saveexec_b32 s0, s4
	s_cbranch_execnz .LBB73_58
.LBB73_42:
	s_or_b32 exec_lo, exec_lo, s0
	s_and_saveexec_b32 s0, s5
	s_cbranch_execnz .LBB73_59
.LBB73_43:
	s_or_b32 exec_lo, exec_lo, s0
	s_and_saveexec_b32 s0, s6
	s_cbranch_execnz .LBB73_60
.LBB73_44:
	s_or_b32 exec_lo, exec_lo, s0
	s_and_saveexec_b32 s0, s7
	s_cbranch_execnz .LBB73_61
.LBB73_45:
	s_or_b32 exec_lo, exec_lo, s0
	s_and_saveexec_b32 s0, s8
	s_cbranch_execnz .LBB73_62
.LBB73_46:
	s_or_b32 exec_lo, exec_lo, s0
	s_and_saveexec_b32 s0, s9
	s_cbranch_execnz .LBB73_63
.LBB73_47:
	s_or_b32 exec_lo, exec_lo, s0
	s_and_saveexec_b32 s0, s10
	s_cbranch_execnz .LBB73_64
.LBB73_48:
	s_or_b32 exec_lo, exec_lo, s0
	s_and_saveexec_b32 s0, s11
	s_cbranch_execnz .LBB73_65
.LBB73_49:
	s_or_b32 exec_lo, exec_lo, s0
	s_and_saveexec_b32 s0, s12
	s_cbranch_execnz .LBB73_66
.LBB73_50:
	s_or_b32 exec_lo, exec_lo, s0
	s_and_saveexec_b32 s0, s13
	s_cbranch_execnz .LBB73_67
.LBB73_51:
	s_or_b32 exec_lo, exec_lo, s0
	s_and_saveexec_b32 s0, s14
	s_cbranch_execnz .LBB73_68
.LBB73_52:
	s_or_b32 exec_lo, exec_lo, s0
	s_and_saveexec_b32 s0, s15
	s_cbranch_execnz .LBB73_69
.LBB73_53:
	s_or_b32 exec_lo, exec_lo, s0
	s_and_saveexec_b32 s0, s16
	s_cbranch_execnz .LBB73_70
.LBB73_54:
	s_nop 0
	s_sendmsg sendmsg(MSG_DEALLOC_VGPRS)
	s_endpgm
.LBB73_55:
	ds_load_b32 v17, v17
	s_waitcnt lgkmcnt(0)
	global_store_b32 v[0:1], v17, off
	s_or_b32 exec_lo, exec_lo, s0
	s_and_saveexec_b32 s0, s2
	s_cbranch_execz .LBB73_40
.LBB73_56:
	s_waitcnt lgkmcnt(14)
	global_store_b32 v[0:1], v16, off offset:256
	s_or_b32 exec_lo, exec_lo, s0
	s_and_saveexec_b32 s0, s3
	s_cbranch_execz .LBB73_41
.LBB73_57:
	s_waitcnt lgkmcnt(13)
	global_store_b32 v[0:1], v15, off offset:512
	s_or_b32 exec_lo, exec_lo, s0
	s_and_saveexec_b32 s0, s4
	s_cbranch_execz .LBB73_42
.LBB73_58:
	s_waitcnt lgkmcnt(12)
	global_store_b32 v[0:1], v14, off offset:768
	s_or_b32 exec_lo, exec_lo, s0
	s_and_saveexec_b32 s0, s5
	s_cbranch_execz .LBB73_43
.LBB73_59:
	s_waitcnt lgkmcnt(11)
	global_store_b32 v[0:1], v13, off offset:1024
	s_or_b32 exec_lo, exec_lo, s0
	s_and_saveexec_b32 s0, s6
	s_cbranch_execz .LBB73_44
.LBB73_60:
	s_waitcnt lgkmcnt(10)
	global_store_b32 v[0:1], v12, off offset:1280
	s_or_b32 exec_lo, exec_lo, s0
	s_and_saveexec_b32 s0, s7
	s_cbranch_execz .LBB73_45
.LBB73_61:
	s_waitcnt lgkmcnt(9)
	global_store_b32 v[0:1], v11, off offset:1536
	s_or_b32 exec_lo, exec_lo, s0
	s_and_saveexec_b32 s0, s8
	s_cbranch_execz .LBB73_46
.LBB73_62:
	s_waitcnt lgkmcnt(8)
	global_store_b32 v[0:1], v10, off offset:1792
	s_or_b32 exec_lo, exec_lo, s0
	s_and_saveexec_b32 s0, s9
	s_cbranch_execz .LBB73_47
.LBB73_63:
	s_waitcnt lgkmcnt(7)
	global_store_b32 v[0:1], v9, off offset:2048
	s_or_b32 exec_lo, exec_lo, s0
	s_and_saveexec_b32 s0, s10
	s_cbranch_execz .LBB73_48
.LBB73_64:
	s_waitcnt lgkmcnt(6)
	global_store_b32 v[0:1], v8, off offset:2304
	s_or_b32 exec_lo, exec_lo, s0
	s_and_saveexec_b32 s0, s11
	s_cbranch_execz .LBB73_49
.LBB73_65:
	s_waitcnt lgkmcnt(5)
	global_store_b32 v[0:1], v7, off offset:2560
	s_or_b32 exec_lo, exec_lo, s0
	s_and_saveexec_b32 s0, s12
	s_cbranch_execz .LBB73_50
.LBB73_66:
	s_waitcnt lgkmcnt(4)
	global_store_b32 v[0:1], v6, off offset:2816
	s_or_b32 exec_lo, exec_lo, s0
	s_and_saveexec_b32 s0, s13
	s_cbranch_execz .LBB73_51
.LBB73_67:
	s_waitcnt lgkmcnt(3)
	global_store_b32 v[0:1], v5, off offset:3072
	s_or_b32 exec_lo, exec_lo, s0
	s_and_saveexec_b32 s0, s14
	s_cbranch_execz .LBB73_52
.LBB73_68:
	s_waitcnt lgkmcnt(2)
	global_store_b32 v[0:1], v4, off offset:3328
	s_or_b32 exec_lo, exec_lo, s0
	s_and_saveexec_b32 s0, s15
	s_cbranch_execz .LBB73_53
.LBB73_69:
	s_waitcnt lgkmcnt(1)
	global_store_b32 v[0:1], v3, off offset:3584
	s_or_b32 exec_lo, exec_lo, s0
	s_and_saveexec_b32 s0, s16
	s_cbranch_execz .LBB73_54
.LBB73_70:
	s_waitcnt lgkmcnt(0)
	global_store_b32 v[0:1], v2, off offset:3840
	s_nop 0
	s_sendmsg sendmsg(MSG_DEALLOC_VGPRS)
	s_endpgm
	.section	.rodata,"a",@progbits
	.p2align	6, 0x0
	.amdhsa_kernel _ZN7rocprim17ROCPRIM_304000_NS6detail18single_scan_kernelILb0ENS1_19wrapped_scan_configINS0_14default_configEfEEPKfPfSt4plusIfEffEEvT1_mT4_T2_T3_
		.amdhsa_group_segment_fixed_size 4224
		.amdhsa_private_segment_fixed_size 0
		.amdhsa_kernarg_size 36
		.amdhsa_user_sgpr_count 15
		.amdhsa_user_sgpr_dispatch_ptr 0
		.amdhsa_user_sgpr_queue_ptr 0
		.amdhsa_user_sgpr_kernarg_segment_ptr 1
		.amdhsa_user_sgpr_dispatch_id 0
		.amdhsa_user_sgpr_private_segment_size 0
		.amdhsa_wavefront_size32 1
		.amdhsa_uses_dynamic_stack 0
		.amdhsa_enable_private_segment 0
		.amdhsa_system_sgpr_workgroup_id_x 1
		.amdhsa_system_sgpr_workgroup_id_y 0
		.amdhsa_system_sgpr_workgroup_id_z 0
		.amdhsa_system_sgpr_workgroup_info 0
		.amdhsa_system_vgpr_workitem_id 0
		.amdhsa_next_free_vgpr 41
		.amdhsa_next_free_sgpr 24
		.amdhsa_reserve_vcc 1
		.amdhsa_float_round_mode_32 0
		.amdhsa_float_round_mode_16_64 0
		.amdhsa_float_denorm_mode_32 3
		.amdhsa_float_denorm_mode_16_64 3
		.amdhsa_dx10_clamp 1
		.amdhsa_ieee_mode 1
		.amdhsa_fp16_overflow 0
		.amdhsa_workgroup_processor_mode 1
		.amdhsa_memory_ordered 1
		.amdhsa_forward_progress 0
		.amdhsa_shared_vgpr_count 0
		.amdhsa_exception_fp_ieee_invalid_op 0
		.amdhsa_exception_fp_denorm_src 0
		.amdhsa_exception_fp_ieee_div_zero 0
		.amdhsa_exception_fp_ieee_overflow 0
		.amdhsa_exception_fp_ieee_underflow 0
		.amdhsa_exception_fp_ieee_inexact 0
		.amdhsa_exception_int_div_zero 0
	.end_amdhsa_kernel
	.section	.text._ZN7rocprim17ROCPRIM_304000_NS6detail18single_scan_kernelILb0ENS1_19wrapped_scan_configINS0_14default_configEfEEPKfPfSt4plusIfEffEEvT1_mT4_T2_T3_,"axG",@progbits,_ZN7rocprim17ROCPRIM_304000_NS6detail18single_scan_kernelILb0ENS1_19wrapped_scan_configINS0_14default_configEfEEPKfPfSt4plusIfEffEEvT1_mT4_T2_T3_,comdat
.Lfunc_end73:
	.size	_ZN7rocprim17ROCPRIM_304000_NS6detail18single_scan_kernelILb0ENS1_19wrapped_scan_configINS0_14default_configEfEEPKfPfSt4plusIfEffEEvT1_mT4_T2_T3_, .Lfunc_end73-_ZN7rocprim17ROCPRIM_304000_NS6detail18single_scan_kernelILb0ENS1_19wrapped_scan_configINS0_14default_configEfEEPKfPfSt4plusIfEffEEvT1_mT4_T2_T3_
                                        ; -- End function
	.section	.AMDGPU.csdata,"",@progbits
; Kernel info:
; codeLenInByte = 2808
; NumSgprs: 26
; NumVgprs: 41
; ScratchSize: 0
; MemoryBound: 0
; FloatMode: 240
; IeeeMode: 1
; LDSByteSize: 4224 bytes/workgroup (compile time only)
; SGPRBlocks: 3
; VGPRBlocks: 5
; NumSGPRsForWavesPerEU: 26
; NumVGPRsForWavesPerEU: 41
; Occupancy: 16
; WaveLimiterHint : 0
; COMPUTE_PGM_RSRC2:SCRATCH_EN: 0
; COMPUTE_PGM_RSRC2:USER_SGPR: 15
; COMPUTE_PGM_RSRC2:TRAP_HANDLER: 0
; COMPUTE_PGM_RSRC2:TGID_X_EN: 1
; COMPUTE_PGM_RSRC2:TGID_Y_EN: 0
; COMPUTE_PGM_RSRC2:TGID_Z_EN: 0
; COMPUTE_PGM_RSRC2:TIDIG_COMP_CNT: 0
	.section	.text._ZN2at6native32tensor_kernel_scan_innermost_dimIfSt4plusIfEEEvPT_PKS4_jjjS4_T0_,"axG",@progbits,_ZN2at6native32tensor_kernel_scan_innermost_dimIfSt4plusIfEEEvPT_PKS4_jjjS4_T0_,comdat
	.protected	_ZN2at6native32tensor_kernel_scan_innermost_dimIfSt4plusIfEEEvPT_PKS4_jjjS4_T0_ ; -- Begin function _ZN2at6native32tensor_kernel_scan_innermost_dimIfSt4plusIfEEEvPT_PKS4_jjjS4_T0_
	.globl	_ZN2at6native32tensor_kernel_scan_innermost_dimIfSt4plusIfEEEvPT_PKS4_jjjS4_T0_
	.p2align	8
	.type	_ZN2at6native32tensor_kernel_scan_innermost_dimIfSt4plusIfEEEvPT_PKS4_jjjS4_T0_,@function
_ZN2at6native32tensor_kernel_scan_innermost_dimIfSt4plusIfEEEvPT_PKS4_jjjS4_T0_: ; @_ZN2at6native32tensor_kernel_scan_innermost_dimIfSt4plusIfEEEvPT_PKS4_jjjS4_T0_
; %bb.0:
	s_load_b256 s[16:23], s[0:1], 0x0
	v_bfe_u32 v9, v0, 10, 10
	s_waitcnt lgkmcnt(0)
	s_lshl_b32 s5, 2, s22
	s_mul_hi_u32 s2, s20, s21
	s_delay_alu instid0(VALU_DEP_1) | instskip(SKIP_3) | instid1(VALU_DEP_1)
	v_mul_lo_u32 v1, s5, v9
	s_mov_b32 s6, s20
	s_cmp_lg_u32 s2, 0
	s_mov_b32 s2, -1
	v_lshl_add_u32 v10, v1, 2, 0
	s_cbranch_scc1 .LBB74_26
; %bb.1:
	s_load_b32 s4, s[0:1], 0x34
	s_add_u32 s2, s0, 40
	s_addc_u32 s3, s1, 0
	s_waitcnt lgkmcnt(0)
	s_lshr_b32 s4, s4, 16
	s_delay_alu instid0(SALU_CYCLE_1) | instskip(NEXT) | instid1(SALU_CYCLE_1)
	s_mul_i32 s7, s15, s4
	s_cmp_ge_u32 s7, s20
	s_cbranch_scc1 .LBB74_25
; %bb.2:
	s_load_b32 s10, s[2:3], 0x0
	v_dual_mov_b32 v2, 0 :: v_dual_and_b32 v5, 0x3ff, v0
	v_add_nc_u32_e32 v6, -4, v10
	s_lshl_b32 s8, 1, s22
	s_cmp_lg_u32 s21, 0
	s_delay_alu instid0(VALU_DEP_2)
	v_lshl_add_u32 v7, v5, 2, v10
	v_cmp_eq_u32_e64 s2, 0, v5
	v_lshl_add_u32 v8, s5, 2, v6
	s_cselect_b32 s9, -1, 0
	s_add_i32 s11, s22, 1
	v_lshl_add_u32 v11, s8, 2, v7
	s_waitcnt lgkmcnt(0)
	s_mul_i32 s10, s10, s4
	s_branch .LBB74_4
.LBB74_3:                               ;   in Loop: Header=BB74_4 Depth=1
	s_add_i32 s7, s7, s10
	s_delay_alu instid0(SALU_CYCLE_1)
	s_cmp_ge_u32 s7, s20
	s_cbranch_scc1 .LBB74_25
.LBB74_4:                               ; =>This Loop Header: Depth=1
                                        ;     Child Loop BB74_7 Depth 2
                                        ;       Child Loop BB74_16 Depth 3
	s_and_not1_b32 vcc_lo, exec_lo, s9
	s_cbranch_vccnz .LBB74_3
; %bb.5:                                ;   in Loop: Header=BB74_4 Depth=1
	v_add_nc_u32_e32 v12, s7, v9
	v_mov_b32_e32 v16, s23
	s_mov_b32 s12, 0
	s_delay_alu instid0(VALU_DEP_2) | instskip(SKIP_2) | instid1(VALU_DEP_3)
	v_mul_lo_u32 v1, v12, s21
	v_cmp_gt_u32_e32 vcc_lo, s20, v12
	v_cmp_le_u32_e64 s3, s20, v12
	v_lshlrev_b64 v[3:4], 2, v[1:2]
	s_delay_alu instid0(VALU_DEP_1) | instskip(NEXT) | instid1(VALU_DEP_1)
	v_add_co_u32 v12, s4, s18, v3
	v_add_co_ci_u32_e64 v13, s4, s19, v4, s4
	v_add_co_u32 v14, s4, s16, v3
	s_delay_alu instid0(VALU_DEP_1)
	v_add_co_ci_u32_e64 v15, s4, s17, v4, s4
	s_branch .LBB74_7
.LBB74_6:                               ;   in Loop: Header=BB74_7 Depth=2
	s_or_b32 exec_lo, exec_lo, s13
	ds_load_b32 v16, v8
	s_add_i32 s12, s12, s5
	s_waitcnt lgkmcnt(0)
	s_waitcnt_vscnt null, 0x0
	s_cmp_ge_u32 s12, s21
	s_barrier
	buffer_gl0_inv
	s_cbranch_scc1 .LBB74_3
.LBB74_7:                               ;   Parent Loop BB74_4 Depth=1
                                        ; =>  This Loop Header: Depth=2
                                        ;       Child Loop BB74_16 Depth 3
	v_add_nc_u32_e32 v1, s12, v5
	s_delay_alu instid0(VALU_DEP_1)
	v_add_nc_u32_e32 v3, s8, v1
	s_and_saveexec_b32 s13, vcc_lo
	s_cbranch_execz .LBB74_14
; %bb.8:                                ;   in Loop: Header=BB74_7 Depth=2
	v_mov_b32_e32 v4, s23
	s_mov_b32 s14, exec_lo
	v_cmpx_gt_u32_e64 s21, v1
	s_cbranch_execz .LBB74_10
; %bb.9:                                ;   in Loop: Header=BB74_7 Depth=2
	v_lshlrev_b64 v[17:18], 2, v[1:2]
	s_delay_alu instid0(VALU_DEP_1) | instskip(NEXT) | instid1(VALU_DEP_1)
	v_add_co_u32 v17, s4, v12, v17
	v_add_co_ci_u32_e64 v18, s4, v13, v18, s4
	global_load_b32 v4, v[17:18], off
.LBB74_10:                              ;   in Loop: Header=BB74_7 Depth=2
	s_or_b32 exec_lo, exec_lo, s14
	v_mov_b32_e32 v17, s23
	s_mov_b32 s14, exec_lo
	s_waitcnt vmcnt(0)
	ds_store_b32 v7, v4
	v_cmpx_gt_u32_e64 s21, v3
	s_cbranch_execz .LBB74_12
; %bb.11:                               ;   in Loop: Header=BB74_7 Depth=2
	v_mov_b32_e32 v4, v2
	s_delay_alu instid0(VALU_DEP_1) | instskip(NEXT) | instid1(VALU_DEP_1)
	v_lshlrev_b64 v[17:18], 2, v[3:4]
	v_add_co_u32 v17, s4, v12, v17
	s_delay_alu instid0(VALU_DEP_1)
	v_add_co_ci_u32_e64 v18, s4, v13, v18, s4
	global_load_b32 v17, v[17:18], off
.LBB74_12:                              ;   in Loop: Header=BB74_7 Depth=2
	s_or_b32 exec_lo, exec_lo, s14
	s_waitcnt vmcnt(0)
	ds_store_b32 v11, v17
	s_and_b32 exec_lo, exec_lo, s2
	s_cbranch_execz .LBB74_14
; %bb.13:                               ;   in Loop: Header=BB74_7 Depth=2
	ds_load_b32 v4, v10
	s_waitcnt lgkmcnt(0)
	v_add_f32_e32 v4, v16, v4
	ds_store_b32 v10, v4
.LBB74_14:                              ;   in Loop: Header=BB74_7 Depth=2
	s_or_b32 exec_lo, exec_lo, s13
	v_mov_b32_e32 v4, 0
	s_mov_b32 s13, 0
	s_waitcnt lgkmcnt(0)
	s_barrier
	buffer_gl0_inv
	s_set_inst_prefetch_distance 0x1
	s_branch .LBB74_16
	.p2align	6
.LBB74_15:                              ;   in Loop: Header=BB74_16 Depth=3
	s_or_b32 exec_lo, exec_lo, s4
	s_delay_alu instid0(VALU_DEP_1) | instskip(SKIP_4) | instid1(SALU_CYCLE_1)
	v_cmp_eq_u32_e64 s4, s11, v4
	s_waitcnt lgkmcnt(0)
	s_barrier
	buffer_gl0_inv
	s_or_b32 s13, s4, s13
	s_and_not1_b32 exec_lo, exec_lo, s13
	s_cbranch_execz .LBB74_20
.LBB74_16:                              ;   Parent Loop BB74_4 Depth=1
                                        ;     Parent Loop BB74_7 Depth=2
                                        ; =>    This Inner Loop Header: Depth=3
	v_add_nc_u32_e32 v16, 1, v4
	s_and_saveexec_b32 s4, s3
	s_delay_alu instid0(SALU_CYCLE_1)
	s_xor_b32 s4, exec_lo, s4
; %bb.17:                               ;   in Loop: Header=BB74_16 Depth=3
	v_add_nc_u32_e32 v4, 1, v4
                                        ; implicit-def: $vgpr16
; %bb.18:                               ;   in Loop: Header=BB74_16 Depth=3
	s_and_not1_saveexec_b32 s4, s4
	s_cbranch_execz .LBB74_15
; %bb.19:                               ;   in Loop: Header=BB74_16 Depth=3
	s_delay_alu instid0(VALU_DEP_1) | instskip(SKIP_2) | instid1(VALU_DEP_2)
	v_lshlrev_b32_e64 v17, v4, 1
	v_lshrrev_b32_e32 v18, v4, v5
	v_bfm_b32 v4, v4, 0
	v_lshl_or_b32 v17, v18, v16, v17
	s_delay_alu instid0(VALU_DEP_2) | instskip(NEXT) | instid1(VALU_DEP_2)
	v_and_b32_e32 v4, v4, v5
	v_lshlrev_b32_e32 v17, 2, v17
	s_delay_alu instid0(VALU_DEP_2) | instskip(NEXT) | instid1(VALU_DEP_1)
	v_lshlrev_b32_e32 v4, 2, v4
	v_add3_u32 v18, v10, v17, v4
	v_add_nc_u32_e32 v4, v6, v17
	ds_load_b32 v17, v18
	ds_load_b32 v4, v4
	s_waitcnt lgkmcnt(0)
	v_dual_add_f32 v17, v17, v4 :: v_dual_mov_b32 v4, v16
	ds_store_b32 v18, v17
	s_branch .LBB74_15
.LBB74_20:                              ;   in Loop: Header=BB74_7 Depth=2
	s_set_inst_prefetch_distance 0x2
	s_or_b32 exec_lo, exec_lo, s13
	s_and_saveexec_b32 s13, vcc_lo
	s_cbranch_execz .LBB74_6
; %bb.21:                               ;   in Loop: Header=BB74_7 Depth=2
	s_mov_b32 s14, exec_lo
	v_cmpx_gt_u32_e64 s21, v1
	s_cbranch_execz .LBB74_23
; %bb.22:                               ;   in Loop: Header=BB74_7 Depth=2
	ds_load_b32 v4, v7
	v_lshlrev_b64 v[16:17], 2, v[1:2]
	s_delay_alu instid0(VALU_DEP_1) | instskip(NEXT) | instid1(VALU_DEP_1)
	v_add_co_u32 v16, s4, v14, v16
	v_add_co_ci_u32_e64 v17, s4, v15, v17, s4
	s_waitcnt lgkmcnt(0)
	global_store_b32 v[16:17], v4, off
.LBB74_23:                              ;   in Loop: Header=BB74_7 Depth=2
	s_or_b32 exec_lo, exec_lo, s14
	v_cmp_gt_u32_e64 s4, s21, v3
	s_delay_alu instid0(VALU_DEP_1)
	s_and_b32 exec_lo, exec_lo, s4
	s_cbranch_execz .LBB74_6
; %bb.24:                               ;   in Loop: Header=BB74_7 Depth=2
	ds_load_b32 v1, v11
	v_mov_b32_e32 v4, v2
	s_delay_alu instid0(VALU_DEP_1) | instskip(NEXT) | instid1(VALU_DEP_1)
	v_lshlrev_b64 v[3:4], 2, v[3:4]
	v_add_co_u32 v3, s4, v14, v3
	s_delay_alu instid0(VALU_DEP_1)
	v_add_co_ci_u32_e64 v4, s4, v15, v4, s4
	s_waitcnt lgkmcnt(0)
	global_store_b32 v[3:4], v1, off
	s_branch .LBB74_6
.LBB74_25:
	s_mov_b32 s2, 0
.LBB74_26:
	s_delay_alu instid0(SALU_CYCLE_1)
	s_and_not1_b32 vcc_lo, exec_lo, s2
	s_cbranch_vccnz .LBB74_53
; %bb.27:
	s_load_b32 s2, s[0:1], 0x34
	s_add_u32 s0, s0, 40
	s_addc_u32 s1, s1, 0
	s_mov_b32 s7, 0
	s_waitcnt lgkmcnt(0)
	s_lshr_b32 s2, s2, 16
	s_delay_alu instid0(SALU_CYCLE_1) | instskip(SKIP_1) | instid1(SALU_CYCLE_1)
	s_mul_hi_u32 s5, s2, s15
	s_mul_i32 s4, s2, s15
	v_cmp_ge_u64_e64 s3, s[4:5], s[6:7]
	s_delay_alu instid0(VALU_DEP_1)
	s_and_b32 vcc_lo, exec_lo, s3
	s_cbranch_vccnz .LBB74_53
; %bb.28:
	s_load_b32 s1, s[0:1], 0x0
	v_dual_mov_b32 v1, 0 :: v_dual_and_b32 v0, 0x3ff, v0
	s_lshl_b32 s8, 1, s22
	s_and_b32 s2, 0xffff, s2
	s_ashr_i32 s9, s8, 31
	s_cmp_lg_u32 s21, 0
	v_lshl_add_u32 v11, v0, 2, v10
	s_cselect_b32 s3, -1, 0
	s_lshl_b64 s[12:13], s[8:9], 1
	v_cmp_eq_u32_e64 s0, 0, v0
	s_lshl_b32 s11, s12, 2
	v_lshl_add_u32 v13, s8, 2, v11
	v_add3_u32 v12, v10, s11, -4
	s_mov_b32 s10, s21
	s_mov_b32 s11, s7
	s_add_i32 s21, s22, 1
	s_waitcnt lgkmcnt(0)
	s_mul_i32 s20, s1, s2
	s_branch .LBB74_30
.LBB74_29:                              ;   in Loop: Header=BB74_30 Depth=1
	s_add_u32 s4, s4, s20
	s_addc_u32 s5, s5, 0
	s_delay_alu instid0(SALU_CYCLE_1) | instskip(NEXT) | instid1(VALU_DEP_1)
	v_cmp_ge_u64_e64 s1, s[4:5], s[6:7]
	s_and_b32 vcc_lo, exec_lo, s1
	s_cbranch_vccnz .LBB74_53
.LBB74_30:                              ; =>This Loop Header: Depth=1
                                        ;     Child Loop BB74_33 Depth 2
                                        ;       Child Loop BB74_43 Depth 3
	s_and_not1_b32 vcc_lo, exec_lo, s3
	s_cbranch_vccnz .LBB74_29
; %bb.31:                               ;   in Loop: Header=BB74_30 Depth=1
	v_add_co_u32 v2, s1, s4, v9
	s_delay_alu instid0(VALU_DEP_1) | instskip(SKIP_1) | instid1(VALU_DEP_2)
	v_add_co_ci_u32_e64 v3, null, s5, 0, s1
	s_mov_b64 s[14:15], 0
	v_mad_u64_u32 v[4:5], null, v2, s10, 0
	s_delay_alu instid0(VALU_DEP_2) | instskip(SKIP_1) | instid1(VALU_DEP_3)
	v_cmp_gt_u64_e64 s1, s[6:7], v[2:3]
	v_cmp_le_u64_e64 s2, s[6:7], v[2:3]
	v_mad_u64_u32 v[6:7], null, v3, s10, v[5:6]
	s_delay_alu instid0(VALU_DEP_1) | instskip(NEXT) | instid1(VALU_DEP_1)
	v_dual_mov_b32 v5, v6 :: v_dual_mov_b32 v6, s23
	v_lshlrev_b64 v[4:5], 2, v[4:5]
	s_delay_alu instid0(VALU_DEP_1) | instskip(NEXT) | instid1(VALU_DEP_2)
	v_add_co_u32 v14, vcc_lo, s18, v4
	v_add_co_ci_u32_e32 v15, vcc_lo, s19, v5, vcc_lo
	v_add_co_u32 v16, vcc_lo, s16, v4
	v_add_co_ci_u32_e32 v17, vcc_lo, s17, v5, vcc_lo
	s_branch .LBB74_33
.LBB74_32:                              ;   in Loop: Header=BB74_33 Depth=2
	s_or_b32 exec_lo, exec_lo, s22
	ds_load_b32 v6, v12
	s_add_u32 s14, s14, s12
	s_addc_u32 s15, s15, s13
	s_waitcnt lgkmcnt(0)
	s_waitcnt_vscnt null, 0x0
	v_cmp_ge_u64_e64 s22, s[14:15], s[10:11]
	s_barrier
	buffer_gl0_inv
	s_and_b32 vcc_lo, exec_lo, s22
	s_cbranch_vccnz .LBB74_29
.LBB74_33:                              ;   Parent Loop BB74_30 Depth=1
                                        ; =>  This Loop Header: Depth=2
                                        ;       Child Loop BB74_43 Depth 3
	v_add_co_u32 v4, s22, s14, v0
	s_delay_alu instid0(VALU_DEP_1) | instskip(NEXT) | instid1(VALU_DEP_2)
	v_add_co_ci_u32_e64 v5, null, s15, 0, s22
	v_add_co_u32 v2, vcc_lo, v4, s8
	s_delay_alu instid0(VALU_DEP_2)
	v_add_co_ci_u32_e32 v3, vcc_lo, s9, v5, vcc_lo
	s_and_saveexec_b32 s22, s1
	s_cbranch_execz .LBB74_40
; %bb.34:                               ;   in Loop: Header=BB74_33 Depth=2
	v_mov_b32_e32 v7, s23
	s_mov_b32 s24, exec_lo
	v_cmpx_gt_u64_e64 s[10:11], v[4:5]
	s_cbranch_execz .LBB74_36
; %bb.35:                               ;   in Loop: Header=BB74_33 Depth=2
	v_lshlrev_b64 v[7:8], 2, v[4:5]
	s_delay_alu instid0(VALU_DEP_1) | instskip(NEXT) | instid1(VALU_DEP_2)
	v_add_co_u32 v7, vcc_lo, v14, v7
	v_add_co_ci_u32_e32 v8, vcc_lo, v15, v8, vcc_lo
	global_load_b32 v7, v[7:8], off
.LBB74_36:                              ;   in Loop: Header=BB74_33 Depth=2
	s_or_b32 exec_lo, exec_lo, s24
	v_mov_b32_e32 v8, s23
	s_mov_b32 s24, exec_lo
	s_waitcnt vmcnt(0)
	ds_store_b32 v11, v7
	v_cmpx_gt_u64_e64 s[10:11], v[2:3]
	s_cbranch_execz .LBB74_38
; %bb.37:                               ;   in Loop: Header=BB74_33 Depth=2
	v_lshlrev_b64 v[7:8], 2, v[2:3]
	s_delay_alu instid0(VALU_DEP_1) | instskip(NEXT) | instid1(VALU_DEP_2)
	v_add_co_u32 v7, vcc_lo, v14, v7
	v_add_co_ci_u32_e32 v8, vcc_lo, v15, v8, vcc_lo
	global_load_b32 v8, v[7:8], off
.LBB74_38:                              ;   in Loop: Header=BB74_33 Depth=2
	s_or_b32 exec_lo, exec_lo, s24
	s_waitcnt vmcnt(0)
	ds_store_b32 v13, v8
	s_and_b32 exec_lo, exec_lo, s0
	s_cbranch_execz .LBB74_40
; %bb.39:                               ;   in Loop: Header=BB74_33 Depth=2
	ds_load_b32 v7, v10
	s_waitcnt lgkmcnt(0)
	v_add_f32_e32 v6, v6, v7
	ds_store_b32 v10, v6
.LBB74_40:                              ;   in Loop: Header=BB74_33 Depth=2
	s_or_b32 exec_lo, exec_lo, s22
	v_mov_b32_e32 v19, 0
	s_mov_b32 s22, 0
	s_waitcnt lgkmcnt(0)
	s_barrier
	buffer_gl0_inv
	s_branch .LBB74_43
.LBB74_41:                              ;   in Loop: Header=BB74_43 Depth=3
	s_or_b32 exec_lo, exec_lo, s25
	v_lshrrev_b32_e32 v8, v19, v0
	s_delay_alu instid0(VALU_DEP_1) | instskip(NEXT) | instid1(VALU_DEP_1)
	v_lshl_or_b32 v6, v8, v18, v6
	v_lshl_add_u32 v6, v6, 2, v10
	s_delay_alu instid0(VALU_DEP_1)
	v_lshl_add_u32 v7, v7, 2, v6
	v_add_nc_u32_e32 v6, -4, v6
	ds_load_b32 v8, v7
	ds_load_b32 v6, v6
	s_waitcnt lgkmcnt(0)
	v_add_f32_e32 v6, v8, v6
	ds_store_b32 v7, v6
.LBB74_42:                              ;   in Loop: Header=BB74_43 Depth=3
	s_or_b32 exec_lo, exec_lo, s24
	s_delay_alu instid0(VALU_DEP_1)
	v_cmp_eq_u32_e32 vcc_lo, s21, v18
	v_mov_b32_e32 v19, v18
	s_waitcnt lgkmcnt(0)
	s_barrier
	buffer_gl0_inv
	s_or_b32 s22, vcc_lo, s22
	s_delay_alu instid0(SALU_CYCLE_1)
	s_and_not1_b32 exec_lo, exec_lo, s22
	s_cbranch_execz .LBB74_48
.LBB74_43:                              ;   Parent Loop BB74_30 Depth=1
                                        ;     Parent Loop BB74_33 Depth=2
                                        ; =>    This Inner Loop Header: Depth=3
	v_add_nc_u32_e32 v18, 1, v19
	s_and_saveexec_b32 s24, s2
	s_delay_alu instid0(SALU_CYCLE_1)
	s_xor_b32 s24, exec_lo, s24
; %bb.44:                               ;   in Loop: Header=BB74_43 Depth=3
	v_add_nc_u32_e32 v18, 1, v19
                                        ; implicit-def: $vgpr19
; %bb.45:                               ;   in Loop: Header=BB74_43 Depth=3
	s_and_not1_saveexec_b32 s24, s24
	s_cbranch_execz .LBB74_42
; %bb.46:                               ;   in Loop: Header=BB74_43 Depth=3
	v_lshlrev_b32_e64 v6, v19, 1
	s_delay_alu instid0(VALU_DEP_1) | instskip(NEXT) | instid1(VALU_DEP_1)
	v_ashrrev_i32_e32 v7, 31, v6
	v_cmp_ge_u64_e32 vcc_lo, v[0:1], v[6:7]
	v_dual_mov_b32 v8, v1 :: v_dual_mov_b32 v7, v0
	s_and_saveexec_b32 s25, vcc_lo
	s_cbranch_execz .LBB74_41
; %bb.47:                               ;   in Loop: Header=BB74_43 Depth=3
	v_cvt_f32_u32_e32 v7, v6
	v_sub_nc_u32_e32 v8, 0, v6
	s_delay_alu instid0(VALU_DEP_2) | instskip(SKIP_2) | instid1(VALU_DEP_1)
	v_rcp_iflag_f32_e32 v7, v7
	s_waitcnt_depctr 0xfff
	v_mul_f32_e32 v7, 0x4f7ffffe, v7
	v_cvt_u32_f32_e32 v7, v7
	s_delay_alu instid0(VALU_DEP_1) | instskip(NEXT) | instid1(VALU_DEP_1)
	v_mul_lo_u32 v8, v8, v7
	v_mul_hi_u32 v8, v7, v8
	s_delay_alu instid0(VALU_DEP_1) | instskip(NEXT) | instid1(VALU_DEP_1)
	v_add_nc_u32_e32 v7, v7, v8
	v_mul_hi_u32 v7, v0, v7
	s_delay_alu instid0(VALU_DEP_1) | instskip(NEXT) | instid1(VALU_DEP_1)
	v_mul_lo_u32 v7, v7, v6
	v_sub_nc_u32_e32 v7, v0, v7
	s_delay_alu instid0(VALU_DEP_1) | instskip(SKIP_1) | instid1(VALU_DEP_2)
	v_sub_nc_u32_e32 v8, v7, v6
	v_cmp_ge_u32_e32 vcc_lo, v7, v6
	v_cndmask_b32_e32 v7, v7, v8, vcc_lo
	s_delay_alu instid0(VALU_DEP_1) | instskip(SKIP_1) | instid1(VALU_DEP_2)
	v_sub_nc_u32_e32 v8, v7, v6
	v_cmp_ge_u32_e32 vcc_lo, v7, v6
	v_cndmask_b32_e32 v7, v7, v8, vcc_lo
	s_branch .LBB74_41
.LBB74_48:                              ;   in Loop: Header=BB74_33 Depth=2
	s_or_b32 exec_lo, exec_lo, s22
	s_and_saveexec_b32 s22, s1
	s_cbranch_execz .LBB74_32
; %bb.49:                               ;   in Loop: Header=BB74_33 Depth=2
	s_mov_b32 s24, exec_lo
	v_cmpx_gt_u64_e64 s[10:11], v[4:5]
	s_cbranch_execz .LBB74_51
; %bb.50:                               ;   in Loop: Header=BB74_33 Depth=2
	ds_load_b32 v6, v11
	v_lshlrev_b64 v[4:5], 2, v[4:5]
	s_delay_alu instid0(VALU_DEP_1) | instskip(NEXT) | instid1(VALU_DEP_2)
	v_add_co_u32 v4, vcc_lo, v16, v4
	v_add_co_ci_u32_e32 v5, vcc_lo, v17, v5, vcc_lo
	s_waitcnt lgkmcnt(0)
	global_store_b32 v[4:5], v6, off
.LBB74_51:                              ;   in Loop: Header=BB74_33 Depth=2
	s_or_b32 exec_lo, exec_lo, s24
	v_cmp_gt_u64_e32 vcc_lo, s[10:11], v[2:3]
	s_and_b32 exec_lo, exec_lo, vcc_lo
	s_cbranch_execz .LBB74_32
; %bb.52:                               ;   in Loop: Header=BB74_33 Depth=2
	ds_load_b32 v4, v13
	v_lshlrev_b64 v[2:3], 2, v[2:3]
	s_delay_alu instid0(VALU_DEP_1) | instskip(NEXT) | instid1(VALU_DEP_2)
	v_add_co_u32 v2, vcc_lo, v16, v2
	v_add_co_ci_u32_e32 v3, vcc_lo, v17, v3, vcc_lo
	s_waitcnt lgkmcnt(0)
	global_store_b32 v[2:3], v4, off
	s_branch .LBB74_32
.LBB74_53:
	s_endpgm
	.section	.rodata,"a",@progbits
	.p2align	6, 0x0
	.amdhsa_kernel _ZN2at6native32tensor_kernel_scan_innermost_dimIfSt4plusIfEEEvPT_PKS4_jjjS4_T0_
		.amdhsa_group_segment_fixed_size 0
		.amdhsa_private_segment_fixed_size 0
		.amdhsa_kernarg_size 296
		.amdhsa_user_sgpr_count 15
		.amdhsa_user_sgpr_dispatch_ptr 0
		.amdhsa_user_sgpr_queue_ptr 0
		.amdhsa_user_sgpr_kernarg_segment_ptr 1
		.amdhsa_user_sgpr_dispatch_id 0
		.amdhsa_user_sgpr_private_segment_size 0
		.amdhsa_wavefront_size32 1
		.amdhsa_uses_dynamic_stack 0
		.amdhsa_enable_private_segment 0
		.amdhsa_system_sgpr_workgroup_id_x 1
		.amdhsa_system_sgpr_workgroup_id_y 0
		.amdhsa_system_sgpr_workgroup_id_z 0
		.amdhsa_system_sgpr_workgroup_info 0
		.amdhsa_system_vgpr_workitem_id 1
		.amdhsa_next_free_vgpr 20
		.amdhsa_next_free_sgpr 26
		.amdhsa_reserve_vcc 1
		.amdhsa_float_round_mode_32 0
		.amdhsa_float_round_mode_16_64 0
		.amdhsa_float_denorm_mode_32 3
		.amdhsa_float_denorm_mode_16_64 3
		.amdhsa_dx10_clamp 1
		.amdhsa_ieee_mode 1
		.amdhsa_fp16_overflow 0
		.amdhsa_workgroup_processor_mode 1
		.amdhsa_memory_ordered 1
		.amdhsa_forward_progress 0
		.amdhsa_shared_vgpr_count 0
		.amdhsa_exception_fp_ieee_invalid_op 0
		.amdhsa_exception_fp_denorm_src 0
		.amdhsa_exception_fp_ieee_div_zero 0
		.amdhsa_exception_fp_ieee_overflow 0
		.amdhsa_exception_fp_ieee_underflow 0
		.amdhsa_exception_fp_ieee_inexact 0
		.amdhsa_exception_int_div_zero 0
	.end_amdhsa_kernel
	.section	.text._ZN2at6native32tensor_kernel_scan_innermost_dimIfSt4plusIfEEEvPT_PKS4_jjjS4_T0_,"axG",@progbits,_ZN2at6native32tensor_kernel_scan_innermost_dimIfSt4plusIfEEEvPT_PKS4_jjjS4_T0_,comdat
.Lfunc_end74:
	.size	_ZN2at6native32tensor_kernel_scan_innermost_dimIfSt4plusIfEEEvPT_PKS4_jjjS4_T0_, .Lfunc_end74-_ZN2at6native32tensor_kernel_scan_innermost_dimIfSt4plusIfEEEvPT_PKS4_jjjS4_T0_
                                        ; -- End function
	.section	.AMDGPU.csdata,"",@progbits
; Kernel info:
; codeLenInByte = 2008
; NumSgprs: 28
; NumVgprs: 20
; ScratchSize: 0
; MemoryBound: 0
; FloatMode: 240
; IeeeMode: 1
; LDSByteSize: 0 bytes/workgroup (compile time only)
; SGPRBlocks: 3
; VGPRBlocks: 2
; NumSGPRsForWavesPerEU: 28
; NumVGPRsForWavesPerEU: 20
; Occupancy: 16
; WaveLimiterHint : 0
; COMPUTE_PGM_RSRC2:SCRATCH_EN: 0
; COMPUTE_PGM_RSRC2:USER_SGPR: 15
; COMPUTE_PGM_RSRC2:TRAP_HANDLER: 0
; COMPUTE_PGM_RSRC2:TGID_X_EN: 1
; COMPUTE_PGM_RSRC2:TGID_Y_EN: 0
; COMPUTE_PGM_RSRC2:TGID_Z_EN: 0
; COMPUTE_PGM_RSRC2:TIDIG_COMP_CNT: 1
	.section	.text._ZN2at6native28tensor_kernel_scan_outer_dimIfjSt4plusIfEEEvPT_PKS4_jjjS4_T1_,"axG",@progbits,_ZN2at6native28tensor_kernel_scan_outer_dimIfjSt4plusIfEEEvPT_PKS4_jjjS4_T1_,comdat
	.protected	_ZN2at6native28tensor_kernel_scan_outer_dimIfjSt4plusIfEEEvPT_PKS4_jjjS4_T1_ ; -- Begin function _ZN2at6native28tensor_kernel_scan_outer_dimIfjSt4plusIfEEEvPT_PKS4_jjjS4_T1_
	.globl	_ZN2at6native28tensor_kernel_scan_outer_dimIfjSt4plusIfEEEvPT_PKS4_jjjS4_T1_
	.p2align	8
	.type	_ZN2at6native28tensor_kernel_scan_outer_dimIfjSt4plusIfEEEvPT_PKS4_jjjS4_T1_,@function
_ZN2at6native28tensor_kernel_scan_outer_dimIfjSt4plusIfEEEvPT_PKS4_jjjS4_T1_: ; @_ZN2at6native28tensor_kernel_scan_outer_dimIfjSt4plusIfEEEvPT_PKS4_jjjS4_T1_
; %bb.0:
	s_load_b128 s[4:7], s[0:1], 0x10
	s_waitcnt lgkmcnt(0)
	s_cmp_ge_u32 s14, s4
	s_cbranch_scc1 .LBB75_9
; %bb.1:
	s_clause 0x2
	s_load_b32 s12, s[0:1], 0x34
	s_load_b32 s20, s[0:1], 0x28
	s_load_b128 s[8:11], s[0:1], 0x0
	s_add_u32 s2, s0, 40
	s_addc_u32 s3, s1, 0
	s_mul_i32 s0, s14, s6
	v_mov_b32_e32 v3, 0
	s_mul_i32 s18, s0, s5
	s_mov_b32 s13, 0
	s_waitcnt lgkmcnt(0)
	s_and_b32 s1, s12, 0xffff
	s_mov_b32 s12, s5
	v_mad_u64_u32 v[1:2], null, s15, s1, v[0:1]
	s_cmp_lg_u32 s6, 0
	s_mul_i32 s21, s20, s6
	s_cselect_b32 s15, -1, 0
	s_mul_i32 s21, s21, s5
	s_lshl_b64 s[16:17], s[12:13], 2
	s_mov_b32 s12, s18
	s_delay_alu instid0(VALU_DEP_1)
	v_cmp_gt_u32_e64 s0, s5, v1
	s_set_inst_prefetch_distance 0x1
	s_branch .LBB75_3
	.p2align	6
.LBB75_2:                               ;   in Loop: Header=BB75_3 Depth=1
	s_or_b32 exec_lo, exec_lo, s22
	s_add_i32 s14, s20, s14
	s_add_i32 s12, s12, s21
	s_cmp_ge_u32 s14, s4
	s_cbranch_scc1 .LBB75_9
.LBB75_3:                               ; =>This Loop Header: Depth=1
                                        ;     Child Loop BB75_6 Depth 2
                                        ;       Child Loop BB75_8 Depth 3
	s_delay_alu instid0(VALU_DEP_1)
	s_and_saveexec_b32 s22, s0
	s_cbranch_execz .LBB75_2
; %bb.4:                                ;   in Loop: Header=BB75_3 Depth=1
	s_load_b32 s23, s[2:3], 0x4
	v_mov_b32_e32 v2, v1
	s_lshl_b64 s[18:19], s[12:13], 2
	s_mov_b32 s24, 0
	s_waitcnt lgkmcnt(0)
	s_mul_i32 s23, s23, s1
	s_branch .LBB75_6
	.p2align	6
.LBB75_5:                               ;   in Loop: Header=BB75_6 Depth=2
	v_add_nc_u32_e32 v2, s23, v2
	s_delay_alu instid0(VALU_DEP_1) | instskip(SKIP_1) | instid1(SALU_CYCLE_1)
	v_cmp_le_u32_e32 vcc_lo, s5, v2
	s_or_b32 s24, vcc_lo, s24
	s_and_not1_b32 exec_lo, exec_lo, s24
	s_cbranch_execz .LBB75_2
.LBB75_6:                               ;   Parent Loop BB75_3 Depth=1
                                        ; =>  This Loop Header: Depth=2
                                        ;       Child Loop BB75_8 Depth 3
	s_and_not1_b32 vcc_lo, exec_lo, s15
	s_cbranch_vccnz .LBB75_5
; %bb.7:                                ;   in Loop: Header=BB75_6 Depth=2
	v_lshlrev_b64 v[4:5], 2, v[2:3]
	s_mov_b32 s25, s6
	s_delay_alu instid0(VALU_DEP_1) | instskip(NEXT) | instid1(VALU_DEP_2)
	v_add_co_u32 v0, vcc_lo, s18, v4
	v_add_co_ci_u32_e32 v4, vcc_lo, s19, v5, vcc_lo
	v_mov_b32_e32 v5, s7
	.p2align	6
.LBB75_8:                               ;   Parent Loop BB75_3 Depth=1
                                        ;     Parent Loop BB75_6 Depth=2
                                        ; =>    This Inner Loop Header: Depth=3
	s_delay_alu instid0(VALU_DEP_3) | instskip(NEXT) | instid1(VALU_DEP_3)
	v_add_co_u32 v6, vcc_lo, s10, v0
	v_add_co_ci_u32_e32 v7, vcc_lo, s11, v4, vcc_lo
	s_add_i32 s25, s25, -1
	s_delay_alu instid0(SALU_CYCLE_1)
	s_cmp_eq_u32 s25, 0
	global_load_b32 v8, v[6:7], off
	v_add_co_u32 v6, vcc_lo, s8, v0
	v_add_co_ci_u32_e32 v7, vcc_lo, s9, v4, vcc_lo
	v_add_co_u32 v0, vcc_lo, v0, s16
	v_add_co_ci_u32_e32 v4, vcc_lo, s17, v4, vcc_lo
	s_waitcnt vmcnt(0)
	v_add_f32_e32 v5, v5, v8
	global_store_b32 v[6:7], v5, off
	s_cbranch_scc0 .LBB75_8
	s_branch .LBB75_5
.LBB75_9:
	s_set_inst_prefetch_distance 0x2
	s_nop 0
	s_sendmsg sendmsg(MSG_DEALLOC_VGPRS)
	s_endpgm
	.section	.rodata,"a",@progbits
	.p2align	6, 0x0
	.amdhsa_kernel _ZN2at6native28tensor_kernel_scan_outer_dimIfjSt4plusIfEEEvPT_PKS4_jjjS4_T1_
		.amdhsa_group_segment_fixed_size 0
		.amdhsa_private_segment_fixed_size 0
		.amdhsa_kernarg_size 296
		.amdhsa_user_sgpr_count 14
		.amdhsa_user_sgpr_dispatch_ptr 0
		.amdhsa_user_sgpr_queue_ptr 0
		.amdhsa_user_sgpr_kernarg_segment_ptr 1
		.amdhsa_user_sgpr_dispatch_id 0
		.amdhsa_user_sgpr_private_segment_size 0
		.amdhsa_wavefront_size32 1
		.amdhsa_uses_dynamic_stack 0
		.amdhsa_enable_private_segment 0
		.amdhsa_system_sgpr_workgroup_id_x 1
		.amdhsa_system_sgpr_workgroup_id_y 1
		.amdhsa_system_sgpr_workgroup_id_z 0
		.amdhsa_system_sgpr_workgroup_info 0
		.amdhsa_system_vgpr_workitem_id 0
		.amdhsa_next_free_vgpr 9
		.amdhsa_next_free_sgpr 26
		.amdhsa_reserve_vcc 1
		.amdhsa_float_round_mode_32 0
		.amdhsa_float_round_mode_16_64 0
		.amdhsa_float_denorm_mode_32 3
		.amdhsa_float_denorm_mode_16_64 3
		.amdhsa_dx10_clamp 1
		.amdhsa_ieee_mode 1
		.amdhsa_fp16_overflow 0
		.amdhsa_workgroup_processor_mode 1
		.amdhsa_memory_ordered 1
		.amdhsa_forward_progress 0
		.amdhsa_shared_vgpr_count 0
		.amdhsa_exception_fp_ieee_invalid_op 0
		.amdhsa_exception_fp_denorm_src 0
		.amdhsa_exception_fp_ieee_div_zero 0
		.amdhsa_exception_fp_ieee_overflow 0
		.amdhsa_exception_fp_ieee_underflow 0
		.amdhsa_exception_fp_ieee_inexact 0
		.amdhsa_exception_int_div_zero 0
	.end_amdhsa_kernel
	.section	.text._ZN2at6native28tensor_kernel_scan_outer_dimIfjSt4plusIfEEEvPT_PKS4_jjjS4_T1_,"axG",@progbits,_ZN2at6native28tensor_kernel_scan_outer_dimIfjSt4plusIfEEEvPT_PKS4_jjjS4_T1_,comdat
.Lfunc_end75:
	.size	_ZN2at6native28tensor_kernel_scan_outer_dimIfjSt4plusIfEEEvPT_PKS4_jjjS4_T1_, .Lfunc_end75-_ZN2at6native28tensor_kernel_scan_outer_dimIfjSt4plusIfEEEvPT_PKS4_jjjS4_T1_
                                        ; -- End function
	.section	.AMDGPU.csdata,"",@progbits
; Kernel info:
; codeLenInByte = 368
; NumSgprs: 28
; NumVgprs: 9
; ScratchSize: 0
; MemoryBound: 0
; FloatMode: 240
; IeeeMode: 1
; LDSByteSize: 0 bytes/workgroup (compile time only)
; SGPRBlocks: 3
; VGPRBlocks: 1
; NumSGPRsForWavesPerEU: 28
; NumVGPRsForWavesPerEU: 9
; Occupancy: 16
; WaveLimiterHint : 0
; COMPUTE_PGM_RSRC2:SCRATCH_EN: 0
; COMPUTE_PGM_RSRC2:USER_SGPR: 14
; COMPUTE_PGM_RSRC2:TRAP_HANDLER: 0
; COMPUTE_PGM_RSRC2:TGID_X_EN: 1
; COMPUTE_PGM_RSRC2:TGID_Y_EN: 1
; COMPUTE_PGM_RSRC2:TGID_Z_EN: 0
; COMPUTE_PGM_RSRC2:TIDIG_COMP_CNT: 0
	.section	.text._ZN2at6native28tensor_kernel_scan_outer_dimIfmSt4plusIfEEEvPT_PKS4_jjjS4_T1_,"axG",@progbits,_ZN2at6native28tensor_kernel_scan_outer_dimIfmSt4plusIfEEEvPT_PKS4_jjjS4_T1_,comdat
	.protected	_ZN2at6native28tensor_kernel_scan_outer_dimIfmSt4plusIfEEEvPT_PKS4_jjjS4_T1_ ; -- Begin function _ZN2at6native28tensor_kernel_scan_outer_dimIfmSt4plusIfEEEvPT_PKS4_jjjS4_T1_
	.globl	_ZN2at6native28tensor_kernel_scan_outer_dimIfmSt4plusIfEEEvPT_PKS4_jjjS4_T1_
	.p2align	8
	.type	_ZN2at6native28tensor_kernel_scan_outer_dimIfmSt4plusIfEEEvPT_PKS4_jjjS4_T1_,@function
_ZN2at6native28tensor_kernel_scan_outer_dimIfmSt4plusIfEEEvPT_PKS4_jjjS4_T1_: ; @_ZN2at6native28tensor_kernel_scan_outer_dimIfmSt4plusIfEEEvPT_PKS4_jjjS4_T1_
; %bb.0:
	s_load_b128 s[4:7], s[0:1], 0x10
	s_waitcnt lgkmcnt(0)
	s_cmp_ge_u32 s14, s4
	s_cbranch_scc1 .LBB76_9
; %bb.1:
	s_clause 0x2
	s_load_b32 s12, s[0:1], 0x34
	s_load_b128 s[8:11], s[0:1], 0x0
	s_load_b32 s18, s[0:1], 0x28
	s_add_u32 s2, s0, 40
	s_addc_u32 s3, s1, 0
	v_mov_b32_e32 v3, 0
	s_mov_b32 s17, 0
	s_mul_hi_u32 s13, s6, s5
	s_mov_b32 s16, s5
	s_waitcnt lgkmcnt(0)
	s_and_b32 s1, s12, 0xffff
	s_cmp_lg_u32 s6, 0
	v_mad_u64_u32 v[1:2], null, s15, s1, v[0:1]
	s_mul_i32 s12, s6, s5
	s_cselect_b32 s15, -1, 0
	s_lshl_b64 s[12:13], s[12:13], 2
	s_lshl_b64 s[16:17], s[16:17], 2
	s_delay_alu instid0(VALU_DEP_1)
	v_cmp_gt_u32_e64 s0, s5, v1
	s_set_inst_prefetch_distance 0x1
	s_branch .LBB76_3
	.p2align	6
.LBB76_2:                               ;   in Loop: Header=BB76_3 Depth=1
	s_or_b32 exec_lo, exec_lo, s19
	s_add_i32 s14, s14, s18
	s_delay_alu instid0(SALU_CYCLE_1)
	s_cmp_ge_u32 s14, s4
	s_cbranch_scc1 .LBB76_9
.LBB76_3:                               ; =>This Loop Header: Depth=1
                                        ;     Child Loop BB76_6 Depth 2
                                        ;       Child Loop BB76_8 Depth 3
	s_delay_alu instid0(VALU_DEP_1)
	s_and_saveexec_b32 s19, s0
	s_cbranch_execz .LBB76_2
; %bb.4:                                ;   in Loop: Header=BB76_3 Depth=1
	s_load_b32 s22, s[2:3], 0x4
	v_mov_b32_e32 v2, v1
	s_mul_i32 s21, s13, s14
	s_mul_hi_u32 s23, s12, s14
	s_mul_i32 s20, s12, s14
	s_add_i32 s21, s23, s21
	s_mov_b32 s23, 0
	s_waitcnt lgkmcnt(0)
	s_mul_i32 s22, s22, s1
	s_branch .LBB76_6
	.p2align	6
.LBB76_5:                               ;   in Loop: Header=BB76_6 Depth=2
	v_add_nc_u32_e32 v2, s22, v2
	s_delay_alu instid0(VALU_DEP_1) | instskip(SKIP_1) | instid1(SALU_CYCLE_1)
	v_cmp_le_u32_e32 vcc_lo, s5, v2
	s_or_b32 s23, vcc_lo, s23
	s_and_not1_b32 exec_lo, exec_lo, s23
	s_cbranch_execz .LBB76_2
.LBB76_6:                               ;   Parent Loop BB76_3 Depth=1
                                        ; =>  This Loop Header: Depth=2
                                        ;       Child Loop BB76_8 Depth 3
	s_and_not1_b32 vcc_lo, exec_lo, s15
	s_cbranch_vccnz .LBB76_5
; %bb.7:                                ;   in Loop: Header=BB76_6 Depth=2
	v_lshlrev_b64 v[4:5], 2, v[2:3]
	s_mov_b32 s24, s6
	s_delay_alu instid0(VALU_DEP_1) | instskip(NEXT) | instid1(VALU_DEP_2)
	v_add_co_u32 v0, vcc_lo, s20, v4
	v_add_co_ci_u32_e32 v4, vcc_lo, s21, v5, vcc_lo
	v_mov_b32_e32 v5, s7
	.p2align	6
.LBB76_8:                               ;   Parent Loop BB76_3 Depth=1
                                        ;     Parent Loop BB76_6 Depth=2
                                        ; =>    This Inner Loop Header: Depth=3
	s_delay_alu instid0(VALU_DEP_3) | instskip(NEXT) | instid1(VALU_DEP_3)
	v_add_co_u32 v6, vcc_lo, s10, v0
	v_add_co_ci_u32_e32 v7, vcc_lo, s11, v4, vcc_lo
	s_add_i32 s24, s24, -1
	s_delay_alu instid0(SALU_CYCLE_1)
	s_cmp_eq_u32 s24, 0
	global_load_b32 v8, v[6:7], off
	v_add_co_u32 v6, vcc_lo, s8, v0
	v_add_co_ci_u32_e32 v7, vcc_lo, s9, v4, vcc_lo
	v_add_co_u32 v0, vcc_lo, v0, s16
	v_add_co_ci_u32_e32 v4, vcc_lo, s17, v4, vcc_lo
	s_waitcnt vmcnt(0)
	v_add_f32_e32 v5, v5, v8
	global_store_b32 v[6:7], v5, off
	s_cbranch_scc0 .LBB76_8
	s_branch .LBB76_5
.LBB76_9:
	s_set_inst_prefetch_distance 0x2
	s_nop 0
	s_sendmsg sendmsg(MSG_DEALLOC_VGPRS)
	s_endpgm
	.section	.rodata,"a",@progbits
	.p2align	6, 0x0
	.amdhsa_kernel _ZN2at6native28tensor_kernel_scan_outer_dimIfmSt4plusIfEEEvPT_PKS4_jjjS4_T1_
		.amdhsa_group_segment_fixed_size 0
		.amdhsa_private_segment_fixed_size 0
		.amdhsa_kernarg_size 296
		.amdhsa_user_sgpr_count 14
		.amdhsa_user_sgpr_dispatch_ptr 0
		.amdhsa_user_sgpr_queue_ptr 0
		.amdhsa_user_sgpr_kernarg_segment_ptr 1
		.amdhsa_user_sgpr_dispatch_id 0
		.amdhsa_user_sgpr_private_segment_size 0
		.amdhsa_wavefront_size32 1
		.amdhsa_uses_dynamic_stack 0
		.amdhsa_enable_private_segment 0
		.amdhsa_system_sgpr_workgroup_id_x 1
		.amdhsa_system_sgpr_workgroup_id_y 1
		.amdhsa_system_sgpr_workgroup_id_z 0
		.amdhsa_system_sgpr_workgroup_info 0
		.amdhsa_system_vgpr_workitem_id 0
		.amdhsa_next_free_vgpr 9
		.amdhsa_next_free_sgpr 25
		.amdhsa_reserve_vcc 1
		.amdhsa_float_round_mode_32 0
		.amdhsa_float_round_mode_16_64 0
		.amdhsa_float_denorm_mode_32 3
		.amdhsa_float_denorm_mode_16_64 3
		.amdhsa_dx10_clamp 1
		.amdhsa_ieee_mode 1
		.amdhsa_fp16_overflow 0
		.amdhsa_workgroup_processor_mode 1
		.amdhsa_memory_ordered 1
		.amdhsa_forward_progress 0
		.amdhsa_shared_vgpr_count 0
		.amdhsa_exception_fp_ieee_invalid_op 0
		.amdhsa_exception_fp_denorm_src 0
		.amdhsa_exception_fp_ieee_div_zero 0
		.amdhsa_exception_fp_ieee_overflow 0
		.amdhsa_exception_fp_ieee_underflow 0
		.amdhsa_exception_fp_ieee_inexact 0
		.amdhsa_exception_int_div_zero 0
	.end_amdhsa_kernel
	.section	.text._ZN2at6native28tensor_kernel_scan_outer_dimIfmSt4plusIfEEEvPT_PKS4_jjjS4_T1_,"axG",@progbits,_ZN2at6native28tensor_kernel_scan_outer_dimIfmSt4plusIfEEEvPT_PKS4_jjjS4_T1_,comdat
.Lfunc_end76:
	.size	_ZN2at6native28tensor_kernel_scan_outer_dimIfmSt4plusIfEEEvPT_PKS4_jjjS4_T1_, .Lfunc_end76-_ZN2at6native28tensor_kernel_scan_outer_dimIfmSt4plusIfEEEvPT_PKS4_jjjS4_T1_
                                        ; -- End function
	.section	.AMDGPU.csdata,"",@progbits
; Kernel info:
; codeLenInByte = 372
; NumSgprs: 27
; NumVgprs: 9
; ScratchSize: 0
; MemoryBound: 0
; FloatMode: 240
; IeeeMode: 1
; LDSByteSize: 0 bytes/workgroup (compile time only)
; SGPRBlocks: 3
; VGPRBlocks: 1
; NumSGPRsForWavesPerEU: 27
; NumVGPRsForWavesPerEU: 9
; Occupancy: 16
; WaveLimiterHint : 0
; COMPUTE_PGM_RSRC2:SCRATCH_EN: 0
; COMPUTE_PGM_RSRC2:USER_SGPR: 14
; COMPUTE_PGM_RSRC2:TRAP_HANDLER: 0
; COMPUTE_PGM_RSRC2:TGID_X_EN: 1
; COMPUTE_PGM_RSRC2:TGID_Y_EN: 1
; COMPUTE_PGM_RSRC2:TGID_Z_EN: 0
; COMPUTE_PGM_RSRC2:TIDIG_COMP_CNT: 0
	.section	.text._ZN2at4cuda3cub15calc_block_sumsILi128ELi16ELb0EN3c107complexIdEES5_EEvPKT2_PT3_li,"axG",@progbits,_ZN2at4cuda3cub15calc_block_sumsILi128ELi16ELb0EN3c107complexIdEES5_EEvPKT2_PT3_li,comdat
	.protected	_ZN2at4cuda3cub15calc_block_sumsILi128ELi16ELb0EN3c107complexIdEES5_EEvPKT2_PT3_li ; -- Begin function _ZN2at4cuda3cub15calc_block_sumsILi128ELi16ELb0EN3c107complexIdEES5_EEvPKT2_PT3_li
	.globl	_ZN2at4cuda3cub15calc_block_sumsILi128ELi16ELb0EN3c107complexIdEES5_EEvPKT2_PT3_li
	.p2align	8
	.type	_ZN2at4cuda3cub15calc_block_sumsILi128ELi16ELb0EN3c107complexIdEES5_EEvPKT2_PT3_li,@function
_ZN2at4cuda3cub15calc_block_sumsILi128ELi16ELb0EN3c107complexIdEES5_EEvPKT2_PT3_li: ; @_ZN2at4cuda3cub15calc_block_sumsILi128ELi16ELb0EN3c107complexIdEES5_EEvPKT2_PT3_li
; %bb.0:
	s_clause 0x1
	s_load_b32 s12, s[0:1], 0x18
	s_load_b64 s[4:5], s[0:1], 0x10
	s_waitcnt lgkmcnt(0)
	s_lshl_b32 s3, s12, 11
	s_delay_alu instid0(SALU_CYCLE_1)
	s_ashr_i32 s6, s3, 31
	s_mul_hi_u32 s7, s3, s15
	s_mul_i32 s6, s6, s15
	s_mul_i32 s10, s3, s15
	s_add_i32 s11, s7, s6
	s_sub_u32 s8, s4, s10
	s_subb_u32 s9, s5, s11
	s_delay_alu instid0(SALU_CYCLE_1) | instskip(NEXT) | instid1(VALU_DEP_1)
	v_cmp_lt_i64_e64 s3, s[8:9], 1
	s_and_b32 vcc_lo, exec_lo, s3
	s_cbranch_vccnz .LBB77_57
; %bb.1:
	s_load_b128 s[4:7], s[0:1], 0x0
	s_mov_b32 s2, s15
	s_mov_b32 s3, 0
	s_cmp_gt_i32 s12, 0
	s_mov_b32 s14, 0
	s_cbranch_scc1 .LBB77_3
; %bb.2:
	s_mov_b32 s13, -1
	s_mov_b64 s[0:1], 0
	s_branch .LBB77_4
.LBB77_3:
	s_mov_b32 s14, -1
	s_mov_b32 s13, 0
                                        ; implicit-def: $sgpr0_sgpr1
.LBB77_4:
	v_dual_mov_b32 v4, s1 :: v_dual_mov_b32 v3, s0
	v_dual_mov_b32 v2, s1 :: v_dual_mov_b32 v1, s0
	s_and_not1_b32 vcc_lo, exec_lo, s14
	s_cbranch_vccnz .LBB77_54
; %bb.5:
	v_lshrrev_b32_e32 v1, 1, v0
	v_dual_mov_b32 v3, 0 :: v_dual_add_nc_u32 v74, 0x200, v0
	s_lshl_b64 s[10:11], s[10:11], 4
	v_dual_mov_b32 v4, 0 :: v_dual_add_nc_u32 v71, 0x80, v0
	s_delay_alu instid0(VALU_DEP_3)
	v_and_b32_e32 v86, 0x1f0, v1
	v_lshlrev_b32_e32 v1, 4, v0
	s_waitcnt lgkmcnt(0)
	s_add_u32 s1, s4, s10
	s_addc_u32 s4, s5, s11
	v_add_nc_u32_e32 v76, 0x300, v0
	v_dual_mov_b32 v87, 0 :: v_dual_add_nc_u32 v72, 0x100, v0
	v_add_co_u32 v69, s1, s1, v1
	v_mov_b32_e32 v1, v3
	v_dual_mov_b32 v2, v4 :: v_dual_add_nc_u32 v73, 0x180, v0
	v_add_nc_u32_e32 v75, 0x280, v0
	v_add_nc_u32_e32 v77, 0x380, v0
	v_or_b32_e32 v78, 0x400, v0
	v_add_nc_u32_e32 v79, 0x480, v0
	v_add_nc_u32_e32 v80, 0x500, v0
	;; [unrolled: 1-line block ×7, first 2 shown]
	v_cmp_gt_u32_e64 s0, 32, v0
	v_add_co_ci_u32_e64 v70, null, s4, 0, s1
	v_mbcnt_lo_u32_b32 v88, -1, 0
	s_branch .LBB77_7
.LBB77_6:                               ;   in Loop: Header=BB77_7 Depth=1
	s_delay_alu instid0(VALU_DEP_2) | instskip(NEXT) | instid1(VALU_DEP_4)
	v_add_f64 v[3:4], v[3:4], v[7:8]
	v_add_f64 v[1:2], v[1:2], v[5:6]
	s_add_u32 s8, s8, 0xfffff800
	v_add_co_u32 v69, vcc_lo, 0x8000, v69
	s_addc_u32 s9, s9, -1
	s_add_i32 s12, s12, -1
	v_add_co_ci_u32_e32 v70, vcc_lo, 0, v70, vcc_lo
	s_cmp_eq_u32 s12, 0
	s_mov_b32 s1, 0
	s_cselect_b32 s4, -1, 0
	s_barrier
	buffer_gl0_inv
	s_and_not1_b32 vcc_lo, exec_lo, s4
	s_cbranch_vccz .LBB77_53
.LBB77_7:                               ; =>This Inner Loop Header: Depth=1
	v_cmp_gt_i64_e64 s1, 0x800, s[8:9]
	s_delay_alu instid0(VALU_DEP_1)
	s_and_b32 vcc_lo, exec_lo, s1
	s_cbranch_vccz .LBB77_45
; %bb.8:                                ;   in Loop: Header=BB77_7 Depth=1
	v_mov_b32_e32 v7, 0
	v_mov_b32_e32 v8, 0
	s_mov_b32 s1, exec_lo
	s_delay_alu instid0(VALU_DEP_1)
	v_dual_mov_b32 v12, v8 :: v_dual_mov_b32 v11, v7
	v_dual_mov_b32 v10, v8 :: v_dual_mov_b32 v9, v7
	v_cmpx_gt_u32_e64 s8, v0
	s_cbranch_execz .LBB77_10
; %bb.9:                                ;   in Loop: Header=BB77_7 Depth=1
	global_load_b128 v[9:12], v[69:70], off
.LBB77_10:                              ;   in Loop: Header=BB77_7 Depth=1
	s_or_b32 exec_lo, exec_lo, s1
	v_dual_mov_b32 v5, v7 :: v_dual_mov_b32 v6, v8
	s_mov_b32 s1, exec_lo
	v_cmpx_gt_u32_e64 s8, v71
	s_cbranch_execz .LBB77_12
; %bb.11:                               ;   in Loop: Header=BB77_7 Depth=1
	global_load_b128 v[5:8], v[69:70], off offset:2048
.LBB77_12:                              ;   in Loop: Header=BB77_7 Depth=1
	s_or_b32 exec_lo, exec_lo, s1
	v_mov_b32_e32 v15, 0
	v_mov_b32_e32 v16, 0
	s_mov_b32 s1, exec_lo
	s_delay_alu instid0(VALU_DEP_1)
	v_dual_mov_b32 v20, v16 :: v_dual_mov_b32 v19, v15
	v_dual_mov_b32 v18, v16 :: v_dual_mov_b32 v17, v15
	v_cmpx_gt_u32_e64 s8, v72
	s_cbranch_execz .LBB77_14
; %bb.13:                               ;   in Loop: Header=BB77_7 Depth=1
	v_add_co_u32 v13, vcc_lo, 0x1000, v69
	v_add_co_ci_u32_e32 v14, vcc_lo, 0, v70, vcc_lo
	global_load_b128 v[17:20], v[13:14], off
.LBB77_14:                              ;   in Loop: Header=BB77_7 Depth=1
	s_or_b32 exec_lo, exec_lo, s1
	v_dual_mov_b32 v13, v15 :: v_dual_mov_b32 v14, v16
	s_mov_b32 s1, exec_lo
	v_cmpx_gt_u32_e64 s8, v73
	s_cbranch_execz .LBB77_16
; %bb.15:                               ;   in Loop: Header=BB77_7 Depth=1
	v_add_co_u32 v13, vcc_lo, 0x1000, v69
	v_add_co_ci_u32_e32 v14, vcc_lo, 0, v70, vcc_lo
	global_load_b128 v[13:16], v[13:14], off offset:2048
.LBB77_16:                              ;   in Loop: Header=BB77_7 Depth=1
	s_or_b32 exec_lo, exec_lo, s1
	v_mov_b32_e32 v23, 0
	v_mov_b32_e32 v24, 0
	s_mov_b32 s1, exec_lo
	s_delay_alu instid0(VALU_DEP_1)
	v_dual_mov_b32 v28, v24 :: v_dual_mov_b32 v27, v23
	v_dual_mov_b32 v26, v24 :: v_dual_mov_b32 v25, v23
	v_cmpx_gt_u32_e64 s8, v74
	s_cbranch_execz .LBB77_18
; %bb.17:                               ;   in Loop: Header=BB77_7 Depth=1
	v_add_co_u32 v21, vcc_lo, 0x2000, v69
	v_add_co_ci_u32_e32 v22, vcc_lo, 0, v70, vcc_lo
	global_load_b128 v[25:28], v[21:22], off
.LBB77_18:                              ;   in Loop: Header=BB77_7 Depth=1
	s_or_b32 exec_lo, exec_lo, s1
	v_dual_mov_b32 v21, v23 :: v_dual_mov_b32 v22, v24
	s_mov_b32 s1, exec_lo
	v_cmpx_gt_u32_e64 s8, v75
	s_cbranch_execz .LBB77_20
; %bb.19:                               ;   in Loop: Header=BB77_7 Depth=1
	v_add_co_u32 v21, vcc_lo, 0x2000, v69
	v_add_co_ci_u32_e32 v22, vcc_lo, 0, v70, vcc_lo
	global_load_b128 v[21:24], v[21:22], off offset:2048
.LBB77_20:                              ;   in Loop: Header=BB77_7 Depth=1
	;; [unrolled: 24-line block ×7, first 2 shown]
	s_or_b32 exec_lo, exec_lo, s1
	s_waitcnt vmcnt(0)
	v_add_f64 v[5:6], v[9:10], v[5:6]
	v_add_f64 v[7:8], v[11:12], v[7:8]
	s_mov_b32 s1, exec_lo
	s_barrier
	buffer_gl0_inv
	v_add_f64 v[5:6], v[5:6], v[17:18]
	v_add_f64 v[7:8], v[7:8], v[19:20]
	s_delay_alu instid0(VALU_DEP_2) | instskip(NEXT) | instid1(VALU_DEP_2)
	v_add_f64 v[5:6], v[5:6], v[13:14]
	v_add_f64 v[7:8], v[7:8], v[15:16]
	s_delay_alu instid0(VALU_DEP_2) | instskip(NEXT) | instid1(VALU_DEP_2)
	;; [unrolled: 3-line block ×13, first 2 shown]
	v_add_f64 v[5:6], v[5:6], v[61:62]
	v_add_f64 v[7:8], v[7:8], v[63:64]
	s_delay_alu instid0(VALU_DEP_2) | instskip(NEXT) | instid1(VALU_DEP_3)
	v_mov_b32_dpp v9, v5 quad_perm:[1,0,3,2] row_mask:0xf bank_mask:0xf
	v_mov_b32_dpp v10, v6 quad_perm:[1,0,3,2] row_mask:0xf bank_mask:0xf
	s_delay_alu instid0(VALU_DEP_3) | instskip(NEXT) | instid1(VALU_DEP_4)
	v_mov_b32_dpp v11, v7 quad_perm:[1,0,3,2] row_mask:0xf bank_mask:0xf
	v_mov_b32_dpp v12, v8 quad_perm:[1,0,3,2] row_mask:0xf bank_mask:0xf
	s_delay_alu instid0(VALU_DEP_3) | instskip(NEXT) | instid1(VALU_DEP_2)
	v_add_f64 v[5:6], v[5:6], v[9:10]
	v_add_f64 v[7:8], v[7:8], v[11:12]
	s_delay_alu instid0(VALU_DEP_2) | instskip(NEXT) | instid1(VALU_DEP_3)
	v_mov_b32_dpp v9, v5 quad_perm:[2,3,0,1] row_mask:0xf bank_mask:0xf
	v_mov_b32_dpp v10, v6 quad_perm:[2,3,0,1] row_mask:0xf bank_mask:0xf
	s_delay_alu instid0(VALU_DEP_3) | instskip(NEXT) | instid1(VALU_DEP_4)
	v_mov_b32_dpp v11, v7 quad_perm:[2,3,0,1] row_mask:0xf bank_mask:0xf
	v_mov_b32_dpp v12, v8 quad_perm:[2,3,0,1] row_mask:0xf bank_mask:0xf
	s_delay_alu instid0(VALU_DEP_3) | instskip(NEXT) | instid1(VALU_DEP_2)
	v_add_f64 v[5:6], v[5:6], v[9:10]
	v_add_f64 v[7:8], v[7:8], v[11:12]
	s_delay_alu instid0(VALU_DEP_2) | instskip(NEXT) | instid1(VALU_DEP_3)
	v_mov_b32_dpp v9, v5 row_ror:4 row_mask:0xf bank_mask:0xf
	v_mov_b32_dpp v10, v6 row_ror:4 row_mask:0xf bank_mask:0xf
	s_delay_alu instid0(VALU_DEP_3) | instskip(NEXT) | instid1(VALU_DEP_4)
	v_mov_b32_dpp v11, v7 row_ror:4 row_mask:0xf bank_mask:0xf
	v_mov_b32_dpp v12, v8 row_ror:4 row_mask:0xf bank_mask:0xf
	s_delay_alu instid0(VALU_DEP_3) | instskip(NEXT) | instid1(VALU_DEP_2)
	v_add_f64 v[5:6], v[5:6], v[9:10]
	v_add_f64 v[7:8], v[7:8], v[11:12]
	s_delay_alu instid0(VALU_DEP_2) | instskip(NEXT) | instid1(VALU_DEP_3)
	v_mov_b32_dpp v9, v5 row_ror:8 row_mask:0xf bank_mask:0xf
	v_mov_b32_dpp v10, v6 row_ror:8 row_mask:0xf bank_mask:0xf
	s_delay_alu instid0(VALU_DEP_3) | instskip(NEXT) | instid1(VALU_DEP_4)
	v_mov_b32_dpp v11, v7 row_ror:8 row_mask:0xf bank_mask:0xf
	v_mov_b32_dpp v12, v8 row_ror:8 row_mask:0xf bank_mask:0xf
	s_delay_alu instid0(VALU_DEP_3) | instskip(NEXT) | instid1(VALU_DEP_2)
	v_add_f64 v[5:6], v[5:6], v[9:10]
	v_add_f64 v[7:8], v[7:8], v[11:12]
	ds_swizzle_b32 v9, v5 offset:swizzle(BROADCAST,32,15)
	ds_swizzle_b32 v10, v6 offset:swizzle(BROADCAST,32,15)
	;; [unrolled: 1-line block ×4, first 2 shown]
	s_waitcnt lgkmcnt(2)
	v_add_f64 v[5:6], v[5:6], v[9:10]
	s_waitcnt lgkmcnt(0)
	v_add_f64 v[7:8], v[7:8], v[11:12]
	ds_bpermute_b32 v5, v87, v5 offset:124
	ds_bpermute_b32 v6, v87, v6 offset:124
	;; [unrolled: 1-line block ×4, first 2 shown]
	v_cmpx_eq_u32_e32 0, v88
	s_cbranch_execz .LBB77_42
; %bb.41:                               ;   in Loop: Header=BB77_7 Depth=1
	s_waitcnt lgkmcnt(0)
	ds_store_b128 v86, v[5:8]
.LBB77_42:                              ;   in Loop: Header=BB77_7 Depth=1
	s_or_b32 exec_lo, exec_lo, s1
	s_waitcnt lgkmcnt(0)
	s_barrier
	buffer_gl0_inv
	s_and_saveexec_b32 s1, s0
	s_cbranch_execz .LBB77_44
; %bb.43:                               ;   in Loop: Header=BB77_7 Depth=1
	v_and_b32_e32 v13, 3, v88
	s_delay_alu instid0(VALU_DEP_1) | instskip(SKIP_4) | instid1(VALU_DEP_2)
	v_lshlrev_b32_e32 v5, 4, v13
	v_cmp_ne_u32_e32 vcc_lo, 3, v13
	ds_load_b128 v[5:8], v5
	v_add_co_ci_u32_e32 v9, vcc_lo, 0, v88, vcc_lo
	v_cmp_gt_u32_e32 vcc_lo, 2, v13
	v_lshlrev_b32_e32 v12, 2, v9
	s_waitcnt lgkmcnt(0)
	ds_bpermute_b32 v9, v12, v5
	ds_bpermute_b32 v10, v12, v6
	;; [unrolled: 1-line block ×4, first 2 shown]
	s_waitcnt lgkmcnt(2)
	v_add_f64 v[5:6], v[5:6], v[9:10]
	v_cndmask_b32_e64 v9, 0, 1, vcc_lo
	s_waitcnt lgkmcnt(0)
	v_add_f64 v[7:8], v[7:8], v[11:12]
	s_delay_alu instid0(VALU_DEP_2) | instskip(NEXT) | instid1(VALU_DEP_1)
	v_lshlrev_b32_e32 v9, 1, v9
	v_add_lshl_u32 v12, v9, v88, 2
	ds_bpermute_b32 v9, v12, v5
	ds_bpermute_b32 v10, v12, v6
	;; [unrolled: 1-line block ×4, first 2 shown]
	s_waitcnt lgkmcnt(2)
	v_add_f64 v[5:6], v[5:6], v[9:10]
	s_waitcnt lgkmcnt(0)
	v_add_f64 v[7:8], v[7:8], v[11:12]
.LBB77_44:                              ;   in Loop: Header=BB77_7 Depth=1
	s_or_b32 exec_lo, exec_lo, s1
	s_branch .LBB77_51
.LBB77_45:                              ;   in Loop: Header=BB77_7 Depth=1
                                        ; implicit-def: $vgpr7_vgpr8
	s_cbranch_execz .LBB77_51
; %bb.46:                               ;   in Loop: Header=BB77_7 Depth=1
	s_clause 0x1
	global_load_b128 v[5:8], v[69:70], off
	global_load_b128 v[9:12], v[69:70], off offset:2048
	v_add_co_u32 v21, vcc_lo, v69, 0x2000
	v_add_co_ci_u32_e32 v22, vcc_lo, 0, v70, vcc_lo
	v_add_co_u32 v17, vcc_lo, 0x1000, v69
	v_add_co_ci_u32_e32 v18, vcc_lo, 0, v70, vcc_lo
	s_clause 0x2
	global_load_b128 v[13:16], v[21:22], off offset:-4096
	global_load_b128 v[17:20], v[17:18], off offset:2048
	global_load_b128 v[21:24], v[21:22], off
	v_add_co_u32 v25, vcc_lo, 0x2000, v69
	v_add_co_ci_u32_e32 v26, vcc_lo, 0, v70, vcc_lo
	v_add_co_u32 v37, vcc_lo, v69, 0x4000
	v_add_co_ci_u32_e32 v38, vcc_lo, 0, v70, vcc_lo
	global_load_b128 v[25:28], v[25:26], off offset:2048
	v_add_co_u32 v33, vcc_lo, 0x3000, v69
	global_load_b128 v[29:32], v[37:38], off offset:-4096
	v_add_co_ci_u32_e32 v34, vcc_lo, 0, v70, vcc_lo
	s_clause 0x1
	global_load_b128 v[33:36], v[33:34], off offset:2048
	global_load_b128 v[37:40], v[37:38], off
	v_add_co_u32 v41, vcc_lo, 0x4000, v69
	v_add_co_ci_u32_e32 v42, vcc_lo, 0, v70, vcc_lo
	v_add_co_u32 v45, vcc_lo, v69, 0x6000
	v_add_co_ci_u32_e32 v46, vcc_lo, 0, v70, vcc_lo
	global_load_b128 v[41:44], v[41:42], off offset:2048
	s_mov_b32 s1, exec_lo
	s_waitcnt vmcnt(8)
	v_add_f64 v[9:10], v[5:6], v[9:10]
	v_add_f64 v[11:12], v[7:8], v[11:12]
	global_load_b128 v[5:8], v[45:46], off offset:-4096
	s_waitcnt vmcnt(8)
	v_add_f64 v[13:14], v[9:10], v[13:14]
	v_add_f64 v[15:16], v[11:12], v[15:16]
	v_add_co_u32 v9, vcc_lo, 0x5000, v69
	v_add_co_ci_u32_e32 v10, vcc_lo, 0, v70, vcc_lo
	global_load_b128 v[9:12], v[9:10], off offset:2048
	s_waitcnt vmcnt(8)
	v_add_f64 v[17:18], v[13:14], v[17:18]
	v_add_f64 v[19:20], v[15:16], v[19:20]
	global_load_b128 v[13:16], v[45:46], off
	s_waitcnt vmcnt(8)
	v_add_f64 v[21:22], v[17:18], v[21:22]
	v_add_f64 v[23:24], v[19:20], v[23:24]
	v_add_co_u32 v17, vcc_lo, 0x6000, v69
	v_add_co_ci_u32_e32 v18, vcc_lo, 0, v70, vcc_lo
	v_add_co_u32 v45, vcc_lo, 0x7000, v69
	v_add_co_ci_u32_e32 v46, vcc_lo, 0, v70, vcc_lo
	global_load_b128 v[17:20], v[17:18], off offset:2048
	s_waitcnt vmcnt(8)
	v_add_f64 v[25:26], v[21:22], v[25:26]
	v_add_f64 v[27:28], v[23:24], v[27:28]
	global_load_b128 v[21:24], v[45:46], off
	s_waitcnt vmcnt(8)
	v_add_f64 v[29:30], v[25:26], v[29:30]
	v_add_f64 v[31:32], v[27:28], v[31:32]
	global_load_b128 v[25:28], v[45:46], off offset:2048
	s_waitcnt vmcnt(0)
	s_barrier
	buffer_gl0_inv
	v_add_f64 v[29:30], v[29:30], v[33:34]
	v_add_f64 v[31:32], v[31:32], v[35:36]
	s_delay_alu instid0(VALU_DEP_2) | instskip(NEXT) | instid1(VALU_DEP_2)
	v_add_f64 v[29:30], v[29:30], v[37:38]
	v_add_f64 v[31:32], v[31:32], v[39:40]
	s_delay_alu instid0(VALU_DEP_2) | instskip(NEXT) | instid1(VALU_DEP_2)
	;; [unrolled: 3-line block ×8, first 2 shown]
	v_add_f64 v[5:6], v[5:6], v[25:26]
	v_add_f64 v[7:8], v[7:8], v[27:28]
	s_delay_alu instid0(VALU_DEP_2) | instskip(NEXT) | instid1(VALU_DEP_3)
	v_mov_b32_dpp v9, v5 quad_perm:[1,0,3,2] row_mask:0xf bank_mask:0xf
	v_mov_b32_dpp v10, v6 quad_perm:[1,0,3,2] row_mask:0xf bank_mask:0xf
	s_delay_alu instid0(VALU_DEP_3) | instskip(NEXT) | instid1(VALU_DEP_4)
	v_mov_b32_dpp v11, v7 quad_perm:[1,0,3,2] row_mask:0xf bank_mask:0xf
	v_mov_b32_dpp v12, v8 quad_perm:[1,0,3,2] row_mask:0xf bank_mask:0xf
	s_delay_alu instid0(VALU_DEP_3) | instskip(NEXT) | instid1(VALU_DEP_2)
	v_add_f64 v[5:6], v[5:6], v[9:10]
	v_add_f64 v[7:8], v[7:8], v[11:12]
	s_delay_alu instid0(VALU_DEP_2) | instskip(NEXT) | instid1(VALU_DEP_3)
	v_mov_b32_dpp v9, v5 quad_perm:[2,3,0,1] row_mask:0xf bank_mask:0xf
	v_mov_b32_dpp v10, v6 quad_perm:[2,3,0,1] row_mask:0xf bank_mask:0xf
	s_delay_alu instid0(VALU_DEP_3) | instskip(NEXT) | instid1(VALU_DEP_4)
	v_mov_b32_dpp v11, v7 quad_perm:[2,3,0,1] row_mask:0xf bank_mask:0xf
	v_mov_b32_dpp v12, v8 quad_perm:[2,3,0,1] row_mask:0xf bank_mask:0xf
	s_delay_alu instid0(VALU_DEP_3) | instskip(NEXT) | instid1(VALU_DEP_2)
	v_add_f64 v[5:6], v[5:6], v[9:10]
	v_add_f64 v[7:8], v[7:8], v[11:12]
	s_delay_alu instid0(VALU_DEP_2) | instskip(NEXT) | instid1(VALU_DEP_3)
	v_mov_b32_dpp v9, v5 row_ror:4 row_mask:0xf bank_mask:0xf
	v_mov_b32_dpp v10, v6 row_ror:4 row_mask:0xf bank_mask:0xf
	s_delay_alu instid0(VALU_DEP_3) | instskip(NEXT) | instid1(VALU_DEP_4)
	v_mov_b32_dpp v11, v7 row_ror:4 row_mask:0xf bank_mask:0xf
	v_mov_b32_dpp v12, v8 row_ror:4 row_mask:0xf bank_mask:0xf
	s_delay_alu instid0(VALU_DEP_3) | instskip(NEXT) | instid1(VALU_DEP_2)
	v_add_f64 v[5:6], v[5:6], v[9:10]
	v_add_f64 v[7:8], v[7:8], v[11:12]
	s_delay_alu instid0(VALU_DEP_2) | instskip(NEXT) | instid1(VALU_DEP_3)
	v_mov_b32_dpp v9, v5 row_ror:8 row_mask:0xf bank_mask:0xf
	v_mov_b32_dpp v10, v6 row_ror:8 row_mask:0xf bank_mask:0xf
	s_delay_alu instid0(VALU_DEP_3) | instskip(NEXT) | instid1(VALU_DEP_4)
	v_mov_b32_dpp v11, v7 row_ror:8 row_mask:0xf bank_mask:0xf
	v_mov_b32_dpp v12, v8 row_ror:8 row_mask:0xf bank_mask:0xf
	s_delay_alu instid0(VALU_DEP_3) | instskip(NEXT) | instid1(VALU_DEP_2)
	v_add_f64 v[5:6], v[5:6], v[9:10]
	v_add_f64 v[7:8], v[7:8], v[11:12]
	ds_swizzle_b32 v9, v5 offset:swizzle(BROADCAST,32,15)
	ds_swizzle_b32 v10, v6 offset:swizzle(BROADCAST,32,15)
	;; [unrolled: 1-line block ×4, first 2 shown]
	s_waitcnt lgkmcnt(2)
	v_add_f64 v[5:6], v[5:6], v[9:10]
	s_waitcnt lgkmcnt(0)
	v_add_f64 v[7:8], v[7:8], v[11:12]
	ds_bpermute_b32 v5, v87, v5 offset:124
	ds_bpermute_b32 v6, v87, v6 offset:124
	ds_bpermute_b32 v7, v87, v7 offset:124
	ds_bpermute_b32 v8, v87, v8 offset:124
	v_cmpx_eq_u32_e32 0, v88
	s_cbranch_execz .LBB77_48
; %bb.47:                               ;   in Loop: Header=BB77_7 Depth=1
	s_waitcnt lgkmcnt(0)
	ds_store_b128 v86, v[5:8]
.LBB77_48:                              ;   in Loop: Header=BB77_7 Depth=1
	s_or_b32 exec_lo, exec_lo, s1
	s_waitcnt lgkmcnt(0)
	s_barrier
	buffer_gl0_inv
	s_and_saveexec_b32 s1, s0
	s_cbranch_execz .LBB77_50
; %bb.49:                               ;   in Loop: Header=BB77_7 Depth=1
	v_and_b32_e32 v13, 3, v88
	s_delay_alu instid0(VALU_DEP_1) | instskip(SKIP_4) | instid1(VALU_DEP_2)
	v_lshlrev_b32_e32 v5, 4, v13
	v_cmp_ne_u32_e32 vcc_lo, 3, v13
	ds_load_b128 v[5:8], v5
	v_add_co_ci_u32_e32 v9, vcc_lo, 0, v88, vcc_lo
	v_cmp_gt_u32_e32 vcc_lo, 2, v13
	v_lshlrev_b32_e32 v12, 2, v9
	s_waitcnt lgkmcnt(0)
	ds_bpermute_b32 v9, v12, v5
	ds_bpermute_b32 v10, v12, v6
	;; [unrolled: 1-line block ×4, first 2 shown]
	s_waitcnt lgkmcnt(2)
	v_add_f64 v[5:6], v[5:6], v[9:10]
	v_cndmask_b32_e64 v9, 0, 1, vcc_lo
	s_waitcnt lgkmcnt(0)
	v_add_f64 v[7:8], v[7:8], v[11:12]
	s_delay_alu instid0(VALU_DEP_2) | instskip(NEXT) | instid1(VALU_DEP_1)
	v_lshlrev_b32_e32 v9, 1, v9
	v_add_lshl_u32 v12, v9, v88, 2
	ds_bpermute_b32 v9, v12, v5
	ds_bpermute_b32 v10, v12, v6
	;; [unrolled: 1-line block ×4, first 2 shown]
	s_waitcnt lgkmcnt(2)
	v_add_f64 v[5:6], v[5:6], v[9:10]
	s_waitcnt lgkmcnt(0)
	v_add_f64 v[7:8], v[7:8], v[11:12]
.LBB77_50:                              ;   in Loop: Header=BB77_7 Depth=1
	s_or_b32 exec_lo, exec_lo, s1
.LBB77_51:                              ;   in Loop: Header=BB77_7 Depth=1
	v_cmp_gt_i64_e64 s1, 0x801, s[8:9]
	s_delay_alu instid0(VALU_DEP_1)
	s_and_b32 vcc_lo, exec_lo, s1
	s_cbranch_vccz .LBB77_6
; %bb.52:
	s_mov_b32 s1, -1
                                        ; implicit-def: $sgpr8_sgpr9
                                        ; implicit-def: $sgpr12
                                        ; implicit-def: $vgpr69_vgpr70
                                        ; implicit-def: $vgpr1_vgpr2
.LBB77_53:
	s_delay_alu instid0(SALU_CYCLE_1)
	s_xor_b32 s13, s1, -1
.LBB77_54:
	s_delay_alu instid0(SALU_CYCLE_1)
	s_and_b32 vcc_lo, exec_lo, s13
	s_cbranch_vccz .LBB77_57
; %bb.55:
	s_mov_b32 s0, exec_lo
	v_cmpx_eq_u32_e32 0, v0
	s_cbranch_execz .LBB77_57
; %bb.56:
	s_lshl_b64 s[0:1], s[2:3], 4
	v_mov_b32_e32 v0, 0
	s_waitcnt lgkmcnt(0)
	s_add_u32 s0, s6, s0
	s_addc_u32 s1, s7, s1
	global_store_b128 v0, v[1:4], s[0:1]
.LBB77_57:
	s_nop 0
	s_sendmsg sendmsg(MSG_DEALLOC_VGPRS)
	s_endpgm
	.section	.rodata,"a",@progbits
	.p2align	6, 0x0
	.amdhsa_kernel _ZN2at4cuda3cub15calc_block_sumsILi128ELi16ELb0EN3c107complexIdEES5_EEvPKT2_PT3_li
		.amdhsa_group_segment_fixed_size 64
		.amdhsa_private_segment_fixed_size 0
		.amdhsa_kernarg_size 28
		.amdhsa_user_sgpr_count 15
		.amdhsa_user_sgpr_dispatch_ptr 0
		.amdhsa_user_sgpr_queue_ptr 0
		.amdhsa_user_sgpr_kernarg_segment_ptr 1
		.amdhsa_user_sgpr_dispatch_id 0
		.amdhsa_user_sgpr_private_segment_size 0
		.amdhsa_wavefront_size32 1
		.amdhsa_uses_dynamic_stack 0
		.amdhsa_enable_private_segment 0
		.amdhsa_system_sgpr_workgroup_id_x 1
		.amdhsa_system_sgpr_workgroup_id_y 0
		.amdhsa_system_sgpr_workgroup_id_z 0
		.amdhsa_system_sgpr_workgroup_info 0
		.amdhsa_system_vgpr_workitem_id 0
		.amdhsa_next_free_vgpr 89
		.amdhsa_next_free_sgpr 16
		.amdhsa_reserve_vcc 1
		.amdhsa_float_round_mode_32 0
		.amdhsa_float_round_mode_16_64 0
		.amdhsa_float_denorm_mode_32 3
		.amdhsa_float_denorm_mode_16_64 3
		.amdhsa_dx10_clamp 1
		.amdhsa_ieee_mode 1
		.amdhsa_fp16_overflow 0
		.amdhsa_workgroup_processor_mode 1
		.amdhsa_memory_ordered 1
		.amdhsa_forward_progress 0
		.amdhsa_shared_vgpr_count 0
		.amdhsa_exception_fp_ieee_invalid_op 0
		.amdhsa_exception_fp_denorm_src 0
		.amdhsa_exception_fp_ieee_div_zero 0
		.amdhsa_exception_fp_ieee_overflow 0
		.amdhsa_exception_fp_ieee_underflow 0
		.amdhsa_exception_fp_ieee_inexact 0
		.amdhsa_exception_int_div_zero 0
	.end_amdhsa_kernel
	.section	.text._ZN2at4cuda3cub15calc_block_sumsILi128ELi16ELb0EN3c107complexIdEES5_EEvPKT2_PT3_li,"axG",@progbits,_ZN2at4cuda3cub15calc_block_sumsILi128ELi16ELb0EN3c107complexIdEES5_EEvPKT2_PT3_li,comdat
.Lfunc_end77:
	.size	_ZN2at4cuda3cub15calc_block_sumsILi128ELi16ELb0EN3c107complexIdEES5_EEvPKT2_PT3_li, .Lfunc_end77-_ZN2at4cuda3cub15calc_block_sumsILi128ELi16ELb0EN3c107complexIdEES5_EEvPKT2_PT3_li
                                        ; -- End function
	.section	.AMDGPU.csdata,"",@progbits
; Kernel info:
; codeLenInByte = 3580
; NumSgprs: 18
; NumVgprs: 89
; ScratchSize: 0
; MemoryBound: 1
; FloatMode: 240
; IeeeMode: 1
; LDSByteSize: 64 bytes/workgroup (compile time only)
; SGPRBlocks: 2
; VGPRBlocks: 11
; NumSGPRsForWavesPerEU: 18
; NumVGPRsForWavesPerEU: 89
; Occupancy: 16
; WaveLimiterHint : 1
; COMPUTE_PGM_RSRC2:SCRATCH_EN: 0
; COMPUTE_PGM_RSRC2:USER_SGPR: 15
; COMPUTE_PGM_RSRC2:TRAP_HANDLER: 0
; COMPUTE_PGM_RSRC2:TGID_X_EN: 1
; COMPUTE_PGM_RSRC2:TGID_Y_EN: 0
; COMPUTE_PGM_RSRC2:TGID_Z_EN: 0
; COMPUTE_PGM_RSRC2:TIDIG_COMP_CNT: 0
	.section	.text._ZN2at4cuda3cub17final_scan_kernelILi128ELi16EN3c107complexIdEEEEvPKT1_PS6_S9_li,"axG",@progbits,_ZN2at4cuda3cub17final_scan_kernelILi128ELi16EN3c107complexIdEEEEvPKT1_PS6_S9_li,comdat
	.protected	_ZN2at4cuda3cub17final_scan_kernelILi128ELi16EN3c107complexIdEEEEvPKT1_PS6_S9_li ; -- Begin function _ZN2at4cuda3cub17final_scan_kernelILi128ELi16EN3c107complexIdEEEEvPKT1_PS6_S9_li
	.globl	_ZN2at4cuda3cub17final_scan_kernelILi128ELi16EN3c107complexIdEEEEvPKT1_PS6_S9_li
	.p2align	8
	.type	_ZN2at4cuda3cub17final_scan_kernelILi128ELi16EN3c107complexIdEEEEvPKT1_PS6_S9_li,@function
_ZN2at4cuda3cub17final_scan_kernelILi128ELi16EN3c107complexIdEEEEvPKT1_PS6_S9_li: ; @_ZN2at4cuda3cub17final_scan_kernelILi128ELi16EN3c107complexIdEEEEvPKT1_PS6_S9_li
; %bb.0:
	s_clause 0x1
	s_load_b32 s24, s[0:1], 0x20
	s_load_b256 s[16:23], s[0:1], 0x0
	s_waitcnt lgkmcnt(0)
	s_lshl_b32 s2, s24, 11
	s_delay_alu instid0(SALU_CYCLE_1)
	s_ashr_i32 s3, s2, 31
	s_mul_hi_u32 s5, s2, s15
	s_mul_i32 s3, s3, s15
	s_mul_i32 s4, s2, s15
	s_add_i32 s5, s5, s3
	s_sub_u32 s22, s22, s4
	s_subb_u32 s23, s23, s5
	s_delay_alu instid0(SALU_CYCLE_1) | instskip(NEXT) | instid1(VALU_DEP_1)
	v_cmp_lt_i64_e64 s2, s[22:23], 1
	s_and_b32 vcc_lo, exec_lo, s2
	s_cbranch_vccnz .LBB78_114
; %bb.1:
	v_mov_b32_e32 v1, 0
	v_dual_mov_b32 v2, 0 :: v_dual_lshlrev_b32 v135, 4, v0
	s_mov_b32 s2, exec_lo
	s_delay_alu instid0(VALU_DEP_1)
	v_dual_mov_b32 v4, v2 :: v_dual_mov_b32 v3, v1
	v_cmpx_gt_u32_e64 s15, v0
	s_cbranch_execz .LBB78_3
; %bb.2:
	global_load_b128 v[1:4], v135, s[20:21]
.LBB78_3:
	s_or_b32 exec_lo, exec_lo, s2
	s_load_b32 s0, s[0:1], 0x34
	s_waitcnt lgkmcnt(0)
	s_and_b32 s1, s0, 0xffff
	s_mov_b32 s0, exec_lo
	v_add_nc_u32_e32 v5, s1, v0
	s_delay_alu instid0(VALU_DEP_1)
	v_cmpx_gt_u32_e64 s15, v5
	s_cbranch_execz .LBB78_7
; %bb.4:
	v_mov_b32_e32 v6, 0
	s_mov_b32 s2, 0
.LBB78_5:                               ; =>This Inner Loop Header: Depth=1
	s_delay_alu instid0(VALU_DEP_1) | instskip(SKIP_1) | instid1(VALU_DEP_2)
	v_lshlrev_b64 v[7:8], 4, v[5:6]
	v_add_nc_u32_e32 v5, s1, v5
	v_add_co_u32 v7, vcc_lo, s20, v7
	s_delay_alu instid0(VALU_DEP_3) | instskip(NEXT) | instid1(VALU_DEP_3)
	v_add_co_ci_u32_e32 v8, vcc_lo, s21, v8, vcc_lo
	v_cmp_le_u32_e32 vcc_lo, s15, v5
	global_load_b128 v[7:10], v[7:8], off
	s_or_b32 s2, vcc_lo, s2
	s_waitcnt vmcnt(0)
	v_add_f64 v[1:2], v[1:2], v[7:8]
	v_add_f64 v[3:4], v[3:4], v[9:10]
	s_and_not1_b32 exec_lo, exec_lo, s2
	s_cbranch_execnz .LBB78_5
; %bb.6:
	s_or_b32 exec_lo, exec_lo, s2
.LBB78_7:
	s_delay_alu instid0(SALU_CYCLE_1) | instskip(SKIP_1) | instid1(VALU_DEP_2)
	s_or_b32 exec_lo, exec_lo, s0
	s_waitcnt vmcnt(0)
	v_mov_b32_dpp v5, v1 quad_perm:[1,0,3,2] row_mask:0xf bank_mask:0xf
	s_delay_alu instid0(VALU_DEP_3) | instskip(NEXT) | instid1(VALU_DEP_3)
	v_mov_b32_dpp v6, v2 quad_perm:[1,0,3,2] row_mask:0xf bank_mask:0xf
	v_mov_b32_dpp v7, v3 quad_perm:[1,0,3,2] row_mask:0xf bank_mask:0xf
	s_delay_alu instid0(VALU_DEP_4) | instskip(NEXT) | instid1(VALU_DEP_3)
	v_mov_b32_dpp v8, v4 quad_perm:[1,0,3,2] row_mask:0xf bank_mask:0xf
	v_add_f64 v[1:2], v[1:2], v[5:6]
	s_delay_alu instid0(VALU_DEP_2) | instskip(NEXT) | instid1(VALU_DEP_2)
	v_add_f64 v[3:4], v[3:4], v[7:8]
	v_mov_b32_dpp v5, v1 quad_perm:[2,3,0,1] row_mask:0xf bank_mask:0xf
	s_delay_alu instid0(VALU_DEP_3) | instskip(NEXT) | instid1(VALU_DEP_3)
	v_mov_b32_dpp v6, v2 quad_perm:[2,3,0,1] row_mask:0xf bank_mask:0xf
	v_mov_b32_dpp v7, v3 quad_perm:[2,3,0,1] row_mask:0xf bank_mask:0xf
	s_delay_alu instid0(VALU_DEP_4) | instskip(NEXT) | instid1(VALU_DEP_3)
	v_mov_b32_dpp v8, v4 quad_perm:[2,3,0,1] row_mask:0xf bank_mask:0xf
	v_add_f64 v[1:2], v[1:2], v[5:6]
	s_delay_alu instid0(VALU_DEP_2) | instskip(NEXT) | instid1(VALU_DEP_2)
	v_add_f64 v[3:4], v[3:4], v[7:8]
	v_mov_b32_dpp v5, v1 row_ror:4 row_mask:0xf bank_mask:0xf
	s_delay_alu instid0(VALU_DEP_3) | instskip(NEXT) | instid1(VALU_DEP_3)
	v_mov_b32_dpp v6, v2 row_ror:4 row_mask:0xf bank_mask:0xf
	v_mov_b32_dpp v7, v3 row_ror:4 row_mask:0xf bank_mask:0xf
	s_delay_alu instid0(VALU_DEP_4) | instskip(NEXT) | instid1(VALU_DEP_3)
	v_mov_b32_dpp v8, v4 row_ror:4 row_mask:0xf bank_mask:0xf
	v_add_f64 v[1:2], v[1:2], v[5:6]
	s_delay_alu instid0(VALU_DEP_2) | instskip(NEXT) | instid1(VALU_DEP_2)
	v_add_f64 v[3:4], v[3:4], v[7:8]
	v_mov_b32_dpp v5, v1 row_ror:8 row_mask:0xf bank_mask:0xf
	s_delay_alu instid0(VALU_DEP_3) | instskip(NEXT) | instid1(VALU_DEP_3)
	v_mov_b32_dpp v6, v2 row_ror:8 row_mask:0xf bank_mask:0xf
	v_mov_b32_dpp v7, v3 row_ror:8 row_mask:0xf bank_mask:0xf
	s_delay_alu instid0(VALU_DEP_4) | instskip(NEXT) | instid1(VALU_DEP_3)
	v_mov_b32_dpp v8, v4 row_ror:8 row_mask:0xf bank_mask:0xf
	v_add_f64 v[1:2], v[1:2], v[5:6]
	s_delay_alu instid0(VALU_DEP_2)
	v_add_f64 v[3:4], v[3:4], v[7:8]
	ds_swizzle_b32 v5, v1 offset:swizzle(BROADCAST,32,15)
	ds_swizzle_b32 v6, v2 offset:swizzle(BROADCAST,32,15)
	;; [unrolled: 1-line block ×4, first 2 shown]
	s_waitcnt lgkmcnt(2)
	v_add_f64 v[1:2], v[1:2], v[5:6]
	v_mov_b32_e32 v5, 0
	s_waitcnt lgkmcnt(0)
	v_add_f64 v[3:4], v[3:4], v[7:8]
	ds_bpermute_b32 v1, v5, v1 offset:124
	ds_bpermute_b32 v2, v5, v2 offset:124
	;; [unrolled: 1-line block ×4, first 2 shown]
	v_mbcnt_lo_u32_b32 v5, -1, 0
	s_delay_alu instid0(VALU_DEP_1) | instskip(NEXT) | instid1(VALU_DEP_1)
	v_cmp_eq_u32_e64 s0, 0, v5
	s_and_saveexec_b32 s1, s0
	s_cbranch_execz .LBB78_9
; %bb.8:
	v_lshrrev_b32_e32 v6, 1, v0
	s_delay_alu instid0(VALU_DEP_1)
	v_and_b32_e32 v6, 0x1f0, v6
	s_waitcnt lgkmcnt(0)
	ds_store_b128 v6, v[1:4]
.LBB78_9:
	s_or_b32 exec_lo, exec_lo, s1
	v_cmp_lt_u32_e64 s1, 31, v0
	v_cmp_gt_u32_e64 s2, 32, v0
	v_and_b32_e32 v6, 3, v5
	s_waitcnt lgkmcnt(0)
	s_barrier
	buffer_gl0_inv
	s_and_saveexec_b32 s3, s2
	s_cbranch_execz .LBB78_11
; %bb.10:
	v_lshlrev_b32_e32 v1, 4, v6
	v_cmp_ne_u32_e32 vcc_lo, 3, v6
	ds_load_b128 v[1:4], v1
	v_add_co_ci_u32_e32 v7, vcc_lo, 0, v5, vcc_lo
	v_cmp_gt_u32_e32 vcc_lo, 2, v6
	s_delay_alu instid0(VALU_DEP_2)
	v_lshlrev_b32_e32 v10, 2, v7
	s_waitcnt lgkmcnt(0)
	ds_bpermute_b32 v7, v10, v1
	ds_bpermute_b32 v8, v10, v2
	;; [unrolled: 1-line block ×4, first 2 shown]
	s_waitcnt lgkmcnt(2)
	v_add_f64 v[1:2], v[1:2], v[7:8]
	v_cndmask_b32_e64 v7, 0, 1, vcc_lo
	s_waitcnt lgkmcnt(0)
	v_add_f64 v[3:4], v[3:4], v[9:10]
	s_delay_alu instid0(VALU_DEP_2) | instskip(NEXT) | instid1(VALU_DEP_1)
	v_lshlrev_b32_e32 v7, 1, v7
	v_add_lshl_u32 v10, v7, v5, 2
	ds_bpermute_b32 v7, v10, v1
	ds_bpermute_b32 v8, v10, v2
	;; [unrolled: 1-line block ×4, first 2 shown]
	s_waitcnt lgkmcnt(2)
	v_add_f64 v[1:2], v[1:2], v[7:8]
	s_waitcnt lgkmcnt(0)
	v_add_f64 v[3:4], v[3:4], v[9:10]
.LBB78_11:
	s_or_b32 exec_lo, exec_lo, s3
	s_cmp_gt_i32 s24, 0
	s_barrier
	buffer_gl0_inv
	s_cbranch_scc0 .LBB78_114
; %bb.12:
	v_and_b32_e32 v7, 0x3e00, v135
	s_lshl_b64 s[14:15], s[4:5], 4
	v_cmp_ne_u32_e64 s10, 0, v6
	v_cmp_lt_u32_e64 s11, 1, v6
	v_mov_b32_e32 v137, 0
	v_or_b32_e32 v136, v5, v7
	v_lshrrev_b32_e32 v8, 5, v7
	v_cmp_gt_u32_e64 s9, 4, v0
	v_cmp_eq_u32_e64 s12, 0, v0
	v_cmp_ne_u32_e64 s13, 0, v0
	v_or_b32_e32 v138, 32, v136
	v_or_b32_e32 v140, 0x60, v136
	;; [unrolled: 1-line block ×5, first 2 shown]
	v_lshrrev_b32_e32 v9, 5, v138
	v_lshrrev_b32_e32 v11, 5, v140
	v_or_b32_e32 v146, 0x120, v136
	v_or_b32_e32 v147, 0x140, v136
	v_add_lshl_u32 v153, v8, v136, 4
	v_add_lshl_u32 v154, v9, v138, 4
	;; [unrolled: 1-line block ×3, first 2 shown]
	v_lshrrev_b32_e32 v8, 5, v141
	v_lshrrev_b32_e32 v9, 5, v142
	;; [unrolled: 1-line block ×3, first 2 shown]
	v_or_b32_e32 v150, 0x1a0, v136
	v_or_b32_e32 v139, 64, v136
	v_add_lshl_u32 v157, v8, v141, 4
	v_add_lshl_u32 v158, v9, v142, 4
	;; [unrolled: 1-line block ×3, first 2 shown]
	v_lshrrev_b32_e32 v8, 5, v146
	v_lshrrev_b32_e32 v9, 5, v147
	v_and_b32_e32 v11, 0x3e0, v0
	v_or_b32_e32 v143, 0xc0, v136
	v_lshrrev_b32_e32 v10, 5, v139
	v_add_lshl_u32 v162, v8, v146, 4
	v_add_lshl_u32 v163, v9, v147, 4
	v_or_b32_e32 v8, v5, v11
	v_lshrrev_b32_e32 v9, 5, v150
	v_or_b32_e32 v145, 0x100, v136
	v_or_b32_e32 v148, 0x160, v136
	v_add_lshl_u32 v155, v10, v139, 4
	v_lshlrev_b32_e32 v13, 4, v8
	v_bfe_u32 v8, v8, 1, 27
	v_add_lshl_u32 v166, v9, v150, 4
	v_and_b32_e32 v9, 15, v5
	v_lshrrev_b32_e32 v10, 5, v143
	v_or_b32_e32 v149, 0x180, v136
	v_add_lshl_u32 v169, v8, v13, 4
	v_min_u32_e32 v8, 0x60, v11
	v_cmp_ne_u32_e64 s3, 0, v9
	v_cmp_lt_u32_e64 s4, 1, v9
	v_cmp_lt_u32_e64 s5, 3, v9
	;; [unrolled: 1-line block ×3, first 2 shown]
	v_add_nc_u32_e32 v9, -1, v5
	v_lshrrev_b32_e32 v11, 5, v0
	v_or_b32_e32 v8, 31, v8
	v_or_b32_e32 v151, 0x1c0, v136
	v_lshrrev_b32_e32 v12, 5, v145
	v_cmp_gt_i32_e32 vcc_lo, 0, v9
	v_add_lshl_u32 v159, v10, v143, 4
	v_lshrrev_b32_e32 v10, 5, v148
	v_lshlrev_b32_e32 v6, 13, v11
	v_cmp_eq_u32_e64 s8, v8, v0
	v_cndmask_b32_e32 v8, v9, v5, vcc_lo
	v_or_b32_e32 v152, 0x1e0, v136
	v_add_lshl_u32 v161, v12, v145, 4
	v_lshrrev_b32_e32 v12, 5, v149
	v_add_lshl_u32 v164, v10, v148, 4
	v_lshrrev_b32_e32 v10, 5, v151
	v_add_co_u32 v6, s20, s14, v6
	v_lshlrev_b32_e32 v172, 2, v8
	v_add_co_ci_u32_e64 v8, null, s15, 0, s20
	v_add_lshl_u32 v165, v12, v149, 4
	v_lshrrev_b32_e32 v12, 5, v152
	v_add_lshl_u32 v167, v10, v151, 4
	v_and_b32_e32 v10, 16, v5
	v_lshlrev_b32_e32 v170, 4, v11
	v_add_co_u32 v129, vcc_lo, s16, v6
	v_add_co_ci_u32_e32 v130, vcc_lo, s17, v8, vcc_lo
	v_add_co_u32 v131, vcc_lo, s18, v6
	v_add_lshl_u32 v168, v12, v152, 4
	v_cmp_ne_u32_e64 s7, 0, v10
	v_add_nc_u32_e32 v171, -16, v170
	v_lshlrev_b32_e32 v0, 4, v5
	v_add_co_ci_u32_e32 v132, vcc_lo, s19, v8, vcc_lo
	v_lshlrev_b32_e32 v173, 4, v5
	v_lshlrev_b32_e32 v174, 4, v7
	s_add_u32 s16, s18, s14
	s_addc_u32 s17, s19, s15
	s_branch .LBB78_14
.LBB78_13:                              ;   in Loop: Header=BB78_14 Depth=1
	v_add_co_u32 v129, vcc_lo, 0x8000, v129
	s_add_u32 s22, s22, 0xfffff800
	s_addc_u32 s23, s23, -1
	v_add_co_ci_u32_e32 v130, vcc_lo, 0, v130, vcc_lo
	s_add_u32 s16, s16, 0x8000
	v_add_co_u32 v131, vcc_lo, 0x8000, v131
	s_addc_u32 s17, s17, 0
	s_add_i32 s24, s24, -1
	v_add_co_ci_u32_e32 v132, vcc_lo, 0, v132, vcc_lo
	s_cmp_eq_u32 s24, 0
	s_waitcnt lgkmcnt(0)
	s_waitcnt_vscnt null, 0x0
	s_cselect_b32 s14, -1, 0
	s_barrier
	buffer_gl0_inv
	s_and_not1_b32 vcc_lo, exec_lo, s14
	s_cbranch_vccz .LBB78_114
.LBB78_14:                              ; =>This Inner Loop Header: Depth=1
	v_cmp_lt_i64_e64 s14, 0x7ff, s[22:23]
	v_cmp_gt_i64_e64 s15, 0x800, s[22:23]
	s_mov_b32 s18, -1
	s_delay_alu instid0(VALU_DEP_2)
	s_and_b32 vcc_lo, exec_lo, s14
	v_cmp_gt_u32_e64 s14, s22, v136
	s_cbranch_vccnz .LBB78_48
; %bb.15:                               ;   in Loop: Header=BB78_14 Depth=1
	v_mov_b32_e32 v7, 0
	v_mov_b32_e32 v8, 0
	s_waitcnt lgkmcnt(5)
	v_add_co_u32 v69, vcc_lo, v129, v0
	v_add_co_ci_u32_e32 v70, vcc_lo, 0, v130, vcc_lo
	s_delay_alu instid0(VALU_DEP_3)
	v_dual_mov_b32 v12, v8 :: v_dual_mov_b32 v11, v7
	v_dual_mov_b32 v10, v8 :: v_dual_mov_b32 v9, v7
	s_and_saveexec_b32 s18, s14
	s_cbranch_execz .LBB78_17
; %bb.16:                               ;   in Loop: Header=BB78_14 Depth=1
	global_load_b128 v[9:12], v[69:70], off
.LBB78_17:                              ;   in Loop: Header=BB78_14 Depth=1
	s_or_b32 exec_lo, exec_lo, s18
	v_dual_mov_b32 v5, v7 :: v_dual_mov_b32 v6, v8
	s_mov_b32 s14, exec_lo
	v_cmpx_gt_u32_e64 s22, v138
	s_cbranch_execz .LBB78_19
; %bb.18:                               ;   in Loop: Header=BB78_14 Depth=1
	global_load_b128 v[5:8], v[69:70], off offset:512
.LBB78_19:                              ;   in Loop: Header=BB78_14 Depth=1
	s_or_b32 exec_lo, exec_lo, s14
	v_mov_b32_e32 v15, 0
	v_mov_b32_e32 v16, 0
	s_mov_b32 s14, exec_lo
	s_delay_alu instid0(VALU_DEP_1)
	v_dual_mov_b32 v20, v16 :: v_dual_mov_b32 v19, v15
	v_dual_mov_b32 v18, v16 :: v_dual_mov_b32 v17, v15
	v_cmpx_gt_u32_e64 s22, v139
	s_cbranch_execz .LBB78_21
; %bb.20:                               ;   in Loop: Header=BB78_14 Depth=1
	global_load_b128 v[17:20], v[69:70], off offset:1024
.LBB78_21:                              ;   in Loop: Header=BB78_14 Depth=1
	s_or_b32 exec_lo, exec_lo, s14
	v_dual_mov_b32 v13, v15 :: v_dual_mov_b32 v14, v16
	s_mov_b32 s14, exec_lo
	v_cmpx_gt_u32_e64 s22, v140
	s_cbranch_execz .LBB78_23
; %bb.22:                               ;   in Loop: Header=BB78_14 Depth=1
	global_load_b128 v[13:16], v[69:70], off offset:1536
.LBB78_23:                              ;   in Loop: Header=BB78_14 Depth=1
	s_or_b32 exec_lo, exec_lo, s14
	v_mov_b32_e32 v23, 0
	v_mov_b32_e32 v24, 0
	s_mov_b32 s14, exec_lo
	s_delay_alu instid0(VALU_DEP_1)
	v_dual_mov_b32 v28, v24 :: v_dual_mov_b32 v27, v23
	v_dual_mov_b32 v26, v24 :: v_dual_mov_b32 v25, v23
	v_cmpx_gt_u32_e64 s22, v141
	s_cbranch_execz .LBB78_25
; %bb.24:                               ;   in Loop: Header=BB78_14 Depth=1
	global_load_b128 v[25:28], v[69:70], off offset:2048
.LBB78_25:                              ;   in Loop: Header=BB78_14 Depth=1
	;; [unrolled: 20-line block ×3, first 2 shown]
	s_or_b32 exec_lo, exec_lo, s14
	v_dual_mov_b32 v29, v31 :: v_dual_mov_b32 v30, v32
	s_mov_b32 s14, exec_lo
	v_cmpx_gt_u32_e64 s22, v144
	s_cbranch_execz .LBB78_31
; %bb.30:                               ;   in Loop: Header=BB78_14 Depth=1
	global_load_b128 v[29:32], v[69:70], off offset:3584
.LBB78_31:                              ;   in Loop: Header=BB78_14 Depth=1
	s_or_b32 exec_lo, exec_lo, s14
	v_mov_b32_e32 v39, 0
	v_mov_b32_e32 v40, 0
	s_mov_b32 s14, exec_lo
	s_delay_alu instid0(VALU_DEP_1)
	v_dual_mov_b32 v44, v40 :: v_dual_mov_b32 v43, v39
	v_dual_mov_b32 v42, v40 :: v_dual_mov_b32 v41, v39
	v_cmpx_gt_u32_e64 s22, v145
	s_cbranch_execz .LBB78_33
; %bb.32:                               ;   in Loop: Header=BB78_14 Depth=1
	v_add_co_u32 v37, vcc_lo, 0x1000, v69
	v_add_co_ci_u32_e32 v38, vcc_lo, 0, v70, vcc_lo
	global_load_b128 v[41:44], v[37:38], off
.LBB78_33:                              ;   in Loop: Header=BB78_14 Depth=1
	s_or_b32 exec_lo, exec_lo, s14
	v_dual_mov_b32 v37, v39 :: v_dual_mov_b32 v38, v40
	s_mov_b32 s14, exec_lo
	v_cmpx_gt_u32_e64 s22, v146
	s_cbranch_execz .LBB78_35
; %bb.34:                               ;   in Loop: Header=BB78_14 Depth=1
	v_add_co_u32 v37, vcc_lo, 0x1000, v69
	v_add_co_ci_u32_e32 v38, vcc_lo, 0, v70, vcc_lo
	global_load_b128 v[37:40], v[37:38], off offset:512
.LBB78_35:                              ;   in Loop: Header=BB78_14 Depth=1
	s_or_b32 exec_lo, exec_lo, s14
	s_waitcnt lgkmcnt(0)
	v_mov_b32_e32 v47, 0
	v_mov_b32_e32 v48, 0
	s_mov_b32 s14, exec_lo
	s_delay_alu instid0(VALU_DEP_1)
	v_dual_mov_b32 v52, v48 :: v_dual_mov_b32 v51, v47
	v_dual_mov_b32 v50, v48 :: v_dual_mov_b32 v49, v47
	v_cmpx_gt_u32_e64 s22, v147
	s_cbranch_execz .LBB78_37
; %bb.36:                               ;   in Loop: Header=BB78_14 Depth=1
	v_add_co_u32 v45, vcc_lo, 0x1000, v69
	v_add_co_ci_u32_e32 v46, vcc_lo, 0, v70, vcc_lo
	global_load_b128 v[49:52], v[45:46], off offset:1024
.LBB78_37:                              ;   in Loop: Header=BB78_14 Depth=1
	s_or_b32 exec_lo, exec_lo, s14
	v_dual_mov_b32 v45, v47 :: v_dual_mov_b32 v46, v48
	s_mov_b32 s14, exec_lo
	v_cmpx_gt_u32_e64 s22, v148
	s_cbranch_execz .LBB78_39
; %bb.38:                               ;   in Loop: Header=BB78_14 Depth=1
	v_add_co_u32 v45, vcc_lo, 0x1000, v69
	v_add_co_ci_u32_e32 v46, vcc_lo, 0, v70, vcc_lo
	global_load_b128 v[45:48], v[45:46], off offset:1536
.LBB78_39:                              ;   in Loop: Header=BB78_14 Depth=1
	s_or_b32 exec_lo, exec_lo, s14
	v_mov_b32_e32 v55, 0
	v_mov_b32_e32 v56, 0
	s_mov_b32 s14, exec_lo
	s_delay_alu instid0(VALU_DEP_1)
	v_dual_mov_b32 v60, v56 :: v_dual_mov_b32 v59, v55
	v_dual_mov_b32 v58, v56 :: v_dual_mov_b32 v57, v55
	v_cmpx_gt_u32_e64 s22, v149
	s_cbranch_execz .LBB78_41
; %bb.40:                               ;   in Loop: Header=BB78_14 Depth=1
	v_add_co_u32 v53, vcc_lo, 0x1000, v69
	v_add_co_ci_u32_e32 v54, vcc_lo, 0, v70, vcc_lo
	global_load_b128 v[57:60], v[53:54], off offset:2048
.LBB78_41:                              ;   in Loop: Header=BB78_14 Depth=1
	s_or_b32 exec_lo, exec_lo, s14
	v_dual_mov_b32 v53, v55 :: v_dual_mov_b32 v54, v56
	s_mov_b32 s14, exec_lo
	v_cmpx_gt_u32_e64 s22, v150
	s_cbranch_execz .LBB78_43
; %bb.42:                               ;   in Loop: Header=BB78_14 Depth=1
	v_add_co_u32 v53, vcc_lo, 0x1000, v69
	v_add_co_ci_u32_e32 v54, vcc_lo, 0, v70, vcc_lo
	global_load_b128 v[53:56], v[53:54], off offset:2560
.LBB78_43:                              ;   in Loop: Header=BB78_14 Depth=1
	s_or_b32 exec_lo, exec_lo, s14
	;; [unrolled: 24-line block ×3, first 2 shown]
	s_mov_b32 s18, 0
	s_waitcnt vmcnt(0)
	ds_store_b128 v153, v[9:12]
	ds_store_b128 v154, v[5:8]
	;; [unrolled: 1-line block ×16, first 2 shown]
	; wave barrier
.LBB78_48:                              ;   in Loop: Header=BB78_14 Depth=1
	s_and_b32 vcc_lo, exec_lo, s18
	s_cbranch_vccz .LBB78_50
; %bb.49:                               ;   in Loop: Header=BB78_14 Depth=1
	v_add_co_u32 v33, vcc_lo, v129, v0
	v_add_co_ci_u32_e32 v34, vcc_lo, 0, v130, vcc_lo
	s_clause 0x3
	global_load_b128 v[5:8], v[33:34], off
	global_load_b128 v[9:12], v[33:34], off offset:512
	global_load_b128 v[13:16], v[33:34], off offset:1024
	;; [unrolled: 1-line block ×3, first 2 shown]
	s_waitcnt lgkmcnt(4)
	v_add_co_u32 v65, vcc_lo, 0x1000, v33
	v_add_co_ci_u32_e32 v66, vcc_lo, 0, v34, vcc_lo
	s_clause 0x5
	global_load_b128 v[21:24], v[33:34], off offset:2048
	global_load_b128 v[25:28], v[33:34], off offset:2560
	;; [unrolled: 1-line block ×4, first 2 shown]
	global_load_b128 v[37:40], v[65:66], off
	global_load_b128 v[41:44], v[65:66], off offset:512
	s_waitcnt lgkmcnt(0)
	s_clause 0x5
	global_load_b128 v[45:48], v[65:66], off offset:1024
	global_load_b128 v[49:52], v[65:66], off offset:1536
	;; [unrolled: 1-line block ×6, first 2 shown]
	s_waitcnt vmcnt(15)
	ds_store_b128 v153, v[5:8]
	s_waitcnt vmcnt(14)
	ds_store_b128 v154, v[9:12]
	;; [unrolled: 2-line block ×16, first 2 shown]
	; wave barrier
.LBB78_50:                              ;   in Loop: Header=BB78_14 Depth=1
	ds_load_b128 v[9:12], v169
	ds_load_b128 v[5:8], v169 offset:16
	ds_load_b128 v[17:20], v169 offset:32
	;; [unrolled: 1-line block ×3, first 2 shown]
	s_waitcnt lgkmcnt(2)
	v_add_f64 v[21:22], v[9:10], v[5:6]
	v_add_f64 v[23:24], v[11:12], v[7:8]
	s_waitcnt lgkmcnt(1)
	s_delay_alu instid0(VALU_DEP_2) | instskip(NEXT) | instid1(VALU_DEP_2)
	v_add_f64 v[21:22], v[21:22], v[17:18]
	v_add_f64 v[23:24], v[23:24], v[19:20]
	s_waitcnt lgkmcnt(0)
	s_delay_alu instid0(VALU_DEP_2) | instskip(NEXT) | instid1(VALU_DEP_2)
	v_add_f64 v[29:30], v[21:22], v[13:14]
	v_add_f64 v[31:32], v[23:24], v[15:16]
	ds_load_b128 v[25:28], v169 offset:64
	ds_load_b128 v[21:24], v169 offset:80
	s_waitcnt lgkmcnt(1)
	v_add_f64 v[29:30], v[29:30], v[25:26]
	v_add_f64 v[31:32], v[31:32], v[27:28]
	s_waitcnt lgkmcnt(0)
	s_delay_alu instid0(VALU_DEP_2) | instskip(NEXT) | instid1(VALU_DEP_2)
	v_add_f64 v[37:38], v[29:30], v[21:22]
	v_add_f64 v[39:40], v[31:32], v[23:24]
	ds_load_b128 v[33:36], v169 offset:96
	ds_load_b128 v[29:32], v169 offset:112
	;; [unrolled: 1-line block ×10, first 2 shown]
	s_waitcnt lgkmcnt(0)
	s_waitcnt_vscnt null, 0x0
	s_barrier
	buffer_gl0_inv
	v_add_f64 v[37:38], v[37:38], v[33:34]
	v_add_f64 v[39:40], v[39:40], v[35:36]
	s_delay_alu instid0(VALU_DEP_2) | instskip(NEXT) | instid1(VALU_DEP_2)
	v_add_f64 v[37:38], v[37:38], v[29:30]
	v_add_f64 v[39:40], v[39:40], v[31:32]
	s_delay_alu instid0(VALU_DEP_2) | instskip(NEXT) | instid1(VALU_DEP_2)
	;; [unrolled: 3-line block ×9, first 2 shown]
	v_add_f64 v[37:38], v[37:38], v[73:74]
	v_add_f64 v[39:40], v[39:40], v[75:76]
	s_delay_alu instid0(VALU_DEP_2) | instskip(NEXT) | instid1(VALU_DEP_3)
	v_mov_b32_dpp v41, v37 row_shr:1 row_mask:0xf bank_mask:0xf
	v_mov_b32_dpp v42, v38 row_shr:1 row_mask:0xf bank_mask:0xf
	s_delay_alu instid0(VALU_DEP_3) | instskip(NEXT) | instid1(VALU_DEP_4)
	v_mov_b32_dpp v43, v39 row_shr:1 row_mask:0xf bank_mask:0xf
	v_mov_b32_dpp v44, v40 row_shr:1 row_mask:0xf bank_mask:0xf
	s_and_saveexec_b32 s14, s3
; %bb.51:                               ;   in Loop: Header=BB78_14 Depth=1
	s_delay_alu instid0(VALU_DEP_1)
	v_add_f64 v[39:40], v[39:40], v[43:44]
	v_add_f64 v[37:38], v[37:38], v[41:42]
; %bb.52:                               ;   in Loop: Header=BB78_14 Depth=1
	s_or_b32 exec_lo, exec_lo, s14
	s_delay_alu instid0(VALU_DEP_1) | instskip(NEXT) | instid1(VALU_DEP_2)
	v_mov_b32_dpp v41, v37 row_shr:2 row_mask:0xf bank_mask:0xf
	v_mov_b32_dpp v42, v38 row_shr:2 row_mask:0xf bank_mask:0xf
	s_delay_alu instid0(VALU_DEP_4)
	v_mov_b32_dpp v43, v39 row_shr:2 row_mask:0xf bank_mask:0xf
	v_mov_b32_dpp v44, v40 row_shr:2 row_mask:0xf bank_mask:0xf
	s_and_saveexec_b32 s14, s4
; %bb.53:                               ;   in Loop: Header=BB78_14 Depth=1
	s_delay_alu instid0(VALU_DEP_1)
	v_add_f64 v[39:40], v[39:40], v[43:44]
	v_add_f64 v[37:38], v[37:38], v[41:42]
; %bb.54:                               ;   in Loop: Header=BB78_14 Depth=1
	s_or_b32 exec_lo, exec_lo, s14
	s_delay_alu instid0(VALU_DEP_1) | instskip(NEXT) | instid1(VALU_DEP_2)
	v_mov_b32_dpp v41, v37 row_shr:4 row_mask:0xf bank_mask:0xf
	v_mov_b32_dpp v42, v38 row_shr:4 row_mask:0xf bank_mask:0xf
	s_delay_alu instid0(VALU_DEP_4)
	;; [unrolled: 13-line block ×3, first 2 shown]
	v_mov_b32_dpp v43, v39 row_shr:8 row_mask:0xf bank_mask:0xf
	v_mov_b32_dpp v44, v40 row_shr:8 row_mask:0xf bank_mask:0xf
	s_and_saveexec_b32 s14, s6
; %bb.57:                               ;   in Loop: Header=BB78_14 Depth=1
	s_delay_alu instid0(VALU_DEP_1)
	v_add_f64 v[39:40], v[39:40], v[43:44]
	v_add_f64 v[37:38], v[37:38], v[41:42]
; %bb.58:                               ;   in Loop: Header=BB78_14 Depth=1
	s_or_b32 exec_lo, exec_lo, s14
	ds_swizzle_b32 v41, v37 offset:swizzle(BROADCAST,32,15)
	ds_swizzle_b32 v42, v38 offset:swizzle(BROADCAST,32,15)
	;; [unrolled: 1-line block ×4, first 2 shown]
	s_and_saveexec_b32 s14, s7
	s_cbranch_execz .LBB78_60
; %bb.59:                               ;   in Loop: Header=BB78_14 Depth=1
	s_waitcnt lgkmcnt(0)
	v_add_f64 v[39:40], v[39:40], v[43:44]
	v_add_f64 v[37:38], v[37:38], v[41:42]
.LBB78_60:                              ;   in Loop: Header=BB78_14 Depth=1
	s_or_b32 exec_lo, exec_lo, s14
	s_and_saveexec_b32 s14, s8
	s_cbranch_execz .LBB78_62
; %bb.61:                               ;   in Loop: Header=BB78_14 Depth=1
	ds_store_b128 v170, v[37:40]
.LBB78_62:                              ;   in Loop: Header=BB78_14 Depth=1
	s_or_b32 exec_lo, exec_lo, s14
	s_waitcnt lgkmcnt(0)
	s_barrier
	buffer_gl0_inv
	s_and_saveexec_b32 s14, s9
	s_cbranch_execz .LBB78_68
; %bb.63:                               ;   in Loop: Header=BB78_14 Depth=1
	ds_load_b128 v[41:44], v135
	s_waitcnt lgkmcnt(0)
	v_mov_b32_dpp v57, v41 row_shr:1 row_mask:0xf bank_mask:0xf
	v_mov_b32_dpp v58, v42 row_shr:1 row_mask:0xf bank_mask:0xf
	;; [unrolled: 1-line block ×4, first 2 shown]
	s_and_saveexec_b32 s18, s10
; %bb.64:                               ;   in Loop: Header=BB78_14 Depth=1
	s_delay_alu instid0(VALU_DEP_1)
	v_add_f64 v[43:44], v[43:44], v[59:60]
	v_add_f64 v[41:42], v[41:42], v[57:58]
; %bb.65:                               ;   in Loop: Header=BB78_14 Depth=1
	s_or_b32 exec_lo, exec_lo, s18
	s_delay_alu instid0(VALU_DEP_1) | instskip(NEXT) | instid1(VALU_DEP_2)
	v_mov_b32_dpp v57, v41 row_shr:2 row_mask:0xf bank_mask:0xf
	v_mov_b32_dpp v58, v42 row_shr:2 row_mask:0xf bank_mask:0xf
	s_delay_alu instid0(VALU_DEP_4)
	v_mov_b32_dpp v59, v43 row_shr:2 row_mask:0xf bank_mask:0xf
	v_mov_b32_dpp v60, v44 row_shr:2 row_mask:0xf bank_mask:0xf
	s_and_saveexec_b32 s18, s11
; %bb.66:                               ;   in Loop: Header=BB78_14 Depth=1
	s_delay_alu instid0(VALU_DEP_1)
	v_add_f64 v[43:44], v[43:44], v[59:60]
	v_add_f64 v[41:42], v[41:42], v[57:58]
; %bb.67:                               ;   in Loop: Header=BB78_14 Depth=1
	s_or_b32 exec_lo, exec_lo, s18
	ds_store_b128 v135, v[41:44]
.LBB78_68:                              ;   in Loop: Header=BB78_14 Depth=1
	s_or_b32 exec_lo, exec_lo, s14
	v_mov_b32_e32 v43, 0
	v_mov_b32_e32 v44, 0
	s_delay_alu instid0(VALU_DEP_2)
	v_mov_b32_e32 v41, v43
	s_waitcnt lgkmcnt(0)
	s_barrier
	buffer_gl0_inv
	v_mov_b32_e32 v42, v44
	s_and_saveexec_b32 s14, s1
	s_cbranch_execz .LBB78_70
; %bb.69:                               ;   in Loop: Header=BB78_14 Depth=1
	ds_load_b128 v[41:44], v171
	s_waitcnt lgkmcnt(0)
	v_add_f64 v[37:38], v[37:38], v[41:42]
	v_add_f64 v[39:40], v[39:40], v[43:44]
.LBB78_70:                              ;   in Loop: Header=BB78_14 Depth=1
	s_or_b32 exec_lo, exec_lo, s14
	ds_bpermute_b32 v57, v172, v37
	ds_bpermute_b32 v59, v172, v38
	ds_bpermute_b32 v58, v172, v39
	ds_bpermute_b32 v60, v172, v40
	s_and_saveexec_b32 s14, s2
	s_cbranch_execz .LBB78_74
; %bb.71:                               ;   in Loop: Header=BB78_14 Depth=1
	ds_load_b128 v[37:40], v137 offset:48
	s_and_saveexec_b32 s18, s12
	s_cbranch_execz .LBB78_73
; %bb.72:                               ;   in Loop: Header=BB78_14 Depth=1
	ds_store_b128 v137, v[1:4] offset:48
.LBB78_73:                              ;   in Loop: Header=BB78_14 Depth=1
	s_or_b32 exec_lo, exec_lo, s18
	s_waitcnt lgkmcnt(0)
	v_add_f64 v[1:2], v[1:2], v[37:38]
	v_add_f64 v[3:4], v[3:4], v[39:40]
.LBB78_74:                              ;   in Loop: Header=BB78_14 Depth=1
	s_or_b32 exec_lo, exec_lo, s14
	s_waitcnt lgkmcnt(0)
	s_barrier
	buffer_gl0_inv
	ds_load_b128 v[37:40], v137 offset:48
	s_and_saveexec_b32 s14, s13
; %bb.75:                               ;   in Loop: Header=BB78_14 Depth=1
	v_cndmask_b32_e64 v44, v60, v44, s0
	v_cndmask_b32_e64 v42, v59, v42, s0
	;; [unrolled: 1-line block ×4, first 2 shown]
	s_delay_alu instid0(VALU_DEP_2) | instskip(NEXT) | instid1(VALU_DEP_2)
	v_add_f64 v[9:10], v[41:42], v[9:10]
	v_add_f64 v[11:12], v[43:44], v[11:12]
; %bb.76:                               ;   in Loop: Header=BB78_14 Depth=1
	s_or_b32 exec_lo, exec_lo, s14
	s_waitcnt lgkmcnt(0)
	s_delay_alu instid0(VALU_DEP_2) | instskip(NEXT) | instid1(VALU_DEP_2)
	v_add_f64 v[97:98], v[37:38], v[9:10]
	v_add_f64 v[99:100], v[39:40], v[11:12]
	s_and_b32 vcc_lo, exec_lo, s15
	s_barrier
	buffer_gl0_inv
	v_add_f64 v[93:94], v[97:98], v[5:6]
	v_add_f64 v[95:96], v[99:100], v[7:8]
	s_delay_alu instid0(VALU_DEP_2) | instskip(NEXT) | instid1(VALU_DEP_2)
	v_add_f64 v[89:90], v[93:94], v[17:18]
	v_add_f64 v[91:92], v[95:96], v[19:20]
	s_delay_alu instid0(VALU_DEP_2) | instskip(NEXT) | instid1(VALU_DEP_2)
	v_add_f64 v[85:86], v[89:90], v[13:14]
	v_add_f64 v[87:88], v[91:92], v[15:16]
	s_delay_alu instid0(VALU_DEP_2) | instskip(NEXT) | instid1(VALU_DEP_2)
	v_add_f64 v[81:82], v[85:86], v[25:26]
	v_add_f64 v[83:84], v[87:88], v[27:28]
	s_delay_alu instid0(VALU_DEP_2) | instskip(NEXT) | instid1(VALU_DEP_2)
	v_add_f64 v[57:58], v[81:82], v[21:22]
	v_add_f64 v[59:60], v[83:84], v[23:24]
	s_delay_alu instid0(VALU_DEP_2) | instskip(NEXT) | instid1(VALU_DEP_2)
	v_add_f64 v[41:42], v[57:58], v[33:34]
	v_add_f64 v[43:44], v[59:60], v[35:36]
	s_delay_alu instid0(VALU_DEP_2) | instskip(NEXT) | instid1(VALU_DEP_2)
	v_add_f64 v[37:38], v[41:42], v[29:30]
	v_add_f64 v[39:40], v[43:44], v[31:32]
	s_delay_alu instid0(VALU_DEP_2) | instskip(NEXT) | instid1(VALU_DEP_2)
	v_add_f64 v[33:34], v[37:38], v[49:50]
	v_add_f64 v[35:36], v[39:40], v[51:52]
	s_delay_alu instid0(VALU_DEP_2) | instskip(NEXT) | instid1(VALU_DEP_2)
	v_add_f64 v[29:30], v[33:34], v[45:46]
	v_add_f64 v[31:32], v[35:36], v[47:48]
	s_delay_alu instid0(VALU_DEP_2) | instskip(NEXT) | instid1(VALU_DEP_2)
	v_add_f64 v[25:26], v[29:30], v[61:62]
	v_add_f64 v[27:28], v[31:32], v[63:64]
	s_delay_alu instid0(VALU_DEP_2) | instskip(NEXT) | instid1(VALU_DEP_2)
	v_add_f64 v[21:22], v[25:26], v[53:54]
	v_add_f64 v[23:24], v[27:28], v[55:56]
	s_delay_alu instid0(VALU_DEP_2) | instskip(NEXT) | instid1(VALU_DEP_2)
	v_add_f64 v[17:18], v[21:22], v[69:70]
	v_add_f64 v[19:20], v[23:24], v[71:72]
	s_delay_alu instid0(VALU_DEP_2) | instskip(NEXT) | instid1(VALU_DEP_2)
	v_add_f64 v[13:14], v[17:18], v[65:66]
	v_add_f64 v[15:16], v[19:20], v[67:68]
	s_delay_alu instid0(VALU_DEP_2) | instskip(NEXT) | instid1(VALU_DEP_2)
	v_add_f64 v[9:10], v[13:14], v[77:78]
	v_add_f64 v[11:12], v[15:16], v[79:80]
	s_delay_alu instid0(VALU_DEP_2) | instskip(NEXT) | instid1(VALU_DEP_2)
	v_add_f64 v[5:6], v[9:10], v[73:74]
	v_add_f64 v[7:8], v[11:12], v[75:76]
	s_cbranch_vccz .LBB78_97
; %bb.77:                               ;   in Loop: Header=BB78_14 Depth=1
	ds_store_b128 v169, v[97:100]
	ds_store_b128 v169, v[93:96] offset:16
	ds_store_b128 v169, v[89:92] offset:32
	;; [unrolled: 1-line block ×15, first 2 shown]
	; wave barrier
	ds_load_b128 v[125:128], v154
	ds_load_b128 v[121:124], v155
	;; [unrolled: 1-line block ×15, first 2 shown]
	v_add_co_u32 v133, vcc_lo, v131, v0
	v_add_co_ci_u32_e32 v134, vcc_lo, 0, v132, vcc_lo
	s_mov_b32 s14, exec_lo
	v_cmpx_gt_u32_e64 s22, v136
	s_cbranch_execnz .LBB78_100
; %bb.78:                               ;   in Loop: Header=BB78_14 Depth=1
	s_or_b32 exec_lo, exec_lo, s14
	s_delay_alu instid0(SALU_CYCLE_1)
	s_mov_b32 s14, exec_lo
	v_cmpx_gt_u32_e64 s22, v138
	s_cbranch_execnz .LBB78_101
.LBB78_79:                              ;   in Loop: Header=BB78_14 Depth=1
	s_or_b32 exec_lo, exec_lo, s14
	s_delay_alu instid0(SALU_CYCLE_1)
	s_mov_b32 s14, exec_lo
	v_cmpx_gt_u32_e64 s22, v139
	s_cbranch_execnz .LBB78_102
.LBB78_80:                              ;   in Loop: Header=BB78_14 Depth=1
	s_or_b32 exec_lo, exec_lo, s14
	s_delay_alu instid0(SALU_CYCLE_1)
	s_mov_b32 s14, exec_lo
	v_cmpx_gt_u32_e64 s22, v140
	s_cbranch_execnz .LBB78_103
.LBB78_81:                              ;   in Loop: Header=BB78_14 Depth=1
	s_or_b32 exec_lo, exec_lo, s14
	s_delay_alu instid0(SALU_CYCLE_1)
	s_mov_b32 s14, exec_lo
	v_cmpx_gt_u32_e64 s22, v141
	s_cbranch_execnz .LBB78_104
.LBB78_82:                              ;   in Loop: Header=BB78_14 Depth=1
	s_or_b32 exec_lo, exec_lo, s14
	s_delay_alu instid0(SALU_CYCLE_1)
	s_mov_b32 s14, exec_lo
	v_cmpx_gt_u32_e64 s22, v142
	s_cbranch_execnz .LBB78_105
.LBB78_83:                              ;   in Loop: Header=BB78_14 Depth=1
	s_or_b32 exec_lo, exec_lo, s14
	s_delay_alu instid0(SALU_CYCLE_1)
	s_mov_b32 s14, exec_lo
	v_cmpx_gt_u32_e64 s22, v143
	s_cbranch_execnz .LBB78_106
.LBB78_84:                              ;   in Loop: Header=BB78_14 Depth=1
	s_or_b32 exec_lo, exec_lo, s14
	s_delay_alu instid0(SALU_CYCLE_1)
	s_mov_b32 s14, exec_lo
	v_cmpx_gt_u32_e64 s22, v144
	s_cbranch_execnz .LBB78_107
.LBB78_85:                              ;   in Loop: Header=BB78_14 Depth=1
	s_or_b32 exec_lo, exec_lo, s14
	s_delay_alu instid0(SALU_CYCLE_1)
	s_mov_b32 s14, exec_lo
	v_cmpx_gt_u32_e64 s22, v145
	s_cbranch_execnz .LBB78_108
.LBB78_86:                              ;   in Loop: Header=BB78_14 Depth=1
	s_or_b32 exec_lo, exec_lo, s14
	s_delay_alu instid0(SALU_CYCLE_1)
	s_mov_b32 s14, exec_lo
	v_cmpx_gt_u32_e64 s22, v146
	s_cbranch_execnz .LBB78_109
.LBB78_87:                              ;   in Loop: Header=BB78_14 Depth=1
	s_or_b32 exec_lo, exec_lo, s14
	s_delay_alu instid0(SALU_CYCLE_1)
	s_mov_b32 s14, exec_lo
	v_cmpx_gt_u32_e64 s22, v147
	s_cbranch_execnz .LBB78_110
.LBB78_88:                              ;   in Loop: Header=BB78_14 Depth=1
	s_or_b32 exec_lo, exec_lo, s14
	s_delay_alu instid0(SALU_CYCLE_1)
	s_mov_b32 s14, exec_lo
	v_cmpx_gt_u32_e64 s22, v148
	s_cbranch_execnz .LBB78_111
.LBB78_89:                              ;   in Loop: Header=BB78_14 Depth=1
	s_or_b32 exec_lo, exec_lo, s14
	s_delay_alu instid0(SALU_CYCLE_1)
	s_mov_b32 s14, exec_lo
	v_cmpx_gt_u32_e64 s22, v149
	s_cbranch_execnz .LBB78_112
.LBB78_90:                              ;   in Loop: Header=BB78_14 Depth=1
	s_or_b32 exec_lo, exec_lo, s14
	s_delay_alu instid0(SALU_CYCLE_1)
	s_mov_b32 s14, exec_lo
	v_cmpx_gt_u32_e64 s22, v150
	s_cbranch_execnz .LBB78_113
.LBB78_91:                              ;   in Loop: Header=BB78_14 Depth=1
	s_or_b32 exec_lo, exec_lo, s14
	s_delay_alu instid0(SALU_CYCLE_1)
	s_mov_b32 s14, exec_lo
	v_cmpx_gt_u32_e64 s22, v151
	s_cbranch_execz .LBB78_93
.LBB78_92:                              ;   in Loop: Header=BB78_14 Depth=1
	s_waitcnt lgkmcnt(2)
	v_add_co_u32 v53, vcc_lo, 0x1000, v133
	v_add_co_ci_u32_e32 v54, vcc_lo, 0, v134, vcc_lo
	s_waitcnt lgkmcnt(1)
	global_store_b128 v[53:54], v[49:52], off offset:3072
.LBB78_93:                              ;   in Loop: Header=BB78_14 Depth=1
	s_or_b32 exec_lo, exec_lo, s14
	v_cmp_gt_u32_e64 s14, s22, v152
	s_branch .LBB78_95
.LBB78_94:                              ;   in Loop: Header=BB78_14 Depth=1
	ds_store_b128 v169, v[97:100]
	ds_store_b128 v169, v[93:96] offset:16
	ds_store_b128 v169, v[89:92] offset:32
	;; [unrolled: 1-line block ×15, first 2 shown]
	; wave barrier
	ds_load_b128 v[5:8], v153
	ds_load_b128 v[9:12], v154
	;; [unrolled: 1-line block ×10, first 2 shown]
	s_waitcnt lgkmcnt(27)
	ds_load_b128 v[49:52], v163
	ds_load_b128 v[53:56], v164
	;; [unrolled: 1-line block ×5, first 2 shown]
	s_waitcnt lgkmcnt(31)
	ds_load_b128 v[45:48], v168
	v_add_co_u32 v71, s15, s16, v173
	v_add_co_u32 v69, vcc_lo, v131, v0
	v_add_co_ci_u32_e64 v72, null, s17, 0, s15
	v_add_co_ci_u32_e32 v70, vcc_lo, 0, v132, vcc_lo
	s_delay_alu instid0(VALU_DEP_4) | instskip(NEXT) | instid1(VALU_DEP_3)
	v_add_co_u32 v133, vcc_lo, v71, v174
	v_add_co_ci_u32_e32 v134, vcc_lo, 0, v72, vcc_lo
	s_waitcnt lgkmcnt(15)
	global_store_b128 v[69:70], v[5:8], off
	s_waitcnt lgkmcnt(14)
	global_store_b128 v[69:70], v[9:12], off offset:512
	s_waitcnt lgkmcnt(13)
	global_store_b128 v[69:70], v[13:16], off offset:1024
	;; [unrolled: 2-line block ×3, first 2 shown]
	v_add_co_u32 v5, vcc_lo, 0x1000, v69
	v_add_co_ci_u32_e32 v6, vcc_lo, 0, v70, vcc_lo
	s_or_b32 s14, s14, exec_lo
	s_waitcnt lgkmcnt(11)
	global_store_b128 v[69:70], v[21:24], off offset:2048
	s_waitcnt lgkmcnt(10)
	global_store_b128 v[69:70], v[25:28], off offset:2560
	s_waitcnt lgkmcnt(9)
	global_store_b128 v[69:70], v[29:32], off offset:3072
	s_waitcnt lgkmcnt(8)
	global_store_b128 v[69:70], v[33:36], off offset:3584
	s_waitcnt lgkmcnt(7)
	global_store_b128 v[5:6], v[37:40], off
	s_waitcnt lgkmcnt(6)
	global_store_b128 v[5:6], v[41:44], off offset:512
	s_waitcnt lgkmcnt(5)
	global_store_b128 v[5:6], v[49:52], off offset:1024
	;; [unrolled: 2-line block ×6, first 2 shown]
.LBB78_95:                              ;   in Loop: Header=BB78_14 Depth=1
	s_delay_alu instid0(VALU_DEP_1)
	s_and_saveexec_b32 s15, s14
	s_cbranch_execnz .LBB78_98
; %bb.96:                               ;   in Loop: Header=BB78_14 Depth=1
	s_or_b32 exec_lo, exec_lo, s15
	v_cmp_gt_i64_e64 s14, 0x801, s[22:23]
	s_delay_alu instid0(VALU_DEP_1)
	s_and_b32 vcc_lo, exec_lo, s14
	s_cbranch_vccz .LBB78_13
	s_branch .LBB78_99
.LBB78_97:                              ;   in Loop: Header=BB78_14 Depth=1
	s_mov_b32 s14, 0
                                        ; implicit-def: $vgpr47_vgpr48
                                        ; implicit-def: $vgpr133_vgpr134
	s_cbranch_execnz .LBB78_94
	s_branch .LBB78_95
.LBB78_98:                              ;   in Loop: Header=BB78_14 Depth=1
	v_add_co_u32 v5, vcc_lo, 0x1000, v133
	v_add_co_ci_u32_e32 v6, vcc_lo, 0, v134, vcc_lo
	s_waitcnt lgkmcnt(0)
	global_store_b128 v[5:6], v[45:48], off offset:3584
	s_or_b32 exec_lo, exec_lo, s15
	v_cmp_gt_i64_e64 s14, 0x801, s[22:23]
	s_delay_alu instid0(VALU_DEP_1)
	s_and_b32 vcc_lo, exec_lo, s14
	s_cbranch_vccz .LBB78_13
.LBB78_99:
                                        ; implicit-def: $vgpr1_vgpr2
                                        ; implicit-def: $sgpr22_sgpr23
                                        ; implicit-def: $sgpr16_sgpr17
                                        ; implicit-def: $sgpr24
                                        ; implicit-def: $vgpr129_vgpr130
                                        ; implicit-def: $vgpr131_vgpr132
	s_branch .LBB78_114
.LBB78_100:                             ;   in Loop: Header=BB78_14 Depth=1
	ds_load_b128 v[175:178], v153
	s_waitcnt lgkmcnt(0)
	global_store_b128 v[133:134], v[175:178], off
	s_or_b32 exec_lo, exec_lo, s14
	s_delay_alu instid0(SALU_CYCLE_1)
	s_mov_b32 s14, exec_lo
	v_cmpx_gt_u32_e64 s22, v138
	s_cbranch_execz .LBB78_79
.LBB78_101:                             ;   in Loop: Header=BB78_14 Depth=1
	s_waitcnt lgkmcnt(14)
	global_store_b128 v[133:134], v[125:128], off offset:512
	s_or_b32 exec_lo, exec_lo, s14
	s_delay_alu instid0(SALU_CYCLE_1)
	s_mov_b32 s14, exec_lo
	v_cmpx_gt_u32_e64 s22, v139
	s_cbranch_execz .LBB78_80
.LBB78_102:                             ;   in Loop: Header=BB78_14 Depth=1
	s_waitcnt lgkmcnt(13)
	global_store_b128 v[133:134], v[121:124], off offset:1024
	s_or_b32 exec_lo, exec_lo, s14
	s_delay_alu instid0(SALU_CYCLE_1)
	s_mov_b32 s14, exec_lo
	v_cmpx_gt_u32_e64 s22, v140
	s_cbranch_execz .LBB78_81
.LBB78_103:                             ;   in Loop: Header=BB78_14 Depth=1
	s_waitcnt lgkmcnt(12)
	global_store_b128 v[133:134], v[117:120], off offset:1536
	s_or_b32 exec_lo, exec_lo, s14
	s_delay_alu instid0(SALU_CYCLE_1)
	s_mov_b32 s14, exec_lo
	v_cmpx_gt_u32_e64 s22, v141
	s_cbranch_execz .LBB78_82
.LBB78_104:                             ;   in Loop: Header=BB78_14 Depth=1
	s_waitcnt lgkmcnt(11)
	global_store_b128 v[133:134], v[113:116], off offset:2048
	s_or_b32 exec_lo, exec_lo, s14
	s_delay_alu instid0(SALU_CYCLE_1)
	s_mov_b32 s14, exec_lo
	v_cmpx_gt_u32_e64 s22, v142
	s_cbranch_execz .LBB78_83
.LBB78_105:                             ;   in Loop: Header=BB78_14 Depth=1
	s_waitcnt lgkmcnt(10)
	global_store_b128 v[133:134], v[109:112], off offset:2560
	s_or_b32 exec_lo, exec_lo, s14
	s_delay_alu instid0(SALU_CYCLE_1)
	s_mov_b32 s14, exec_lo
	v_cmpx_gt_u32_e64 s22, v143
	s_cbranch_execz .LBB78_84
.LBB78_106:                             ;   in Loop: Header=BB78_14 Depth=1
	s_waitcnt lgkmcnt(9)
	global_store_b128 v[133:134], v[105:108], off offset:3072
	s_or_b32 exec_lo, exec_lo, s14
	s_delay_alu instid0(SALU_CYCLE_1)
	s_mov_b32 s14, exec_lo
	v_cmpx_gt_u32_e64 s22, v144
	s_cbranch_execz .LBB78_85
.LBB78_107:                             ;   in Loop: Header=BB78_14 Depth=1
	s_waitcnt lgkmcnt(8)
	global_store_b128 v[133:134], v[101:104], off offset:3584
	s_or_b32 exec_lo, exec_lo, s14
	s_delay_alu instid0(SALU_CYCLE_1)
	s_mov_b32 s14, exec_lo
	v_cmpx_gt_u32_e64 s22, v145
	s_cbranch_execz .LBB78_86
.LBB78_108:                             ;   in Loop: Header=BB78_14 Depth=1
	s_waitcnt lgkmcnt(8)
	v_add_co_u32 v101, vcc_lo, 0x1000, v133
	v_add_co_ci_u32_e32 v102, vcc_lo, 0, v134, vcc_lo
	s_waitcnt lgkmcnt(7)
	global_store_b128 v[101:102], v[77:80], off
	s_or_b32 exec_lo, exec_lo, s14
	s_delay_alu instid0(SALU_CYCLE_1)
	s_mov_b32 s14, exec_lo
	v_cmpx_gt_u32_e64 s22, v146
	s_cbranch_execz .LBB78_87
.LBB78_109:                             ;   in Loop: Header=BB78_14 Depth=1
	s_waitcnt lgkmcnt(7)
	v_add_co_u32 v77, vcc_lo, 0x1000, v133
	v_add_co_ci_u32_e32 v78, vcc_lo, 0, v134, vcc_lo
	s_waitcnt lgkmcnt(6)
	global_store_b128 v[77:78], v[73:76], off offset:512
	s_or_b32 exec_lo, exec_lo, s14
	s_delay_alu instid0(SALU_CYCLE_1)
	s_mov_b32 s14, exec_lo
	v_cmpx_gt_u32_e64 s22, v147
	s_cbranch_execz .LBB78_88
.LBB78_110:                             ;   in Loop: Header=BB78_14 Depth=1
	s_waitcnt lgkmcnt(6)
	v_add_co_u32 v73, vcc_lo, 0x1000, v133
	v_add_co_ci_u32_e32 v74, vcc_lo, 0, v134, vcc_lo
	s_waitcnt lgkmcnt(5)
	global_store_b128 v[73:74], v[69:72], off offset:1024
	s_or_b32 exec_lo, exec_lo, s14
	s_delay_alu instid0(SALU_CYCLE_1)
	s_mov_b32 s14, exec_lo
	v_cmpx_gt_u32_e64 s22, v148
	s_cbranch_execz .LBB78_89
.LBB78_111:                             ;   in Loop: Header=BB78_14 Depth=1
	s_waitcnt lgkmcnt(5)
	v_add_co_u32 v69, vcc_lo, 0x1000, v133
	v_add_co_ci_u32_e32 v70, vcc_lo, 0, v134, vcc_lo
	s_waitcnt lgkmcnt(4)
	global_store_b128 v[69:70], v[65:68], off offset:1536
	s_or_b32 exec_lo, exec_lo, s14
	s_delay_alu instid0(SALU_CYCLE_1)
	s_mov_b32 s14, exec_lo
	v_cmpx_gt_u32_e64 s22, v149
	s_cbranch_execz .LBB78_90
.LBB78_112:                             ;   in Loop: Header=BB78_14 Depth=1
	s_waitcnt lgkmcnt(4)
	v_add_co_u32 v65, vcc_lo, 0x1000, v133
	v_add_co_ci_u32_e32 v66, vcc_lo, 0, v134, vcc_lo
	s_waitcnt lgkmcnt(3)
	global_store_b128 v[65:66], v[61:64], off offset:2048
	s_or_b32 exec_lo, exec_lo, s14
	s_delay_alu instid0(SALU_CYCLE_1)
	s_mov_b32 s14, exec_lo
	v_cmpx_gt_u32_e64 s22, v150
	s_cbranch_execz .LBB78_91
.LBB78_113:                             ;   in Loop: Header=BB78_14 Depth=1
	s_waitcnt lgkmcnt(3)
	v_add_co_u32 v61, vcc_lo, 0x1000, v133
	v_add_co_ci_u32_e32 v62, vcc_lo, 0, v134, vcc_lo
	s_waitcnt lgkmcnt(2)
	global_store_b128 v[61:62], v[53:56], off offset:2560
	s_or_b32 exec_lo, exec_lo, s14
	s_delay_alu instid0(SALU_CYCLE_1)
	s_mov_b32 s14, exec_lo
	v_cmpx_gt_u32_e64 s22, v151
	s_cbranch_execnz .LBB78_92
	s_branch .LBB78_93
.LBB78_114:
	s_nop 0
	s_sendmsg sendmsg(MSG_DEALLOC_VGPRS)
	s_endpgm
	.section	.rodata,"a",@progbits
	.p2align	6, 0x0
	.amdhsa_kernel _ZN2at4cuda3cub17final_scan_kernelILi128ELi16EN3c107complexIdEEEEvPKT1_PS6_S9_li
		.amdhsa_group_segment_fixed_size 33792
		.amdhsa_private_segment_fixed_size 0
		.amdhsa_kernarg_size 296
		.amdhsa_user_sgpr_count 15
		.amdhsa_user_sgpr_dispatch_ptr 0
		.amdhsa_user_sgpr_queue_ptr 0
		.amdhsa_user_sgpr_kernarg_segment_ptr 1
		.amdhsa_user_sgpr_dispatch_id 0
		.amdhsa_user_sgpr_private_segment_size 0
		.amdhsa_wavefront_size32 1
		.amdhsa_uses_dynamic_stack 0
		.amdhsa_enable_private_segment 0
		.amdhsa_system_sgpr_workgroup_id_x 1
		.amdhsa_system_sgpr_workgroup_id_y 0
		.amdhsa_system_sgpr_workgroup_id_z 0
		.amdhsa_system_sgpr_workgroup_info 0
		.amdhsa_system_vgpr_workitem_id 0
		.amdhsa_next_free_vgpr 179
		.amdhsa_next_free_sgpr 25
		.amdhsa_reserve_vcc 1
		.amdhsa_float_round_mode_32 0
		.amdhsa_float_round_mode_16_64 0
		.amdhsa_float_denorm_mode_32 3
		.amdhsa_float_denorm_mode_16_64 3
		.amdhsa_dx10_clamp 1
		.amdhsa_ieee_mode 1
		.amdhsa_fp16_overflow 0
		.amdhsa_workgroup_processor_mode 1
		.amdhsa_memory_ordered 1
		.amdhsa_forward_progress 0
		.amdhsa_shared_vgpr_count 0
		.amdhsa_exception_fp_ieee_invalid_op 0
		.amdhsa_exception_fp_denorm_src 0
		.amdhsa_exception_fp_ieee_div_zero 0
		.amdhsa_exception_fp_ieee_overflow 0
		.amdhsa_exception_fp_ieee_underflow 0
		.amdhsa_exception_fp_ieee_inexact 0
		.amdhsa_exception_int_div_zero 0
	.end_amdhsa_kernel
	.section	.text._ZN2at4cuda3cub17final_scan_kernelILi128ELi16EN3c107complexIdEEEEvPKT1_PS6_S9_li,"axG",@progbits,_ZN2at4cuda3cub17final_scan_kernelILi128ELi16EN3c107complexIdEEEEvPKT1_PS6_S9_li,comdat
.Lfunc_end78:
	.size	_ZN2at4cuda3cub17final_scan_kernelILi128ELi16EN3c107complexIdEEEEvPKT1_PS6_S9_li, .Lfunc_end78-_ZN2at4cuda3cub17final_scan_kernelILi128ELi16EN3c107complexIdEEEEvPKT1_PS6_S9_li
                                        ; -- End function
	.section	.AMDGPU.csdata,"",@progbits
; Kernel info:
; codeLenInByte = 6512
; NumSgprs: 27
; NumVgprs: 179
; ScratchSize: 0
; MemoryBound: 1
; FloatMode: 240
; IeeeMode: 1
; LDSByteSize: 33792 bytes/workgroup (compile time only)
; SGPRBlocks: 3
; VGPRBlocks: 22
; NumSGPRsForWavesPerEU: 27
; NumVGPRsForWavesPerEU: 179
; Occupancy: 8
; WaveLimiterHint : 1
; COMPUTE_PGM_RSRC2:SCRATCH_EN: 0
; COMPUTE_PGM_RSRC2:USER_SGPR: 15
; COMPUTE_PGM_RSRC2:TRAP_HANDLER: 0
; COMPUTE_PGM_RSRC2:TGID_X_EN: 1
; COMPUTE_PGM_RSRC2:TGID_Y_EN: 0
; COMPUTE_PGM_RSRC2:TGID_Z_EN: 0
; COMPUTE_PGM_RSRC2:TIDIG_COMP_CNT: 0
	.section	.text._ZN7rocprim17ROCPRIM_304000_NS6detail31init_lookback_scan_state_kernelINS1_19lookback_scan_stateIN3c107complexIdEELb1ELb0EEEEEvT_jjPNS8_10value_typeE,"axG",@progbits,_ZN7rocprim17ROCPRIM_304000_NS6detail31init_lookback_scan_state_kernelINS1_19lookback_scan_stateIN3c107complexIdEELb1ELb0EEEEEvT_jjPNS8_10value_typeE,comdat
	.protected	_ZN7rocprim17ROCPRIM_304000_NS6detail31init_lookback_scan_state_kernelINS1_19lookback_scan_stateIN3c107complexIdEELb1ELb0EEEEEvT_jjPNS8_10value_typeE ; -- Begin function _ZN7rocprim17ROCPRIM_304000_NS6detail31init_lookback_scan_state_kernelINS1_19lookback_scan_stateIN3c107complexIdEELb1ELb0EEEEEvT_jjPNS8_10value_typeE
	.globl	_ZN7rocprim17ROCPRIM_304000_NS6detail31init_lookback_scan_state_kernelINS1_19lookback_scan_stateIN3c107complexIdEELb1ELb0EEEEEvT_jjPNS8_10value_typeE
	.p2align	8
	.type	_ZN7rocprim17ROCPRIM_304000_NS6detail31init_lookback_scan_state_kernelINS1_19lookback_scan_stateIN3c107complexIdEELb1ELb0EEEEEvT_jjPNS8_10value_typeE,@function
_ZN7rocprim17ROCPRIM_304000_NS6detail31init_lookback_scan_state_kernelINS1_19lookback_scan_stateIN3c107complexIdEELb1ELb0EEEEEvT_jjPNS8_10value_typeE: ; @_ZN7rocprim17ROCPRIM_304000_NS6detail31init_lookback_scan_state_kernelINS1_19lookback_scan_stateIN3c107complexIdEELb1ELb0EEEEEvT_jjPNS8_10value_typeE
; %bb.0:
	s_clause 0x2
	s_load_b32 s2, s[0:1], 0x34
	s_load_b64 s[8:9], s[0:1], 0x20
	s_load_b128 s[4:7], s[0:1], 0x10
	s_waitcnt lgkmcnt(0)
	s_and_b32 s2, s2, 0xffff
	s_cmp_eq_u64 s[8:9], 0
	v_mad_u64_u32 v[1:2], null, s15, s2, v[0:1]
	s_cbranch_scc1 .LBB79_11
; %bb.1:
	s_cmp_lt_u32 s7, s6
	s_mov_b32 s11, 0
	s_cselect_b32 s2, s7, 0
	s_mov_b32 s14, exec_lo
	s_delay_alu instid0(VALU_DEP_1)
	v_cmpx_eq_u32_e64 s2, v1
	s_cbranch_execz .LBB79_10
; %bb.2:
	s_add_i32 s10, s7, 32
	s_load_b128 s[0:3], s[0:1], 0x0
	v_mov_b32_e32 v0, s10
	s_add_u32 s12, s4, s10
	s_addc_u32 s13, s5, 0
	global_load_u8 v0, v0, s[4:5] glc
	s_waitcnt vmcnt(0)
	v_cmp_ne_u16_e32 vcc_lo, 0, v0
	v_readfirstlane_b32 s7, v0
	s_cbranch_vccz .LBB79_4
; %bb.3:
	s_delay_alu instid0(VALU_DEP_1)
	s_and_b32 s7, 0xffff, s7
	s_branch .LBB79_9
.LBB79_4:
	v_mov_b32_e32 v0, 0
	s_mov_b32 s7, 1
.LBB79_5:                               ; =>This Loop Header: Depth=1
                                        ;     Child Loop BB79_6 Depth 2
	s_delay_alu instid0(SALU_CYCLE_1)
	s_max_u32 s15, s7, 1
.LBB79_6:                               ;   Parent Loop BB79_5 Depth=1
                                        ; =>  This Inner Loop Header: Depth=2
	s_delay_alu instid0(SALU_CYCLE_1)
	s_add_i32 s15, s15, -1
	s_sleep 1
	s_cmp_eq_u32 s15, 0
	s_cbranch_scc0 .LBB79_6
; %bb.7:                                ;   in Loop: Header=BB79_5 Depth=1
	global_load_u8 v2, v0, s[12:13] glc
	s_cmp_lt_u32 s7, 32
	s_cselect_b32 s15, -1, 0
	s_delay_alu instid0(SALU_CYCLE_1)
	s_cmp_lg_u32 s15, 0
	s_addc_u32 s7, s7, 0
	s_waitcnt vmcnt(0)
	v_cmp_ne_u16_e32 vcc_lo, 0, v2
	v_readfirstlane_b32 s15, v2
	s_cbranch_vccz .LBB79_5
; %bb.8:
	s_delay_alu instid0(VALU_DEP_1)
	s_and_b32 s7, 0xffff, s15
.LBB79_9:
	s_delay_alu instid0(SALU_CYCLE_1)
	s_cmp_eq_u32 s7, 1
	v_mov_b32_e32 v0, 0
	s_waitcnt lgkmcnt(0)
	s_cselect_b32 s3, s1, s3
	s_cselect_b32 s2, s0, s2
	s_lshl_b64 s[0:1], s[10:11], 4
	buffer_gl1_inv
	buffer_gl0_inv
	s_add_u32 s0, s2, s0
	s_addc_u32 s1, s3, s1
	global_load_b128 v[2:5], v0, s[0:1]
	s_waitcnt vmcnt(0)
	global_store_b128 v0, v[2:5], s[8:9]
.LBB79_10:
	s_or_b32 exec_lo, exec_lo, s14
.LBB79_11:
	s_delay_alu instid0(SALU_CYCLE_1) | instskip(NEXT) | instid1(VALU_DEP_1)
	s_mov_b32 s0, exec_lo
	v_cmpx_gt_u32_e64 s6, v1
	s_cbranch_execz .LBB79_13
; %bb.12:
	v_add_nc_u32_e32 v0, 32, v1
	v_mov_b32_e32 v2, 0
	global_store_b8 v0, v2, s[4:5]
.LBB79_13:
	s_or_b32 exec_lo, exec_lo, s0
	s_delay_alu instid0(SALU_CYCLE_1)
	s_mov_b32 s0, exec_lo
	v_cmpx_gt_u32_e32 32, v1
	s_cbranch_execz .LBB79_15
; %bb.14:
	v_mov_b32_e32 v0, 0xff
	global_store_b8 v1, v0, s[4:5]
.LBB79_15:
	s_nop 0
	s_sendmsg sendmsg(MSG_DEALLOC_VGPRS)
	s_endpgm
	.section	.rodata,"a",@progbits
	.p2align	6, 0x0
	.amdhsa_kernel _ZN7rocprim17ROCPRIM_304000_NS6detail31init_lookback_scan_state_kernelINS1_19lookback_scan_stateIN3c107complexIdEELb1ELb0EEEEEvT_jjPNS8_10value_typeE
		.amdhsa_group_segment_fixed_size 0
		.amdhsa_private_segment_fixed_size 0
		.amdhsa_kernarg_size 296
		.amdhsa_user_sgpr_count 15
		.amdhsa_user_sgpr_dispatch_ptr 0
		.amdhsa_user_sgpr_queue_ptr 0
		.amdhsa_user_sgpr_kernarg_segment_ptr 1
		.amdhsa_user_sgpr_dispatch_id 0
		.amdhsa_user_sgpr_private_segment_size 0
		.amdhsa_wavefront_size32 1
		.amdhsa_uses_dynamic_stack 0
		.amdhsa_enable_private_segment 0
		.amdhsa_system_sgpr_workgroup_id_x 1
		.amdhsa_system_sgpr_workgroup_id_y 0
		.amdhsa_system_sgpr_workgroup_id_z 0
		.amdhsa_system_sgpr_workgroup_info 0
		.amdhsa_system_vgpr_workitem_id 0
		.amdhsa_next_free_vgpr 6
		.amdhsa_next_free_sgpr 16
		.amdhsa_reserve_vcc 1
		.amdhsa_float_round_mode_32 0
		.amdhsa_float_round_mode_16_64 0
		.amdhsa_float_denorm_mode_32 3
		.amdhsa_float_denorm_mode_16_64 3
		.amdhsa_dx10_clamp 1
		.amdhsa_ieee_mode 1
		.amdhsa_fp16_overflow 0
		.amdhsa_workgroup_processor_mode 1
		.amdhsa_memory_ordered 1
		.amdhsa_forward_progress 0
		.amdhsa_shared_vgpr_count 0
		.amdhsa_exception_fp_ieee_invalid_op 0
		.amdhsa_exception_fp_denorm_src 0
		.amdhsa_exception_fp_ieee_div_zero 0
		.amdhsa_exception_fp_ieee_overflow 0
		.amdhsa_exception_fp_ieee_underflow 0
		.amdhsa_exception_fp_ieee_inexact 0
		.amdhsa_exception_int_div_zero 0
	.end_amdhsa_kernel
	.section	.text._ZN7rocprim17ROCPRIM_304000_NS6detail31init_lookback_scan_state_kernelINS1_19lookback_scan_stateIN3c107complexIdEELb1ELb0EEEEEvT_jjPNS8_10value_typeE,"axG",@progbits,_ZN7rocprim17ROCPRIM_304000_NS6detail31init_lookback_scan_state_kernelINS1_19lookback_scan_stateIN3c107complexIdEELb1ELb0EEEEEvT_jjPNS8_10value_typeE,comdat
.Lfunc_end79:
	.size	_ZN7rocprim17ROCPRIM_304000_NS6detail31init_lookback_scan_state_kernelINS1_19lookback_scan_stateIN3c107complexIdEELb1ELb0EEEEEvT_jjPNS8_10value_typeE, .Lfunc_end79-_ZN7rocprim17ROCPRIM_304000_NS6detail31init_lookback_scan_state_kernelINS1_19lookback_scan_stateIN3c107complexIdEELb1ELb0EEEEEvT_jjPNS8_10value_typeE
                                        ; -- End function
	.section	.AMDGPU.csdata,"",@progbits
; Kernel info:
; codeLenInByte = 404
; NumSgprs: 18
; NumVgprs: 6
; ScratchSize: 0
; MemoryBound: 0
; FloatMode: 240
; IeeeMode: 1
; LDSByteSize: 0 bytes/workgroup (compile time only)
; SGPRBlocks: 2
; VGPRBlocks: 0
; NumSGPRsForWavesPerEU: 18
; NumVGPRsForWavesPerEU: 6
; Occupancy: 16
; WaveLimiterHint : 0
; COMPUTE_PGM_RSRC2:SCRATCH_EN: 0
; COMPUTE_PGM_RSRC2:USER_SGPR: 15
; COMPUTE_PGM_RSRC2:TRAP_HANDLER: 0
; COMPUTE_PGM_RSRC2:TGID_X_EN: 1
; COMPUTE_PGM_RSRC2:TGID_Y_EN: 0
; COMPUTE_PGM_RSRC2:TGID_Z_EN: 0
; COMPUTE_PGM_RSRC2:TIDIG_COMP_CNT: 0
	.section	.text._ZN7rocprim17ROCPRIM_304000_NS6detail31init_lookback_scan_state_kernelINS1_19lookback_scan_stateIN3c107complexIdEELb0ELb0EEEEEvT_jjPNS8_10value_typeE,"axG",@progbits,_ZN7rocprim17ROCPRIM_304000_NS6detail31init_lookback_scan_state_kernelINS1_19lookback_scan_stateIN3c107complexIdEELb0ELb0EEEEEvT_jjPNS8_10value_typeE,comdat
	.protected	_ZN7rocprim17ROCPRIM_304000_NS6detail31init_lookback_scan_state_kernelINS1_19lookback_scan_stateIN3c107complexIdEELb0ELb0EEEEEvT_jjPNS8_10value_typeE ; -- Begin function _ZN7rocprim17ROCPRIM_304000_NS6detail31init_lookback_scan_state_kernelINS1_19lookback_scan_stateIN3c107complexIdEELb0ELb0EEEEEvT_jjPNS8_10value_typeE
	.globl	_ZN7rocprim17ROCPRIM_304000_NS6detail31init_lookback_scan_state_kernelINS1_19lookback_scan_stateIN3c107complexIdEELb0ELb0EEEEEvT_jjPNS8_10value_typeE
	.p2align	8
	.type	_ZN7rocprim17ROCPRIM_304000_NS6detail31init_lookback_scan_state_kernelINS1_19lookback_scan_stateIN3c107complexIdEELb0ELb0EEEEEvT_jjPNS8_10value_typeE,@function
_ZN7rocprim17ROCPRIM_304000_NS6detail31init_lookback_scan_state_kernelINS1_19lookback_scan_stateIN3c107complexIdEELb0ELb0EEEEEvT_jjPNS8_10value_typeE: ; @_ZN7rocprim17ROCPRIM_304000_NS6detail31init_lookback_scan_state_kernelINS1_19lookback_scan_stateIN3c107complexIdEELb0ELb0EEEEEvT_jjPNS8_10value_typeE
; %bb.0:
	s_clause 0x2
	s_load_b32 s2, s[0:1], 0x34
	s_load_b64 s[8:9], s[0:1], 0x20
	s_load_b128 s[4:7], s[0:1], 0x10
	s_waitcnt lgkmcnt(0)
	s_and_b32 s2, s2, 0xffff
	s_cmp_eq_u64 s[8:9], 0
	v_mad_u64_u32 v[1:2], null, s15, s2, v[0:1]
	s_cbranch_scc1 .LBB80_7
; %bb.1:
	s_cmp_lt_u32 s7, s6
	s_mov_b32 s11, 0
	s_cselect_b32 s2, s7, 0
	s_mov_b32 s14, exec_lo
	s_delay_alu instid0(VALU_DEP_1)
	v_cmpx_eq_u32_e64 s2, v1
	s_cbranch_execz .LBB80_6
; %bb.2:
	s_add_i32 s10, s7, 32
	s_load_b128 s[0:3], s[0:1], 0x0
	v_mov_b32_e32 v0, s10
	s_add_u32 s12, s4, s10
	s_addc_u32 s13, s5, 0
	global_load_u8 v0, v0, s[4:5] glc
	s_waitcnt vmcnt(0)
	v_cmp_ne_u16_e32 vcc_lo, 0, v0
	v_readfirstlane_b32 s7, v0
	s_cbranch_vccnz .LBB80_5
; %bb.3:
	v_mov_b32_e32 v0, 0
.LBB80_4:                               ; =>This Inner Loop Header: Depth=1
	global_load_u8 v2, v0, s[12:13] glc
	s_waitcnt vmcnt(0)
	v_cmp_eq_u16_e32 vcc_lo, 0, v2
	v_readfirstlane_b32 s7, v2
	s_cbranch_vccnz .LBB80_4
.LBB80_5:
	s_delay_alu instid0(VALU_DEP_1)
	s_and_b32 s7, 0xffff, s7
	v_mov_b32_e32 v0, 0
	s_cmp_eq_u32 s7, 1
	s_waitcnt lgkmcnt(0)
	buffer_gl1_inv
	buffer_gl0_inv
	s_cselect_b32 s3, s1, s3
	s_cselect_b32 s2, s0, s2
	s_lshl_b64 s[0:1], s[10:11], 4
	s_delay_alu instid0(SALU_CYCLE_1)
	s_add_u32 s0, s2, s0
	s_addc_u32 s1, s3, s1
	global_load_b128 v[2:5], v0, s[0:1]
	s_waitcnt vmcnt(0)
	global_store_b128 v0, v[2:5], s[8:9]
.LBB80_6:
	s_or_b32 exec_lo, exec_lo, s14
.LBB80_7:
	s_delay_alu instid0(SALU_CYCLE_1) | instskip(NEXT) | instid1(VALU_DEP_1)
	s_mov_b32 s0, exec_lo
	v_cmpx_gt_u32_e64 s6, v1
	s_cbranch_execz .LBB80_9
; %bb.8:
	v_add_nc_u32_e32 v0, 32, v1
	v_mov_b32_e32 v2, 0
	global_store_b8 v0, v2, s[4:5]
.LBB80_9:
	s_or_b32 exec_lo, exec_lo, s0
	s_delay_alu instid0(SALU_CYCLE_1)
	s_mov_b32 s0, exec_lo
	v_cmpx_gt_u32_e32 32, v1
	s_cbranch_execz .LBB80_11
; %bb.10:
	v_mov_b32_e32 v0, 0xff
	global_store_b8 v1, v0, s[4:5]
.LBB80_11:
	s_nop 0
	s_sendmsg sendmsg(MSG_DEALLOC_VGPRS)
	s_endpgm
	.section	.rodata,"a",@progbits
	.p2align	6, 0x0
	.amdhsa_kernel _ZN7rocprim17ROCPRIM_304000_NS6detail31init_lookback_scan_state_kernelINS1_19lookback_scan_stateIN3c107complexIdEELb0ELb0EEEEEvT_jjPNS8_10value_typeE
		.amdhsa_group_segment_fixed_size 0
		.amdhsa_private_segment_fixed_size 0
		.amdhsa_kernarg_size 296
		.amdhsa_user_sgpr_count 15
		.amdhsa_user_sgpr_dispatch_ptr 0
		.amdhsa_user_sgpr_queue_ptr 0
		.amdhsa_user_sgpr_kernarg_segment_ptr 1
		.amdhsa_user_sgpr_dispatch_id 0
		.amdhsa_user_sgpr_private_segment_size 0
		.amdhsa_wavefront_size32 1
		.amdhsa_uses_dynamic_stack 0
		.amdhsa_enable_private_segment 0
		.amdhsa_system_sgpr_workgroup_id_x 1
		.amdhsa_system_sgpr_workgroup_id_y 0
		.amdhsa_system_sgpr_workgroup_id_z 0
		.amdhsa_system_sgpr_workgroup_info 0
		.amdhsa_system_vgpr_workitem_id 0
		.amdhsa_next_free_vgpr 6
		.amdhsa_next_free_sgpr 16
		.amdhsa_reserve_vcc 1
		.amdhsa_float_round_mode_32 0
		.amdhsa_float_round_mode_16_64 0
		.amdhsa_float_denorm_mode_32 3
		.amdhsa_float_denorm_mode_16_64 3
		.amdhsa_dx10_clamp 1
		.amdhsa_ieee_mode 1
		.amdhsa_fp16_overflow 0
		.amdhsa_workgroup_processor_mode 1
		.amdhsa_memory_ordered 1
		.amdhsa_forward_progress 0
		.amdhsa_shared_vgpr_count 0
		.amdhsa_exception_fp_ieee_invalid_op 0
		.amdhsa_exception_fp_denorm_src 0
		.amdhsa_exception_fp_ieee_div_zero 0
		.amdhsa_exception_fp_ieee_overflow 0
		.amdhsa_exception_fp_ieee_underflow 0
		.amdhsa_exception_fp_ieee_inexact 0
		.amdhsa_exception_int_div_zero 0
	.end_amdhsa_kernel
	.section	.text._ZN7rocprim17ROCPRIM_304000_NS6detail31init_lookback_scan_state_kernelINS1_19lookback_scan_stateIN3c107complexIdEELb0ELb0EEEEEvT_jjPNS8_10value_typeE,"axG",@progbits,_ZN7rocprim17ROCPRIM_304000_NS6detail31init_lookback_scan_state_kernelINS1_19lookback_scan_stateIN3c107complexIdEELb0ELb0EEEEEvT_jjPNS8_10value_typeE,comdat
.Lfunc_end80:
	.size	_ZN7rocprim17ROCPRIM_304000_NS6detail31init_lookback_scan_state_kernelINS1_19lookback_scan_stateIN3c107complexIdEELb0ELb0EEEEEvT_jjPNS8_10value_typeE, .Lfunc_end80-_ZN7rocprim17ROCPRIM_304000_NS6detail31init_lookback_scan_state_kernelINS1_19lookback_scan_stateIN3c107complexIdEELb0ELb0EEEEEvT_jjPNS8_10value_typeE
                                        ; -- End function
	.section	.AMDGPU.csdata,"",@progbits
; Kernel info:
; codeLenInByte = 336
; NumSgprs: 18
; NumVgprs: 6
; ScratchSize: 0
; MemoryBound: 0
; FloatMode: 240
; IeeeMode: 1
; LDSByteSize: 0 bytes/workgroup (compile time only)
; SGPRBlocks: 2
; VGPRBlocks: 0
; NumSGPRsForWavesPerEU: 18
; NumVGPRsForWavesPerEU: 6
; Occupancy: 16
; WaveLimiterHint : 0
; COMPUTE_PGM_RSRC2:SCRATCH_EN: 0
; COMPUTE_PGM_RSRC2:USER_SGPR: 15
; COMPUTE_PGM_RSRC2:TRAP_HANDLER: 0
; COMPUTE_PGM_RSRC2:TGID_X_EN: 1
; COMPUTE_PGM_RSRC2:TGID_Y_EN: 0
; COMPUTE_PGM_RSRC2:TGID_Z_EN: 0
; COMPUTE_PGM_RSRC2:TIDIG_COMP_CNT: 0
	.section	.text._ZN7rocprim17ROCPRIM_304000_NS6detail20lookback_scan_kernelILNS1_25lookback_scan_determinismE0ELb0ENS1_19wrapped_scan_configINS0_14default_configEN3c107complexIdEEEEPKS8_PS8_St4plusIS8_ES8_S8_NS1_19lookback_scan_stateIS8_Lb1ELb0EEEEEvT2_T3_mT5_T4_T7_jPT6_SN_bb,"axG",@progbits,_ZN7rocprim17ROCPRIM_304000_NS6detail20lookback_scan_kernelILNS1_25lookback_scan_determinismE0ELb0ENS1_19wrapped_scan_configINS0_14default_configEN3c107complexIdEEEEPKS8_PS8_St4plusIS8_ES8_S8_NS1_19lookback_scan_stateIS8_Lb1ELb0EEEEEvT2_T3_mT5_T4_T7_jPT6_SN_bb,comdat
	.protected	_ZN7rocprim17ROCPRIM_304000_NS6detail20lookback_scan_kernelILNS1_25lookback_scan_determinismE0ELb0ENS1_19wrapped_scan_configINS0_14default_configEN3c107complexIdEEEEPKS8_PS8_St4plusIS8_ES8_S8_NS1_19lookback_scan_stateIS8_Lb1ELb0EEEEEvT2_T3_mT5_T4_T7_jPT6_SN_bb ; -- Begin function _ZN7rocprim17ROCPRIM_304000_NS6detail20lookback_scan_kernelILNS1_25lookback_scan_determinismE0ELb0ENS1_19wrapped_scan_configINS0_14default_configEN3c107complexIdEEEEPKS8_PS8_St4plusIS8_ES8_S8_NS1_19lookback_scan_stateIS8_Lb1ELb0EEEEEvT2_T3_mT5_T4_T7_jPT6_SN_bb
	.globl	_ZN7rocprim17ROCPRIM_304000_NS6detail20lookback_scan_kernelILNS1_25lookback_scan_determinismE0ELb0ENS1_19wrapped_scan_configINS0_14default_configEN3c107complexIdEEEEPKS8_PS8_St4plusIS8_ES8_S8_NS1_19lookback_scan_stateIS8_Lb1ELb0EEEEEvT2_T3_mT5_T4_T7_jPT6_SN_bb
	.p2align	8
	.type	_ZN7rocprim17ROCPRIM_304000_NS6detail20lookback_scan_kernelILNS1_25lookback_scan_determinismE0ELb0ENS1_19wrapped_scan_configINS0_14default_configEN3c107complexIdEEEEPKS8_PS8_St4plusIS8_ES8_S8_NS1_19lookback_scan_stateIS8_Lb1ELb0EEEEEvT2_T3_mT5_T4_T7_jPT6_SN_bb,@function
_ZN7rocprim17ROCPRIM_304000_NS6detail20lookback_scan_kernelILNS1_25lookback_scan_determinismE0ELb0ENS1_19wrapped_scan_configINS0_14default_configEN3c107complexIdEEEEPKS8_PS8_St4plusIS8_ES8_S8_NS1_19lookback_scan_stateIS8_Lb1ELb0EEEEEvT2_T3_mT5_T4_T7_jPT6_SN_bb: ; @_ZN7rocprim17ROCPRIM_304000_NS6detail20lookback_scan_kernelILNS1_25lookback_scan_determinismE0ELb0ENS1_19wrapped_scan_configINS0_14default_configEN3c107complexIdEEEEPKS8_PS8_St4plusIS8_ES8_S8_NS1_19lookback_scan_stateIS8_Lb1ELb0EEEEEvT2_T3_mT5_T4_T7_jPT6_SN_bb
; %bb.0:
	s_endpgm
	.section	.rodata,"a",@progbits
	.p2align	6, 0x0
	.amdhsa_kernel _ZN7rocprim17ROCPRIM_304000_NS6detail20lookback_scan_kernelILNS1_25lookback_scan_determinismE0ELb0ENS1_19wrapped_scan_configINS0_14default_configEN3c107complexIdEEEEPKS8_PS8_St4plusIS8_ES8_S8_NS1_19lookback_scan_stateIS8_Lb1ELb0EEEEEvT2_T3_mT5_T4_T7_jPT6_SN_bb
		.amdhsa_group_segment_fixed_size 0
		.amdhsa_private_segment_fixed_size 0
		.amdhsa_kernarg_size 108
		.amdhsa_user_sgpr_count 15
		.amdhsa_user_sgpr_dispatch_ptr 0
		.amdhsa_user_sgpr_queue_ptr 0
		.amdhsa_user_sgpr_kernarg_segment_ptr 1
		.amdhsa_user_sgpr_dispatch_id 0
		.amdhsa_user_sgpr_private_segment_size 0
		.amdhsa_wavefront_size32 1
		.amdhsa_uses_dynamic_stack 0
		.amdhsa_enable_private_segment 0
		.amdhsa_system_sgpr_workgroup_id_x 1
		.amdhsa_system_sgpr_workgroup_id_y 0
		.amdhsa_system_sgpr_workgroup_id_z 0
		.amdhsa_system_sgpr_workgroup_info 0
		.amdhsa_system_vgpr_workitem_id 0
		.amdhsa_next_free_vgpr 1
		.amdhsa_next_free_sgpr 1
		.amdhsa_reserve_vcc 0
		.amdhsa_float_round_mode_32 0
		.amdhsa_float_round_mode_16_64 0
		.amdhsa_float_denorm_mode_32 3
		.amdhsa_float_denorm_mode_16_64 3
		.amdhsa_dx10_clamp 1
		.amdhsa_ieee_mode 1
		.amdhsa_fp16_overflow 0
		.amdhsa_workgroup_processor_mode 1
		.amdhsa_memory_ordered 1
		.amdhsa_forward_progress 0
		.amdhsa_shared_vgpr_count 0
		.amdhsa_exception_fp_ieee_invalid_op 0
		.amdhsa_exception_fp_denorm_src 0
		.amdhsa_exception_fp_ieee_div_zero 0
		.amdhsa_exception_fp_ieee_overflow 0
		.amdhsa_exception_fp_ieee_underflow 0
		.amdhsa_exception_fp_ieee_inexact 0
		.amdhsa_exception_int_div_zero 0
	.end_amdhsa_kernel
	.section	.text._ZN7rocprim17ROCPRIM_304000_NS6detail20lookback_scan_kernelILNS1_25lookback_scan_determinismE0ELb0ENS1_19wrapped_scan_configINS0_14default_configEN3c107complexIdEEEEPKS8_PS8_St4plusIS8_ES8_S8_NS1_19lookback_scan_stateIS8_Lb1ELb0EEEEEvT2_T3_mT5_T4_T7_jPT6_SN_bb,"axG",@progbits,_ZN7rocprim17ROCPRIM_304000_NS6detail20lookback_scan_kernelILNS1_25lookback_scan_determinismE0ELb0ENS1_19wrapped_scan_configINS0_14default_configEN3c107complexIdEEEEPKS8_PS8_St4plusIS8_ES8_S8_NS1_19lookback_scan_stateIS8_Lb1ELb0EEEEEvT2_T3_mT5_T4_T7_jPT6_SN_bb,comdat
.Lfunc_end81:
	.size	_ZN7rocprim17ROCPRIM_304000_NS6detail20lookback_scan_kernelILNS1_25lookback_scan_determinismE0ELb0ENS1_19wrapped_scan_configINS0_14default_configEN3c107complexIdEEEEPKS8_PS8_St4plusIS8_ES8_S8_NS1_19lookback_scan_stateIS8_Lb1ELb0EEEEEvT2_T3_mT5_T4_T7_jPT6_SN_bb, .Lfunc_end81-_ZN7rocprim17ROCPRIM_304000_NS6detail20lookback_scan_kernelILNS1_25lookback_scan_determinismE0ELb0ENS1_19wrapped_scan_configINS0_14default_configEN3c107complexIdEEEEPKS8_PS8_St4plusIS8_ES8_S8_NS1_19lookback_scan_stateIS8_Lb1ELb0EEEEEvT2_T3_mT5_T4_T7_jPT6_SN_bb
                                        ; -- End function
	.section	.AMDGPU.csdata,"",@progbits
; Kernel info:
; codeLenInByte = 4
; NumSgprs: 0
; NumVgprs: 0
; ScratchSize: 0
; MemoryBound: 0
; FloatMode: 240
; IeeeMode: 1
; LDSByteSize: 0 bytes/workgroup (compile time only)
; SGPRBlocks: 0
; VGPRBlocks: 0
; NumSGPRsForWavesPerEU: 1
; NumVGPRsForWavesPerEU: 1
; Occupancy: 16
; WaveLimiterHint : 0
; COMPUTE_PGM_RSRC2:SCRATCH_EN: 0
; COMPUTE_PGM_RSRC2:USER_SGPR: 15
; COMPUTE_PGM_RSRC2:TRAP_HANDLER: 0
; COMPUTE_PGM_RSRC2:TGID_X_EN: 1
; COMPUTE_PGM_RSRC2:TGID_Y_EN: 0
; COMPUTE_PGM_RSRC2:TGID_Z_EN: 0
; COMPUTE_PGM_RSRC2:TIDIG_COMP_CNT: 0
	.section	.text._ZN7rocprim17ROCPRIM_304000_NS6detail20lookback_scan_kernelILNS1_25lookback_scan_determinismE0ELb0ENS1_19wrapped_scan_configINS0_14default_configEN3c107complexIdEEEEPKS8_PS8_St4plusIS8_ES8_S8_NS1_19lookback_scan_stateIS8_Lb0ELb0EEEEEvT2_T3_mT5_T4_T7_jPT6_SN_bb,"axG",@progbits,_ZN7rocprim17ROCPRIM_304000_NS6detail20lookback_scan_kernelILNS1_25lookback_scan_determinismE0ELb0ENS1_19wrapped_scan_configINS0_14default_configEN3c107complexIdEEEEPKS8_PS8_St4plusIS8_ES8_S8_NS1_19lookback_scan_stateIS8_Lb0ELb0EEEEEvT2_T3_mT5_T4_T7_jPT6_SN_bb,comdat
	.protected	_ZN7rocprim17ROCPRIM_304000_NS6detail20lookback_scan_kernelILNS1_25lookback_scan_determinismE0ELb0ENS1_19wrapped_scan_configINS0_14default_configEN3c107complexIdEEEEPKS8_PS8_St4plusIS8_ES8_S8_NS1_19lookback_scan_stateIS8_Lb0ELb0EEEEEvT2_T3_mT5_T4_T7_jPT6_SN_bb ; -- Begin function _ZN7rocprim17ROCPRIM_304000_NS6detail20lookback_scan_kernelILNS1_25lookback_scan_determinismE0ELb0ENS1_19wrapped_scan_configINS0_14default_configEN3c107complexIdEEEEPKS8_PS8_St4plusIS8_ES8_S8_NS1_19lookback_scan_stateIS8_Lb0ELb0EEEEEvT2_T3_mT5_T4_T7_jPT6_SN_bb
	.globl	_ZN7rocprim17ROCPRIM_304000_NS6detail20lookback_scan_kernelILNS1_25lookback_scan_determinismE0ELb0ENS1_19wrapped_scan_configINS0_14default_configEN3c107complexIdEEEEPKS8_PS8_St4plusIS8_ES8_S8_NS1_19lookback_scan_stateIS8_Lb0ELb0EEEEEvT2_T3_mT5_T4_T7_jPT6_SN_bb
	.p2align	8
	.type	_ZN7rocprim17ROCPRIM_304000_NS6detail20lookback_scan_kernelILNS1_25lookback_scan_determinismE0ELb0ENS1_19wrapped_scan_configINS0_14default_configEN3c107complexIdEEEEPKS8_PS8_St4plusIS8_ES8_S8_NS1_19lookback_scan_stateIS8_Lb0ELb0EEEEEvT2_T3_mT5_T4_T7_jPT6_SN_bb,@function
_ZN7rocprim17ROCPRIM_304000_NS6detail20lookback_scan_kernelILNS1_25lookback_scan_determinismE0ELb0ENS1_19wrapped_scan_configINS0_14default_configEN3c107complexIdEEEEPKS8_PS8_St4plusIS8_ES8_S8_NS1_19lookback_scan_stateIS8_Lb0ELb0EEEEEvT2_T3_mT5_T4_T7_jPT6_SN_bb: ; @_ZN7rocprim17ROCPRIM_304000_NS6detail20lookback_scan_kernelILNS1_25lookback_scan_determinismE0ELb0ENS1_19wrapped_scan_configINS0_14default_configEN3c107complexIdEEEEPKS8_PS8_St4plusIS8_ES8_S8_NS1_19lookback_scan_stateIS8_Lb0ELb0EEEEEvT2_T3_mT5_T4_T7_jPT6_SN_bb
; %bb.0:
	s_clause 0x4
	s_load_b32 s14, s[0:1], 0x50
	s_load_b64 s[2:3], s[0:1], 0x10
	s_load_b128 s[4:7], s[0:1], 0x0
	s_load_b128 s[8:11], s[0:1], 0x38
	s_load_b64 s[22:23], s[0:1], 0x48
	s_lshl_b32 s12, s15, 11
	s_mov_b32 s13, 0
	v_lshlrev_b32_e32 v80, 4, v0
	v_lshrrev_b32_e32 v35, 1, v0
	v_or_b32_e32 v79, 0x100, v0
	v_or_b32_e32 v78, 0x200, v0
	v_or_b32_e32 v77, 0x300, v0
	v_or_b32_e32 v76, 0x400, v0
	v_or_b32_e32 v75, 0x500, v0
	v_or_b32_e32 v74, 0x600, v0
	v_or_b32_e32 v73, 0x700, v0
	s_waitcnt lgkmcnt(0)
	s_add_i32 s14, s14, -1
	s_delay_alu instid0(SALU_CYCLE_1) | instskip(NEXT) | instid1(SALU_CYCLE_1)
	s_lshl_b32 s16, s14, 11
	s_sub_u32 s24, s2, s16
	s_subb_u32 s25, s3, 0
	s_cmp_lg_u32 s15, s14
	s_mov_b32 s3, -1
	s_cselect_b32 s26, -1, 0
	s_lshl_b64 s[20:21], s[12:13], 4
	s_delay_alu instid0(SALU_CYCLE_1)
	s_add_u32 s4, s4, s20
	s_addc_u32 s5, s5, s21
	s_and_b32 vcc_lo, exec_lo, s26
	s_cbranch_vccz .LBB82_2
; %bb.1:
	v_add_co_u32 v11, s2, s4, v80
	s_delay_alu instid0(VALU_DEP_1) | instskip(SKIP_1) | instid1(VALU_DEP_3)
	v_add_co_ci_u32_e64 v12, null, s5, 0, s2
	v_lshrrev_b32_e32 v34, 1, v79
	v_add_co_u32 v9, vcc_lo, v11, 0x2000
	s_delay_alu instid0(VALU_DEP_3)
	v_add_co_ci_u32_e32 v10, vcc_lo, 0, v12, vcc_lo
	v_add_co_u32 v17, vcc_lo, v11, 0x4000
	v_add_co_ci_u32_e32 v18, vcc_lo, 0, v12, vcc_lo
	v_add_co_u32 v25, vcc_lo, v11, 0x6000
	;; [unrolled: 2-line block ×3, first 2 shown]
	v_add_co_ci_u32_e32 v30, vcc_lo, 0, v12, vcc_lo
	s_clause 0x7
	global_load_b128 v[1:4], v80, s[4:5]
	global_load_b128 v[5:8], v[9:10], off offset:-4096
	global_load_b128 v[9:12], v[9:10], off
	global_load_b128 v[13:16], v[17:18], off offset:-4096
	global_load_b128 v[17:20], v[17:18], off
	;; [unrolled: 2-line block ×3, first 2 shown]
	global_load_b128 v[29:32], v[29:30], off
	v_lshrrev_b32_e32 v36, 1, v78
	v_lshrrev_b32_e32 v37, 1, v77
	;; [unrolled: 1-line block ×3, first 2 shown]
	v_and_b32_e32 v33, 0x70, v35
	v_lshrrev_b32_e32 v39, 1, v75
	v_lshrrev_b32_e32 v40, 1, v74
	;; [unrolled: 1-line block ×3, first 2 shown]
	v_and_b32_e32 v34, 0xf0, v34
	v_and_b32_e32 v36, 0x170, v36
	;; [unrolled: 1-line block ×4, first 2 shown]
	v_add_nc_u32_e32 v33, v33, v80
	v_and_b32_e32 v39, 0x2f0, v39
	v_and_b32_e32 v40, 0x370, v40
	;; [unrolled: 1-line block ×3, first 2 shown]
	v_add_nc_u32_e32 v34, v34, v80
	v_add_nc_u32_e32 v36, v36, v80
	;; [unrolled: 1-line block ×4, first 2 shown]
	s_mov_b32 s3, 0
	v_add_nc_u32_e32 v39, v39, v80
	v_add_nc_u32_e32 v40, v40, v80
	;; [unrolled: 1-line block ×3, first 2 shown]
	s_waitcnt vmcnt(7)
	ds_store_b128 v33, v[1:4]
	s_waitcnt vmcnt(6)
	ds_store_b128 v34, v[5:8] offset:4096
	s_waitcnt vmcnt(5)
	ds_store_b128 v36, v[9:12] offset:8192
	s_waitcnt vmcnt(4)
	ds_store_b128 v37, v[13:16] offset:12288
	s_waitcnt vmcnt(3)
	ds_store_b128 v38, v[17:20] offset:16384
	s_waitcnt vmcnt(2)
	ds_store_b128 v39, v[21:24] offset:20480
	s_waitcnt vmcnt(1)
	ds_store_b128 v40, v[25:28] offset:24576
	s_waitcnt vmcnt(0)
	ds_store_b128 v41, v[29:32] offset:28672
	s_waitcnt lgkmcnt(0)
	s_barrier
.LBB82_2:
	v_cmp_gt_u32_e64 s2, s24, v0
	s_and_not1_b32 vcc_lo, exec_lo, s3
	s_cbranch_vccnz .LBB82_20
; %bb.3:
	s_load_b128 s[16:19], s[4:5], 0x0
	v_add_co_u32 v33, s3, s4, v80
	s_delay_alu instid0(VALU_DEP_1)
	v_add_co_ci_u32_e64 v34, null, s5, 0, s3
	s_waitcnt lgkmcnt(0)
	v_dual_mov_b32 v3, s18 :: v_dual_mov_b32 v4, s19
	v_dual_mov_b32 v1, s16 :: v_dual_mov_b32 v2, s17
	s_and_saveexec_b32 s3, s2
	s_cbranch_execz .LBB82_5
; %bb.4:
	global_load_b128 v[1:4], v[33:34], off
.LBB82_5:
	s_or_b32 exec_lo, exec_lo, s3
	v_dual_mov_b32 v7, s18 :: v_dual_mov_b32 v8, s19
	v_dual_mov_b32 v5, s16 :: v_dual_mov_b32 v6, s17
	s_mov_b32 s2, exec_lo
	v_cmpx_gt_u32_e64 s24, v79
	s_cbranch_execz .LBB82_7
; %bb.6:
	v_add_co_u32 v5, vcc_lo, 0x1000, v33
	v_add_co_ci_u32_e32 v6, vcc_lo, 0, v34, vcc_lo
	global_load_b128 v[5:8], v[5:6], off
.LBB82_7:
	s_or_b32 exec_lo, exec_lo, s2
	v_dual_mov_b32 v11, s18 :: v_dual_mov_b32 v12, s19
	v_dual_mov_b32 v9, s16 :: v_dual_mov_b32 v10, s17
	s_mov_b32 s2, exec_lo
	v_cmpx_gt_u32_e64 s24, v78
	s_cbranch_execz .LBB82_9
; %bb.8:
	v_add_co_u32 v9, vcc_lo, 0x2000, v33
	v_add_co_ci_u32_e32 v10, vcc_lo, 0, v34, vcc_lo
	global_load_b128 v[9:12], v[9:10], off
.LBB82_9:
	;; [unrolled: 11-line block ×7, first 2 shown]
	s_or_b32 exec_lo, exec_lo, s2
	v_lshrrev_b32_e32 v33, 1, v79
	v_and_b32_e32 v34, 0x70, v35
	v_lshrrev_b32_e32 v35, 1, v78
	v_lshrrev_b32_e32 v36, 1, v77
	;; [unrolled: 1-line block ×3, first 2 shown]
	v_and_b32_e32 v33, 0xf0, v33
	v_add_nc_u32_e32 v34, v34, v80
	v_lshrrev_b32_e32 v38, 1, v75
	v_lshrrev_b32_e32 v39, 1, v74
	v_and_b32_e32 v35, 0x1f0, v35
	v_add_nc_u32_e32 v33, v33, v80
	v_lshrrev_b32_e32 v40, 1, v73
	v_and_b32_e32 v36, 0x1f0, v36
	s_waitcnt vmcnt(0)
	ds_store_b128 v34, v[1:4]
	ds_store_b128 v33, v[5:8] offset:4096
	v_and_b32_e32 v1, 0x3f0, v37
	v_and_b32_e32 v2, 0x3f0, v38
	;; [unrolled: 1-line block ×3, first 2 shown]
	v_add_nc_u32_e32 v35, v35, v80
	v_and_b32_e32 v4, 0x3f0, v40
	v_add_nc_u32_e32 v5, v36, v80
	v_add_nc_u32_e32 v1, v1, v80
	;; [unrolled: 1-line block ×5, first 2 shown]
	ds_store_b128 v35, v[9:12] offset:8192
	ds_store_b128 v5, v[13:16] offset:12288
	;; [unrolled: 1-line block ×6, first 2 shown]
	s_waitcnt lgkmcnt(0)
	s_barrier
.LBB82_20:
	v_lshlrev_b32_e32 v1, 3, v0
	v_lshrrev_b32_e32 v81, 2, v0
	buffer_gl0_inv
	v_mbcnt_lo_u32_b32 v82, -1, 0
	s_cmp_lg_u32 s15, 0
	v_add_lshl_u32 v29, v81, v1, 4
	ds_load_b128 v[1:4], v29
	ds_load_b128 v[13:16], v29 offset:16
	ds_load_b128 v[9:12], v29 offset:32
	;; [unrolled: 1-line block ×7, first 2 shown]
	s_waitcnt lgkmcnt(0)
	s_barrier
	buffer_gl0_inv
	s_cbranch_scc0 .LBB82_85
; %bb.21:
	v_add_f64 v[33:34], v[1:2], v[13:14]
	v_add_f64 v[35:36], v[3:4], v[15:16]
	v_and_b32_e32 v41, 15, v82
	s_mov_b32 s2, exec_lo
	s_delay_alu instid0(VALU_DEP_3) | instskip(NEXT) | instid1(VALU_DEP_3)
	v_add_f64 v[33:34], v[33:34], v[9:10]
	v_add_f64 v[35:36], v[35:36], v[11:12]
	s_delay_alu instid0(VALU_DEP_2) | instskip(NEXT) | instid1(VALU_DEP_2)
	v_add_f64 v[33:34], v[33:34], v[5:6]
	v_add_f64 v[35:36], v[35:36], v[7:8]
	s_delay_alu instid0(VALU_DEP_2) | instskip(NEXT) | instid1(VALU_DEP_2)
	;; [unrolled: 3-line block ×5, first 2 shown]
	v_add_f64 v[37:38], v[33:34], v[29:30]
	v_add_f64 v[39:40], v[35:36], v[31:32]
	s_delay_alu instid0(VALU_DEP_2) | instskip(NEXT) | instid1(VALU_DEP_3)
	v_mov_b32_dpp v33, v37 row_shr:1 row_mask:0xf bank_mask:0xf
	v_mov_b32_dpp v34, v38 row_shr:1 row_mask:0xf bank_mask:0xf
	s_delay_alu instid0(VALU_DEP_3) | instskip(NEXT) | instid1(VALU_DEP_4)
	v_mov_b32_dpp v35, v39 row_shr:1 row_mask:0xf bank_mask:0xf
	v_mov_b32_dpp v36, v40 row_shr:1 row_mask:0xf bank_mask:0xf
	v_cmpx_ne_u32_e32 0, v41
; %bb.22:
	s_delay_alu instid0(VALU_DEP_2)
	v_add_f64 v[39:40], v[39:40], v[35:36]
	v_add_f64 v[37:38], v[37:38], v[33:34]
; %bb.23:
	s_or_b32 exec_lo, exec_lo, s2
	s_delay_alu instid0(VALU_DEP_1) | instskip(NEXT) | instid1(VALU_DEP_2)
	v_mov_b32_dpp v33, v37 row_shr:2 row_mask:0xf bank_mask:0xf
	v_mov_b32_dpp v34, v38 row_shr:2 row_mask:0xf bank_mask:0xf
	s_delay_alu instid0(VALU_DEP_4)
	v_mov_b32_dpp v35, v39 row_shr:2 row_mask:0xf bank_mask:0xf
	v_mov_b32_dpp v36, v40 row_shr:2 row_mask:0xf bank_mask:0xf
	s_mov_b32 s2, exec_lo
	v_cmpx_lt_u32_e32 1, v41
; %bb.24:
	s_delay_alu instid0(VALU_DEP_2)
	v_add_f64 v[39:40], v[39:40], v[35:36]
	v_add_f64 v[37:38], v[37:38], v[33:34]
; %bb.25:
	s_or_b32 exec_lo, exec_lo, s2
	s_delay_alu instid0(VALU_DEP_1) | instskip(NEXT) | instid1(VALU_DEP_2)
	v_mov_b32_dpp v33, v37 row_shr:4 row_mask:0xf bank_mask:0xf
	v_mov_b32_dpp v34, v38 row_shr:4 row_mask:0xf bank_mask:0xf
	s_delay_alu instid0(VALU_DEP_4)
	v_mov_b32_dpp v35, v39 row_shr:4 row_mask:0xf bank_mask:0xf
	v_mov_b32_dpp v36, v40 row_shr:4 row_mask:0xf bank_mask:0xf
	s_mov_b32 s2, exec_lo
	v_cmpx_lt_u32_e32 3, v41
	;; [unrolled: 14-line block ×3, first 2 shown]
; %bb.28:
	s_delay_alu instid0(VALU_DEP_2)
	v_add_f64 v[39:40], v[39:40], v[35:36]
	v_add_f64 v[37:38], v[37:38], v[33:34]
; %bb.29:
	s_or_b32 exec_lo, exec_lo, s2
	ds_swizzle_b32 v33, v37 offset:swizzle(BROADCAST,32,15)
	ds_swizzle_b32 v34, v38 offset:swizzle(BROADCAST,32,15)
	;; [unrolled: 1-line block ×4, first 2 shown]
	v_and_b32_e32 v41, 16, v82
	s_mov_b32 s2, exec_lo
	s_delay_alu instid0(VALU_DEP_1)
	v_cmpx_ne_u32_e32 0, v41
	s_cbranch_execz .LBB82_31
; %bb.30:
	s_waitcnt lgkmcnt(0)
	v_add_f64 v[39:40], v[39:40], v[35:36]
	v_add_f64 v[37:38], v[37:38], v[33:34]
.LBB82_31:
	s_or_b32 exec_lo, exec_lo, s2
	s_waitcnt lgkmcnt(3)
	v_or_b32_e32 v33, 31, v0
	v_lshrrev_b32_e32 v45, 5, v0
	s_mov_b32 s2, exec_lo
	s_delay_alu instid0(VALU_DEP_2)
	v_cmpx_eq_u32_e64 v33, v0
	s_cbranch_execz .LBB82_33
; %bb.32:
	s_delay_alu instid0(VALU_DEP_2)
	v_lshlrev_b32_e32 v33, 4, v45
	ds_store_b128 v33, v[37:40]
.LBB82_33:
	s_or_b32 exec_lo, exec_lo, s2
	s_delay_alu instid0(SALU_CYCLE_1)
	s_mov_b32 s2, exec_lo
	s_waitcnt lgkmcnt(0)
	s_barrier
	buffer_gl0_inv
	v_cmpx_gt_u32_e32 8, v0
	s_cbranch_execz .LBB82_41
; %bb.34:
	ds_load_b128 v[33:36], v80
	v_and_b32_e32 v46, 7, v82
	s_mov_b32 s3, exec_lo
	s_waitcnt lgkmcnt(0)
	v_mov_b32_dpp v41, v33 row_shr:1 row_mask:0xf bank_mask:0xf
	v_mov_b32_dpp v42, v34 row_shr:1 row_mask:0xf bank_mask:0xf
	;; [unrolled: 1-line block ×4, first 2 shown]
	v_cmpx_ne_u32_e32 0, v46
; %bb.35:
	s_delay_alu instid0(VALU_DEP_2)
	v_add_f64 v[35:36], v[35:36], v[43:44]
	v_add_f64 v[33:34], v[33:34], v[41:42]
; %bb.36:
	s_or_b32 exec_lo, exec_lo, s3
	s_delay_alu instid0(VALU_DEP_1) | instskip(NEXT) | instid1(VALU_DEP_2)
	v_mov_b32_dpp v41, v33 row_shr:2 row_mask:0xf bank_mask:0xf
	v_mov_b32_dpp v42, v34 row_shr:2 row_mask:0xf bank_mask:0xf
	s_delay_alu instid0(VALU_DEP_4)
	v_mov_b32_dpp v43, v35 row_shr:2 row_mask:0xf bank_mask:0xf
	v_mov_b32_dpp v44, v36 row_shr:2 row_mask:0xf bank_mask:0xf
	s_mov_b32 s3, exec_lo
	v_cmpx_lt_u32_e32 1, v46
; %bb.37:
	s_delay_alu instid0(VALU_DEP_2)
	v_add_f64 v[35:36], v[35:36], v[43:44]
	v_add_f64 v[33:34], v[33:34], v[41:42]
; %bb.38:
	s_or_b32 exec_lo, exec_lo, s3
	s_delay_alu instid0(VALU_DEP_1) | instskip(NEXT) | instid1(VALU_DEP_2)
	v_mov_b32_dpp v41, v33 row_shr:4 row_mask:0xf bank_mask:0xf
	v_mov_b32_dpp v42, v34 row_shr:4 row_mask:0xf bank_mask:0xf
	s_delay_alu instid0(VALU_DEP_4)
	v_mov_b32_dpp v43, v35 row_shr:4 row_mask:0xf bank_mask:0xf
	v_mov_b32_dpp v44, v36 row_shr:4 row_mask:0xf bank_mask:0xf
	s_mov_b32 s3, exec_lo
	v_cmpx_lt_u32_e32 3, v46
; %bb.39:
	s_delay_alu instid0(VALU_DEP_2)
	v_add_f64 v[35:36], v[35:36], v[43:44]
	v_add_f64 v[33:34], v[33:34], v[41:42]
; %bb.40:
	s_or_b32 exec_lo, exec_lo, s3
	ds_store_b128 v80, v[33:36]
.LBB82_41:
	s_or_b32 exec_lo, exec_lo, s2
	v_mov_b32_e32 v35, 0
	v_mov_b32_e32 v36, 0
	v_cmp_gt_u32_e32 vcc_lo, 32, v0
	s_delay_alu instid0(VALU_DEP_3)
	v_mov_b32_e32 v33, v35
	s_mov_b32 s3, exec_lo
	s_waitcnt lgkmcnt(0)
	v_mov_b32_e32 v34, v36
	s_barrier
	buffer_gl0_inv
	v_cmpx_lt_u32_e32 31, v0
	s_cbranch_execz .LBB82_43
; %bb.42:
	v_lshl_add_u32 v33, v45, 4, -16
	ds_load_b128 v[33:36], v33
	s_waitcnt lgkmcnt(0)
	v_add_f64 v[37:38], v[37:38], v[33:34]
	v_add_f64 v[39:40], v[39:40], v[35:36]
.LBB82_43:
	s_or_b32 exec_lo, exec_lo, s3
	v_add_nc_u32_e32 v41, -1, v82
	s_delay_alu instid0(VALU_DEP_1) | instskip(NEXT) | instid1(VALU_DEP_1)
	v_cmp_gt_i32_e64 s2, 0, v41
	v_cndmask_b32_e64 v41, v41, v82, s2
	v_cmp_eq_u32_e64 s2, 0, v82
	s_delay_alu instid0(VALU_DEP_2)
	v_lshlrev_b32_e32 v41, 2, v41
	ds_bpermute_b32 v55, v41, v37
	ds_bpermute_b32 v57, v41, v38
	;; [unrolled: 1-line block ×4, first 2 shown]
	s_and_saveexec_b32 s3, vcc_lo
	s_cbranch_execz .LBB82_82
; %bb.44:
	v_mov_b32_e32 v42, 0
	ds_load_b128 v[37:40], v42 offset:112
	s_and_saveexec_b32 s4, s2
	s_cbranch_execz .LBB82_46
; %bb.45:
	s_add_i32 s12, s15, 32
	v_mov_b32_e32 v43, 1
	s_lshl_b64 s[16:17], s[12:13], 4
	v_mov_b32_e32 v41, s12
	s_add_u32 s12, s8, s16
	s_addc_u32 s13, s9, s17
	s_waitcnt lgkmcnt(0)
	global_store_b128 v42, v[37:40], s[12:13]
	s_waitcnt_vscnt null, 0x0
	buffer_gl1_inv
	buffer_gl0_inv
	global_store_b8 v41, v43, s[22:23]
.LBB82_46:
	s_or_b32 exec_lo, exec_lo, s4
	v_xad_u32 v49, v82, -1, s15
	s_mov_b32 s5, 0
	s_mov_b32 s4, exec_lo
	s_delay_alu instid0(VALU_DEP_1)
	v_add_nc_u32_e32 v41, 32, v49
	global_load_u8 v59, v41, s[22:23] glc
	s_waitcnt vmcnt(0)
	v_cmpx_eq_u16_e32 0, v59
	s_cbranch_execz .LBB82_50
; %bb.47:
	v_add_co_u32 v43, s12, s22, v41
	s_delay_alu instid0(VALU_DEP_1)
	v_add_co_ci_u32_e64 v44, null, s23, 0, s12
.LBB82_48:                              ; =>This Inner Loop Header: Depth=1
	global_load_u8 v59, v[43:44], off glc
	s_waitcnt vmcnt(0)
	v_cmp_ne_u16_e32 vcc_lo, 0, v59
	s_or_b32 s5, vcc_lo, s5
	s_delay_alu instid0(SALU_CYCLE_1)
	s_and_not1_b32 exec_lo, exec_lo, s5
	s_cbranch_execnz .LBB82_48
; %bb.49:
	s_or_b32 exec_lo, exec_lo, s5
.LBB82_50:
	s_delay_alu instid0(SALU_CYCLE_1)
	s_or_b32 exec_lo, exec_lo, s4
	v_dual_mov_b32 v43, s9 :: v_dual_mov_b32 v44, s8
	v_cmp_eq_u16_e32 vcc_lo, 1, v59
	v_lshlrev_b64 v[41:42], 4, v[41:42]
	s_waitcnt lgkmcnt(0)
	s_waitcnt_vscnt null, 0x0
	buffer_gl1_inv
	buffer_gl0_inv
	v_lshlrev_b32_e64 v61, v82, -1
	v_add_nc_u32_e32 v62, 1, v82
	v_cndmask_b32_e32 v44, s10, v44, vcc_lo
	v_cndmask_b32_e32 v43, s11, v43, vcc_lo
	s_mov_b32 s4, exec_lo
	s_delay_alu instid0(VALU_DEP_2) | instskip(NEXT) | instid1(VALU_DEP_2)
	v_add_co_u32 v41, vcc_lo, v44, v41
	v_add_co_ci_u32_e32 v42, vcc_lo, v43, v42, vcc_lo
	v_cmp_ne_u32_e32 vcc_lo, 31, v82
	global_load_b128 v[45:48], v[41:42], off
	v_add_co_ci_u32_e32 v41, vcc_lo, 0, v82, vcc_lo
	v_cmp_eq_u16_e32 vcc_lo, 2, v59
	s_delay_alu instid0(VALU_DEP_2) | instskip(SKIP_1) | instid1(VALU_DEP_1)
	v_lshlrev_b32_e32 v60, 2, v41
	v_and_or_b32 v50, vcc_lo, v61, 0x80000000
	v_ctz_i32_b32_e32 v50, v50
	s_waitcnt vmcnt(0)
	ds_bpermute_b32 v41, v60, v45
	ds_bpermute_b32 v42, v60, v46
	;; [unrolled: 1-line block ×4, first 2 shown]
	v_cmpx_le_u32_e64 v62, v50
	s_cbranch_execz .LBB82_52
; %bb.51:
	s_waitcnt lgkmcnt(2)
	v_add_f64 v[45:46], v[45:46], v[41:42]
	s_waitcnt lgkmcnt(0)
	v_add_f64 v[47:48], v[47:48], v[43:44]
.LBB82_52:
	s_or_b32 exec_lo, exec_lo, s4
	v_cmp_gt_u32_e32 vcc_lo, 30, v82
	v_add_nc_u32_e32 v64, 2, v82
	s_mov_b32 s4, exec_lo
	s_waitcnt lgkmcnt(3)
	v_cndmask_b32_e64 v41, 0, 1, vcc_lo
	s_delay_alu instid0(VALU_DEP_1) | instskip(NEXT) | instid1(VALU_DEP_1)
	v_lshlrev_b32_e32 v41, 1, v41
	v_add_lshl_u32 v63, v41, v82, 2
	ds_bpermute_b32 v41, v63, v45
	s_waitcnt lgkmcnt(3)
	ds_bpermute_b32 v42, v63, v46
	s_waitcnt lgkmcnt(3)
	ds_bpermute_b32 v43, v63, v47
	s_waitcnt lgkmcnt(3)
	ds_bpermute_b32 v44, v63, v48
	v_cmpx_le_u32_e64 v64, v50
	s_cbranch_execz .LBB82_54
; %bb.53:
	s_waitcnt lgkmcnt(2)
	v_add_f64 v[45:46], v[45:46], v[41:42]
	s_waitcnt lgkmcnt(0)
	v_add_f64 v[47:48], v[47:48], v[43:44]
.LBB82_54:
	s_or_b32 exec_lo, exec_lo, s4
	v_cmp_gt_u32_e32 vcc_lo, 28, v82
	v_add_nc_u32_e32 v66, 4, v82
	s_mov_b32 s4, exec_lo
	s_waitcnt lgkmcnt(3)
	v_cndmask_b32_e64 v41, 0, 1, vcc_lo
	s_delay_alu instid0(VALU_DEP_1) | instskip(NEXT) | instid1(VALU_DEP_1)
	v_lshlrev_b32_e32 v41, 2, v41
	v_add_lshl_u32 v65, v41, v82, 2
	ds_bpermute_b32 v41, v65, v45
	s_waitcnt lgkmcnt(3)
	ds_bpermute_b32 v42, v65, v46
	s_waitcnt lgkmcnt(3)
	ds_bpermute_b32 v43, v65, v47
	s_waitcnt lgkmcnt(3)
	ds_bpermute_b32 v44, v65, v48
	;; [unrolled: 24-line block ×4, first 2 shown]
	v_cmpx_le_u32_e64 v70, v50
	s_cbranch_execz .LBB82_60
; %bb.59:
	s_waitcnt lgkmcnt(2)
	v_add_f64 v[45:46], v[45:46], v[41:42]
	s_waitcnt lgkmcnt(0)
	v_add_f64 v[47:48], v[47:48], v[43:44]
.LBB82_60:
	s_or_b32 exec_lo, exec_lo, s4
	v_mov_b32_e32 v50, 0
	s_branch .LBB82_62
.LBB82_61:                              ;   in Loop: Header=BB82_62 Depth=1
	s_or_b32 exec_lo, exec_lo, s4
	s_delay_alu instid0(VALU_DEP_2) | instskip(NEXT) | instid1(VALU_DEP_2)
	v_add_f64 v[45:46], v[41:42], v[45:46]
	v_add_f64 v[47:48], v[43:44], v[47:48]
	v_subrev_nc_u32_e32 v49, 32, v49
.LBB82_62:                              ; =>This Loop Header: Depth=1
                                        ;     Child Loop BB82_65 Depth 2
	s_waitcnt lgkmcnt(3)
	v_and_b32_e32 v41, 0xff, v59
	s_waitcnt lgkmcnt(0)
	s_delay_alu instid0(VALU_DEP_3) | instskip(NEXT) | instid1(VALU_DEP_2)
	v_dual_mov_b32 v43, v47 :: v_dual_mov_b32 v44, v48
	v_cmp_ne_u16_e32 vcc_lo, 2, v41
	v_cndmask_b32_e64 v41, 0, 1, vcc_lo
	;;#ASMSTART
	;;#ASMEND
	s_delay_alu instid0(VALU_DEP_1)
	v_cmp_ne_u32_e32 vcc_lo, 0, v41
	v_dual_mov_b32 v41, v45 :: v_dual_mov_b32 v42, v46
	s_cmp_lg_u32 vcc_lo, exec_lo
	s_cbranch_scc1 .LBB82_77
; %bb.63:                               ;   in Loop: Header=BB82_62 Depth=1
	global_load_u8 v59, v49, s[22:23] glc
	s_mov_b32 s4, exec_lo
	s_waitcnt vmcnt(0)
	v_cmpx_eq_u16_e32 0, v59
	s_cbranch_execz .LBB82_67
; %bb.64:                               ;   in Loop: Header=BB82_62 Depth=1
	v_add_co_u32 v45, s5, s22, v49
	s_delay_alu instid0(VALU_DEP_1)
	v_add_co_ci_u32_e64 v46, null, s23, 0, s5
	s_mov_b32 s5, 0
.LBB82_65:                              ;   Parent Loop BB82_62 Depth=1
                                        ; =>  This Inner Loop Header: Depth=2
	global_load_u8 v59, v[45:46], off glc
	s_waitcnt vmcnt(0)
	v_cmp_ne_u16_e32 vcc_lo, 0, v59
	s_or_b32 s5, vcc_lo, s5
	s_delay_alu instid0(SALU_CYCLE_1)
	s_and_not1_b32 exec_lo, exec_lo, s5
	s_cbranch_execnz .LBB82_65
; %bb.66:                               ;   in Loop: Header=BB82_62 Depth=1
	s_or_b32 exec_lo, exec_lo, s5
.LBB82_67:                              ;   in Loop: Header=BB82_62 Depth=1
	s_delay_alu instid0(SALU_CYCLE_1)
	s_or_b32 exec_lo, exec_lo, s4
	v_dual_mov_b32 v47, s9 :: v_dual_mov_b32 v48, s8
	v_cmp_eq_u16_e32 vcc_lo, 1, v59
	v_lshlrev_b64 v[45:46], 4, v[49:50]
	buffer_gl1_inv
	buffer_gl0_inv
	s_mov_b32 s4, exec_lo
	v_cndmask_b32_e32 v48, s10, v48, vcc_lo
	v_cndmask_b32_e32 v47, s11, v47, vcc_lo
	s_delay_alu instid0(VALU_DEP_2) | instskip(NEXT) | instid1(VALU_DEP_2)
	v_add_co_u32 v45, vcc_lo, v48, v45
	v_add_co_ci_u32_e32 v46, vcc_lo, v47, v46, vcc_lo
	v_cmp_eq_u16_e32 vcc_lo, 2, v59
	global_load_b128 v[45:48], v[45:46], off
	v_and_or_b32 v71, vcc_lo, v61, 0x80000000
	s_delay_alu instid0(VALU_DEP_1)
	v_ctz_i32_b32_e32 v71, v71
	s_waitcnt vmcnt(0)
	ds_bpermute_b32 v51, v60, v45
	ds_bpermute_b32 v52, v60, v46
	;; [unrolled: 1-line block ×4, first 2 shown]
	v_cmpx_le_u32_e64 v62, v71
	s_cbranch_execz .LBB82_69
; %bb.68:                               ;   in Loop: Header=BB82_62 Depth=1
	s_waitcnt lgkmcnt(2)
	v_add_f64 v[45:46], v[45:46], v[51:52]
	s_waitcnt lgkmcnt(0)
	v_add_f64 v[47:48], v[47:48], v[53:54]
.LBB82_69:                              ;   in Loop: Header=BB82_62 Depth=1
	s_or_b32 exec_lo, exec_lo, s4
	s_waitcnt lgkmcnt(3)
	ds_bpermute_b32 v51, v63, v45
	s_waitcnt lgkmcnt(3)
	ds_bpermute_b32 v52, v63, v46
	s_waitcnt lgkmcnt(3)
	ds_bpermute_b32 v53, v63, v47
	s_waitcnt lgkmcnt(3)
	ds_bpermute_b32 v54, v63, v48
	s_mov_b32 s4, exec_lo
	v_cmpx_le_u32_e64 v64, v71
	s_cbranch_execz .LBB82_71
; %bb.70:                               ;   in Loop: Header=BB82_62 Depth=1
	s_waitcnt lgkmcnt(2)
	v_add_f64 v[45:46], v[45:46], v[51:52]
	s_waitcnt lgkmcnt(0)
	v_add_f64 v[47:48], v[47:48], v[53:54]
.LBB82_71:                              ;   in Loop: Header=BB82_62 Depth=1
	s_or_b32 exec_lo, exec_lo, s4
	s_waitcnt lgkmcnt(3)
	ds_bpermute_b32 v51, v65, v45
	s_waitcnt lgkmcnt(3)
	ds_bpermute_b32 v52, v65, v46
	s_waitcnt lgkmcnt(3)
	ds_bpermute_b32 v53, v65, v47
	s_waitcnt lgkmcnt(3)
	ds_bpermute_b32 v54, v65, v48
	s_mov_b32 s4, exec_lo
	;; [unrolled: 18-line block ×4, first 2 shown]
	v_cmpx_le_u32_e64 v70, v71
	s_cbranch_execz .LBB82_61
; %bb.76:                               ;   in Loop: Header=BB82_62 Depth=1
	s_waitcnt lgkmcnt(2)
	v_add_f64 v[45:46], v[45:46], v[51:52]
	s_waitcnt lgkmcnt(0)
	v_add_f64 v[47:48], v[47:48], v[53:54]
	s_branch .LBB82_61
.LBB82_77:                              ;   in Loop: Header=BB82_62 Depth=1
                                        ; implicit-def: $vgpr59
                                        ; implicit-def: $vgpr45_vgpr46
	s_cbranch_execz .LBB82_62
; %bb.78:
	s_and_saveexec_b32 s4, s2
	s_cbranch_execz .LBB82_80
; %bb.79:
	v_add_f64 v[37:38], v[37:38], v[41:42]
	v_add_f64 v[39:40], v[39:40], v[43:44]
	s_add_i32 s8, s15, 32
	s_mov_b32 s9, 0
	v_dual_mov_b32 v45, 0 :: v_dual_mov_b32 v46, 2
	s_lshl_b64 s[12:13], s[8:9], 4
	v_mov_b32_e32 v47, s8
	s_add_u32 s8, s10, s12
	s_addc_u32 s9, s11, s13
	global_store_b128 v45, v[37:40], s[8:9]
	s_waitcnt lgkmcnt(0)
	s_waitcnt_vscnt null, 0x0
	buffer_gl1_inv
	buffer_gl0_inv
	global_store_b8 v47, v46, s[22:23]
.LBB82_80:
	s_or_b32 exec_lo, exec_lo, s4
	v_cmp_eq_u32_e32 vcc_lo, 0, v0
	s_and_b32 exec_lo, exec_lo, vcc_lo
	s_cbranch_execz .LBB82_82
; %bb.81:
	v_mov_b32_e32 v37, 0
	ds_store_b128 v37, v[41:44] offset:112
.LBB82_82:
	s_or_b32 exec_lo, exec_lo, s3
	v_dual_mov_b32 v37, 0 :: v_dual_mov_b32 v42, v4
	s_waitcnt lgkmcnt(0)
	s_waitcnt_vscnt null, 0x0
	s_barrier
	buffer_gl0_inv
	ds_load_b128 v[37:40], v37 offset:112
	v_dual_mov_b32 v41, v3 :: v_dual_mov_b32 v44, v2
	v_mov_b32_e32 v43, v1
	s_mov_b32 s3, 0
	s_mov_b32 s4, exec_lo
	v_cmpx_ne_u32_e32 0, v0
; %bb.83:
	v_cndmask_b32_e64 v36, v58, v36, s2
	v_cndmask_b32_e64 v34, v57, v34, s2
	;; [unrolled: 1-line block ×4, first 2 shown]
	s_delay_alu instid0(VALU_DEP_2) | instskip(NEXT) | instid1(VALU_DEP_2)
	v_add_f64 v[43:44], v[1:2], v[33:34]
	v_add_f64 v[41:42], v[3:4], v[35:36]
; %bb.84:
	s_or_b32 exec_lo, exec_lo, s4
	s_waitcnt lgkmcnt(0)
	s_delay_alu instid0(VALU_DEP_2) | instskip(NEXT) | instid1(VALU_DEP_2)
	v_add_f64 v[61:62], v[37:38], v[43:44]
	v_add_f64 v[63:64], v[39:40], v[41:42]
	s_delay_alu instid0(VALU_DEP_2) | instskip(NEXT) | instid1(VALU_DEP_2)
	v_add_f64 v[57:58], v[13:14], v[61:62]
	v_add_f64 v[59:60], v[15:16], v[63:64]
	;; [unrolled: 3-line block ×8, first 2 shown]
	s_load_b128 s[12:15], s[0:1], 0x58
	s_and_b32 vcc_lo, exec_lo, s3
	s_cbranch_vccnz .LBB82_86
	s_branch .LBB82_115
.LBB82_85:
                                        ; implicit-def: $vgpr61_vgpr62
                                        ; implicit-def: $vgpr57_vgpr58
                                        ; implicit-def: $vgpr53_vgpr54
                                        ; implicit-def: $vgpr49_vgpr50
                                        ; implicit-def: $vgpr45_vgpr46
                                        ; implicit-def: $vgpr41_vgpr42
                                        ; implicit-def: $vgpr33_vgpr34
                                        ; implicit-def: $vgpr37_vgpr38
	s_load_b128 s[12:15], s[0:1], 0x58
	s_cbranch_execz .LBB82_115
.LBB82_86:
	s_load_b32 s2, s[0:1], 0x68
	v_cmp_eq_u32_e32 vcc_lo, 0, v0
	s_waitcnt lgkmcnt(0)
	s_bitcmp1_b32 s2, 0
	v_cmp_ne_u32_e64 s2, 0, v0
	s_cselect_b32 s3, -1, 0
	s_delay_alu instid0(SALU_CYCLE_1) | instskip(NEXT) | instid1(SALU_CYCLE_1)
	s_and_b32 s4, vcc_lo, s3
	s_and_saveexec_b32 s3, s4
	s_cbranch_execz .LBB82_88
; %bb.87:
	v_mov_b32_e32 v33, 0
	global_load_b128 v[33:36], v33, s[12:13]
	s_waitcnt vmcnt(0)
	v_add_f64 v[1:2], v[1:2], v[33:34]
	v_add_f64 v[3:4], v[3:4], v[35:36]
.LBB82_88:
	s_or_b32 exec_lo, exec_lo, s3
	s_delay_alu instid0(VALU_DEP_2) | instskip(NEXT) | instid1(VALU_DEP_2)
	v_add_f64 v[57:58], v[13:14], v[1:2]
	v_add_f64 v[59:60], v[15:16], v[3:4]
	s_mov_b32 s4, exec_lo
	s_delay_alu instid0(VALU_DEP_2) | instskip(NEXT) | instid1(VALU_DEP_2)
	v_add_f64 v[53:54], v[9:10], v[57:58]
	v_add_f64 v[55:56], v[11:12], v[59:60]
	s_delay_alu instid0(VALU_DEP_2) | instskip(NEXT) | instid1(VALU_DEP_2)
	v_add_f64 v[49:50], v[5:6], v[53:54]
	v_add_f64 v[51:52], v[7:8], v[55:56]
	;; [unrolled: 3-line block ×6, first 2 shown]
	s_delay_alu instid0(VALU_DEP_2) | instskip(NEXT) | instid1(VALU_DEP_2)
	v_dual_mov_b32 v62, v38 :: v_dual_and_b32 v83, 15, v82
	v_dual_mov_b32 v61, v37 :: v_dual_mov_b32 v64, v40
	v_mov_b32_dpp v69, v37 row_shr:1 row_mask:0xf bank_mask:0xf
	v_mov_b32_dpp v70, v38 row_shr:1 row_mask:0xf bank_mask:0xf
	;; [unrolled: 1-line block ×4, first 2 shown]
	v_dual_mov_b32 v63, v39 :: v_dual_mov_b32 v66, v40
	v_dual_mov_b32 v65, v39 :: v_dual_mov_b32 v68, v38
	v_mov_b32_e32 v67, v37
	v_cmpx_ne_u32_e32 0, v83
; %bb.89:
	v_add_f64 v[63:64], v[39:40], v[71:72]
	v_add_f64 v[61:62], v[37:38], v[69:70]
	s_delay_alu instid0(VALU_DEP_2) | instskip(NEXT) | instid1(VALU_DEP_2)
	v_dual_mov_b32 v66, v64 :: v_dual_mov_b32 v65, v63
	v_dual_mov_b32 v68, v62 :: v_dual_mov_b32 v67, v61
; %bb.90:
	s_or_b32 exec_lo, exec_lo, s4
	s_delay_alu instid0(VALU_DEP_1) | instskip(NEXT) | instid1(VALU_DEP_2)
	v_mov_b32_dpp v69, v67 row_shr:2 row_mask:0xf bank_mask:0xf
	v_mov_b32_dpp v70, v68 row_shr:2 row_mask:0xf bank_mask:0xf
	;; [unrolled: 1-line block ×4, first 2 shown]
	s_mov_b32 s4, exec_lo
	v_cmpx_lt_u32_e32 1, v83
; %bb.91:
	v_add_f64 v[67:68], v[61:62], v[69:70]
	s_delay_alu instid0(VALU_DEP_3) | instskip(NEXT) | instid1(VALU_DEP_2)
	v_add_f64 v[65:66], v[63:64], v[71:72]
	v_dual_mov_b32 v61, v67 :: v_dual_mov_b32 v62, v68
	s_delay_alu instid0(VALU_DEP_2)
	v_dual_mov_b32 v63, v65 :: v_dual_mov_b32 v64, v66
; %bb.92:
	s_or_b32 exec_lo, exec_lo, s4
	v_mov_b32_dpp v69, v67 row_shr:4 row_mask:0xf bank_mask:0xf
	v_mov_b32_dpp v70, v68 row_shr:4 row_mask:0xf bank_mask:0xf
	;; [unrolled: 1-line block ×4, first 2 shown]
	s_mov_b32 s4, exec_lo
	v_cmpx_lt_u32_e32 3, v83
; %bb.93:
	v_add_f64 v[67:68], v[61:62], v[69:70]
	s_delay_alu instid0(VALU_DEP_3) | instskip(NEXT) | instid1(VALU_DEP_2)
	v_add_f64 v[65:66], v[63:64], v[71:72]
	v_dual_mov_b32 v61, v67 :: v_dual_mov_b32 v62, v68
	s_delay_alu instid0(VALU_DEP_2)
	v_dual_mov_b32 v63, v65 :: v_dual_mov_b32 v64, v66
; %bb.94:
	s_or_b32 exec_lo, exec_lo, s4
	v_mov_b32_dpp v69, v67 row_shr:8 row_mask:0xf bank_mask:0xf
	v_mov_b32_dpp v70, v68 row_shr:8 row_mask:0xf bank_mask:0xf
	;; [unrolled: 1-line block ×4, first 2 shown]
	s_mov_b32 s4, exec_lo
	v_cmpx_lt_u32_e32 7, v83
; %bb.95:
	s_delay_alu instid0(VALU_DEP_2) | instskip(SKIP_1) | instid1(VALU_DEP_2)
	v_add_f64 v[63:64], v[63:64], v[71:72]
	v_add_f64 v[61:62], v[61:62], v[69:70]
	v_dual_mov_b32 v66, v64 :: v_dual_mov_b32 v65, v63
	s_delay_alu instid0(VALU_DEP_2)
	v_dual_mov_b32 v68, v62 :: v_dual_mov_b32 v67, v61
; %bb.96:
	s_or_b32 exec_lo, exec_lo, s4
	ds_swizzle_b32 v67, v67 offset:swizzle(BROADCAST,32,15)
	ds_swizzle_b32 v68, v68 offset:swizzle(BROADCAST,32,15)
	;; [unrolled: 1-line block ×4, first 2 shown]
	v_and_b32_e32 v69, 16, v82
	s_mov_b32 s4, exec_lo
	s_delay_alu instid0(VALU_DEP_1)
	v_cmpx_ne_u32_e32 0, v69
	s_cbranch_execz .LBB82_98
; %bb.97:
	s_waitcnt lgkmcnt(0)
	v_add_f64 v[63:64], v[63:64], v[65:66]
	v_add_f64 v[61:62], v[61:62], v[67:68]
.LBB82_98:
	s_or_b32 exec_lo, exec_lo, s4
	s_waitcnt lgkmcnt(1)
	v_or_b32_e32 v65, 31, v0
	v_lshrrev_b32_e32 v83, 5, v0
	s_mov_b32 s4, exec_lo
	s_delay_alu instid0(VALU_DEP_2)
	v_cmpx_eq_u32_e64 v65, v0
	s_cbranch_execz .LBB82_100
; %bb.99:
	s_delay_alu instid0(VALU_DEP_2)
	v_lshlrev_b32_e32 v65, 4, v83
	ds_store_b128 v65, v[61:64]
.LBB82_100:
	s_or_b32 exec_lo, exec_lo, s4
	s_delay_alu instid0(SALU_CYCLE_1)
	s_mov_b32 s4, exec_lo
	s_waitcnt lgkmcnt(0)
	s_barrier
	buffer_gl0_inv
	v_cmpx_gt_u32_e32 8, v0
	s_cbranch_execz .LBB82_108
; %bb.101:
	ds_load_b128 v[65:68], v80
	v_and_b32_e32 v84, 7, v82
	s_mov_b32 s5, exec_lo
	s_waitcnt lgkmcnt(0)
	v_mov_b32_dpp v69, v65 row_shr:1 row_mask:0xf bank_mask:0xf
	v_mov_b32_dpp v70, v66 row_shr:1 row_mask:0xf bank_mask:0xf
	;; [unrolled: 1-line block ×4, first 2 shown]
	v_cmpx_ne_u32_e32 0, v84
; %bb.102:
	s_delay_alu instid0(VALU_DEP_2)
	v_add_f64 v[67:68], v[67:68], v[71:72]
	v_add_f64 v[65:66], v[65:66], v[69:70]
; %bb.103:
	s_or_b32 exec_lo, exec_lo, s5
	s_delay_alu instid0(VALU_DEP_1) | instskip(NEXT) | instid1(VALU_DEP_2)
	v_mov_b32_dpp v69, v65 row_shr:2 row_mask:0xf bank_mask:0xf
	v_mov_b32_dpp v70, v66 row_shr:2 row_mask:0xf bank_mask:0xf
	s_delay_alu instid0(VALU_DEP_4)
	v_mov_b32_dpp v71, v67 row_shr:2 row_mask:0xf bank_mask:0xf
	v_mov_b32_dpp v72, v68 row_shr:2 row_mask:0xf bank_mask:0xf
	s_mov_b32 s5, exec_lo
	v_cmpx_lt_u32_e32 1, v84
; %bb.104:
	s_delay_alu instid0(VALU_DEP_2)
	v_add_f64 v[67:68], v[67:68], v[71:72]
	v_add_f64 v[65:66], v[65:66], v[69:70]
; %bb.105:
	s_or_b32 exec_lo, exec_lo, s5
	s_delay_alu instid0(VALU_DEP_1) | instskip(NEXT) | instid1(VALU_DEP_2)
	v_mov_b32_dpp v69, v65 row_shr:4 row_mask:0xf bank_mask:0xf
	v_mov_b32_dpp v70, v66 row_shr:4 row_mask:0xf bank_mask:0xf
	s_delay_alu instid0(VALU_DEP_4)
	v_mov_b32_dpp v71, v67 row_shr:4 row_mask:0xf bank_mask:0xf
	v_mov_b32_dpp v72, v68 row_shr:4 row_mask:0xf bank_mask:0xf
	s_mov_b32 s5, exec_lo
	v_cmpx_lt_u32_e32 3, v84
; %bb.106:
	s_delay_alu instid0(VALU_DEP_2)
	v_add_f64 v[67:68], v[67:68], v[71:72]
	v_add_f64 v[65:66], v[65:66], v[69:70]
; %bb.107:
	s_or_b32 exec_lo, exec_lo, s5
	ds_store_b128 v80, v[65:68]
.LBB82_108:
	s_or_b32 exec_lo, exec_lo, s4
	v_mov_b32_e32 v67, 0
	v_mov_b32_e32 v68, 0
	s_delay_alu instid0(VALU_DEP_2)
	v_mov_b32_e32 v65, v67
	s_mov_b32 s4, exec_lo
	s_waitcnt lgkmcnt(0)
	s_barrier
	v_mov_b32_e32 v66, v68
	buffer_gl0_inv
	v_cmpx_lt_u32_e32 31, v0
	s_cbranch_execz .LBB82_110
; %bb.109:
	v_lshl_add_u32 v65, v83, 4, -16
	ds_load_b128 v[65:68], v65
	s_waitcnt lgkmcnt(0)
	v_add_f64 v[61:62], v[61:62], v[65:66]
	v_add_f64 v[63:64], v[63:64], v[67:68]
.LBB82_110:
	s_or_b32 exec_lo, exec_lo, s4
	v_add_nc_u32_e32 v69, -1, v82
	s_delay_alu instid0(VALU_DEP_1) | instskip(NEXT) | instid1(VALU_DEP_1)
	v_cmp_gt_i32_e64 s3, 0, v69
	v_cndmask_b32_e64 v69, v69, v82, s3
	s_delay_alu instid0(VALU_DEP_1)
	v_lshlrev_b32_e32 v70, 2, v69
	ds_bpermute_b32 v61, v70, v61
	ds_bpermute_b32 v69, v70, v62
	;; [unrolled: 1-line block ×4, first 2 shown]
	s_and_saveexec_b32 s3, s2
	s_cbranch_execz .LBB82_112
; %bb.111:
	v_cmp_eq_u32_e64 s2, 0, v82
	s_waitcnt lgkmcnt(0)
	s_delay_alu instid0(VALU_DEP_1) | instskip(SKIP_3) | instid1(VALU_DEP_2)
	v_cndmask_b32_e64 v34, v63, v68, s2
	v_cndmask_b32_e64 v36, v69, v66, s2
	;; [unrolled: 1-line block ×4, first 2 shown]
	v_add_f64 v[1:2], v[1:2], v[35:36]
	s_delay_alu instid0(VALU_DEP_2) | instskip(NEXT) | instid1(VALU_DEP_2)
	v_add_f64 v[3:4], v[3:4], v[33:34]
	v_add_f64 v[57:58], v[13:14], v[1:2]
	s_delay_alu instid0(VALU_DEP_2) | instskip(NEXT) | instid1(VALU_DEP_2)
	v_add_f64 v[59:60], v[15:16], v[3:4]
	;; [unrolled: 3-line block ×7, first 2 shown]
	v_add_f64 v[37:38], v[29:30], v[33:34]
	s_delay_alu instid0(VALU_DEP_2)
	v_add_f64 v[39:40], v[31:32], v[35:36]
.LBB82_112:
	s_or_b32 exec_lo, exec_lo, s3
	s_and_saveexec_b32 s2, vcc_lo
	s_cbranch_execz .LBB82_114
; %bb.113:
	v_dual_mov_b32 v9, 0 :: v_dual_mov_b32 v10, 2
	ds_load_b128 v[5:8], v9 offset:112
	s_waitcnt lgkmcnt(0)
	global_store_b128 v9, v[5:8], s[10:11] offset:512
	s_waitcnt_vscnt null, 0x0
	buffer_gl1_inv
	buffer_gl0_inv
	global_store_b8 v9, v10, s[22:23] offset:32
.LBB82_114:
	s_or_b32 exec_lo, exec_lo, s2
	s_waitcnt lgkmcnt(1)
	v_dual_mov_b32 v62, v2 :: v_dual_mov_b32 v61, v1
	s_waitcnt lgkmcnt(0)
	v_dual_mov_b32 v64, v4 :: v_dual_mov_b32 v63, v3
.LBB82_115:
	v_lshlrev_b32_e32 v2, 7, v0
	v_lshrrev_b32_e32 v1, 5, v0
	s_add_u32 s2, s6, s20
	s_addc_u32 s3, s7, s21
	s_and_b32 vcc_lo, exec_lo, s26
	s_mov_b32 s4, -1
	s_waitcnt lgkmcnt(0)
	s_waitcnt_vscnt null, 0x0
	s_barrier
	buffer_gl0_inv
	s_cbranch_vccz .LBB82_117
; %bb.116:
	v_lshl_add_u32 v3, v81, 4, v2
	v_lshrrev_b32_e32 v11, 5, v78
	v_lshrrev_b32_e32 v12, 5, v77
	;; [unrolled: 1-line block ×4, first 2 shown]
	ds_store_b128 v3, v[61:64]
	ds_store_b128 v3, v[57:60] offset:16
	ds_store_b128 v3, v[53:56] offset:32
	;; [unrolled: 1-line block ×7, first 2 shown]
	v_lshrrev_b32_e32 v3, 5, v79
	v_lshrrev_b32_e32 v27, 5, v74
	v_add_lshl_u32 v4, v1, v0, 4
	v_add_lshl_u32 v11, v11, v0, 4
	v_lshrrev_b32_e32 v28, 5, v73
	v_add_lshl_u32 v7, v3, v0, 4
	v_add_lshl_u32 v15, v12, v0, 4
	;; [unrolled: 1-line block ×5, first 2 shown]
	s_waitcnt lgkmcnt(0)
	s_barrier
	buffer_gl0_inv
	ds_load_b128 v[3:6], v4
	ds_load_b128 v[7:10], v7 offset:4096
	ds_load_b128 v[11:14], v11 offset:8192
	;; [unrolled: 1-line block ×5, first 2 shown]
	v_add_lshl_u32 v31, v28, v0, 4
	v_add_co_u32 v71, s4, s2, v80
	ds_load_b128 v[27:30], v27 offset:24576
	ds_load_b128 v[65:68], v31 offset:28672
	v_add_co_ci_u32_e64 v72, null, s3, 0, s4
	v_add_co_u32 v31, vcc_lo, v71, 0x2000
	s_mov_b32 s4, 0
	s_delay_alu instid0(VALU_DEP_2)
	v_add_co_ci_u32_e32 v32, vcc_lo, 0, v72, vcc_lo
	v_add_co_u32 v69, vcc_lo, v71, 0x4000
	v_add_co_ci_u32_e32 v70, vcc_lo, 0, v72, vcc_lo
	s_waitcnt lgkmcnt(5)
	global_store_b128 v[31:32], v[11:14], off
	s_waitcnt lgkmcnt(4)
	global_store_b128 v[69:70], v[15:18], off offset:-4096
	v_add_co_u32 v11, vcc_lo, v71, 0x6000
	v_add_co_ci_u32_e32 v12, vcc_lo, 0, v72, vcc_lo
	v_add_co_u32 v13, vcc_lo, 0x7000, v71
	v_add_co_ci_u32_e32 v14, vcc_lo, 0, v72, vcc_lo
	s_waitcnt lgkmcnt(3)
	global_store_b128 v[69:70], v[19:22], off
	s_waitcnt lgkmcnt(2)
	s_clause 0x1
	global_store_b128 v[11:12], v[23:26], off offset:-4096
	global_store_b128 v80, v[3:6], s[2:3]
	s_waitcnt lgkmcnt(1)
	s_clause 0x1
	global_store_b128 v[11:12], v[27:30], off
	global_store_b128 v[31:32], v[7:10], off offset:-4096
	s_waitcnt lgkmcnt(0)
	global_store_b128 v[13:14], v[65:68], off
.LBB82_117:
	s_and_not1_b32 vcc_lo, exec_lo, s4
	s_cbranch_vccnz .LBB82_154
; %bb.118:
	v_lshl_add_u32 v2, v81, 4, v2
	v_lshrrev_b32_e32 v3, 5, v79
	v_add_lshl_u32 v1, v1, v0, 4
	v_lshrrev_b32_e32 v10, 5, v78
	v_lshrrev_b32_e32 v11, 5, v76
	ds_store_b128 v2, v[61:64]
	ds_store_b128 v2, v[57:60] offset:16
	ds_store_b128 v2, v[53:56] offset:32
	;; [unrolled: 1-line block ×7, first 2 shown]
	v_add_lshl_u32 v2, v3, v0, 4
	s_waitcnt lgkmcnt(0)
	s_waitcnt_vscnt null, 0x0
	s_barrier
	buffer_gl0_inv
	ds_load_b128 v[6:9], v1
	ds_load_b128 v[2:5], v2 offset:4096
	v_add_lshl_u32 v1, v10, v0, 4
	v_lshrrev_b32_e32 v10, 5, v77
	v_lshrrev_b32_e32 v12, 5, v75
	;; [unrolled: 1-line block ×4, first 2 shown]
	v_add_lshl_u32 v18, v11, v0, 4
	v_add_lshl_u32 v15, v10, v0, 4
	;; [unrolled: 1-line block ×5, first 2 shown]
	ds_load_b128 v[10:13], v1 offset:8192
	ds_load_b128 v[14:17], v15 offset:12288
	;; [unrolled: 1-line block ×6, first 2 shown]
	v_add_co_u32 v34, s2, s2, v80
	v_mov_b32_e32 v1, 0
	v_add_co_ci_u32_e64 v35, null, s3, 0, s2
	s_mov_b32 s2, exec_lo
	v_cmpx_gt_u32_e64 s24, v0
	s_cbranch_execnz .LBB82_155
; %bb.119:
	s_or_b32 exec_lo, exec_lo, s2
	s_delay_alu instid0(SALU_CYCLE_1)
	s_mov_b32 s2, exec_lo
	v_cmpx_gt_u32_e64 s24, v79
	s_cbranch_execnz .LBB82_156
.LBB82_120:
	s_or_b32 exec_lo, exec_lo, s2
	s_delay_alu instid0(SALU_CYCLE_1)
	s_mov_b32 s2, exec_lo
	v_cmpx_gt_u32_e64 s24, v78
	s_cbranch_execnz .LBB82_157
.LBB82_121:
	s_or_b32 exec_lo, exec_lo, s2
	s_delay_alu instid0(SALU_CYCLE_1)
	s_mov_b32 s2, exec_lo
	v_cmpx_gt_u32_e64 s24, v77
	s_cbranch_execnz .LBB82_158
.LBB82_122:
	s_or_b32 exec_lo, exec_lo, s2
	s_delay_alu instid0(SALU_CYCLE_1)
	s_mov_b32 s2, exec_lo
	v_cmpx_gt_u32_e64 s24, v76
	s_cbranch_execnz .LBB82_159
.LBB82_123:
	s_or_b32 exec_lo, exec_lo, s2
	s_delay_alu instid0(SALU_CYCLE_1)
	s_mov_b32 s2, exec_lo
	v_cmpx_gt_u32_e64 s24, v75
	s_cbranch_execnz .LBB82_160
.LBB82_124:
	s_or_b32 exec_lo, exec_lo, s2
	s_delay_alu instid0(SALU_CYCLE_1)
	s_mov_b32 s2, exec_lo
	v_cmpx_gt_u32_e64 s24, v74
	s_cbranch_execnz .LBB82_161
.LBB82_125:
	s_or_b32 exec_lo, exec_lo, s2
	s_delay_alu instid0(SALU_CYCLE_1)
	s_mov_b32 s2, exec_lo
	v_cmpx_gt_u32_e64 s24, v73
	s_cbranch_execz .LBB82_127
.LBB82_126:
	v_add_co_u32 v34, vcc_lo, 0x7000, v34
	v_add_co_ci_u32_e32 v35, vcc_lo, 0, v35, vcc_lo
	s_waitcnt lgkmcnt(0)
	global_store_b128 v[34:35], v[30:33], off
.LBB82_127:
	s_or_b32 exec_lo, exec_lo, s2
	s_load_b32 s0, s[0:1], 0x68
	s_waitcnt lgkmcnt(0)
	s_bfe_u32 s0, s0, 0x10008
	s_delay_alu instid0(SALU_CYCLE_1)
	s_cmp_eq_u32 s0, 0
	s_cbranch_scc1 .LBB82_154
; %bb.128:
	s_add_u32 s0, s24, -1
	s_addc_u32 s1, s25, -1
	s_delay_alu instid0(SALU_CYCLE_1)
	s_lshr_b64 s[2:3], s[0:1], 3
	s_mov_b32 s1, exec_lo
	v_cmpx_eq_u64_e64 s[2:3], v[0:1]
	s_cbranch_execz .LBB82_154
; %bb.129:
	s_and_b32 s0, s0, 7
	s_mov_b32 s1, 0
	s_delay_alu instid0(SALU_CYCLE_1) | instskip(NEXT) | instid1(VALU_DEP_1)
	v_cmp_lt_i64_e64 s2, s[0:1], 4
	s_and_b32 vcc_lo, exec_lo, s2
	s_mov_b32 s2, -1
	s_cbranch_vccnz .LBB82_142
; %bb.130:
	v_cmp_lt_i64_e64 s2, s[0:1], 6
	s_delay_alu instid0(VALU_DEP_1)
	s_and_b32 vcc_lo, exec_lo, s2
	s_mov_b32 s2, -1
	s_cbranch_vccnz .LBB82_136
; %bb.131:
	v_cmp_gt_i64_e64 s2, s[0:1], 6
	s_delay_alu instid0(VALU_DEP_1)
	s_and_b32 vcc_lo, exec_lo, s2
	s_mov_b32 s2, -1
	s_cbranch_vccz .LBB82_133
; %bb.132:
	v_mov_b32_e32 v0, 0
	s_mov_b32 s2, 0
	global_store_b128 v0, v[30:33], s[14:15]
.LBB82_133:
	s_and_not1_b32 vcc_lo, exec_lo, s2
	s_cbranch_vccnz .LBB82_135
; %bb.134:
	v_mov_b32_e32 v0, 0
	global_store_b128 v0, v[26:29], s[14:15]
.LBB82_135:
	s_mov_b32 s2, 0
.LBB82_136:
	s_delay_alu instid0(SALU_CYCLE_1)
	s_and_not1_b32 vcc_lo, exec_lo, s2
	s_cbranch_vccnz .LBB82_141
; %bb.137:
	v_cmp_gt_i64_e64 s2, s[0:1], 4
	s_delay_alu instid0(VALU_DEP_1)
	s_and_b32 vcc_lo, exec_lo, s2
	s_mov_b32 s2, -1
	s_cbranch_vccz .LBB82_139
; %bb.138:
	v_mov_b32_e32 v0, 0
	s_mov_b32 s2, 0
	global_store_b128 v0, v[22:25], s[14:15]
.LBB82_139:
	s_and_not1_b32 vcc_lo, exec_lo, s2
	s_cbranch_vccnz .LBB82_141
; %bb.140:
	v_mov_b32_e32 v0, 0
	global_store_b128 v0, v[18:21], s[14:15]
.LBB82_141:
	s_mov_b32 s2, 0
.LBB82_142:
	s_delay_alu instid0(SALU_CYCLE_1)
	s_and_not1_b32 vcc_lo, exec_lo, s2
	s_cbranch_vccnz .LBB82_154
; %bb.143:
	v_cmp_lt_i64_e64 s2, s[0:1], 2
	s_delay_alu instid0(VALU_DEP_1)
	s_and_b32 vcc_lo, exec_lo, s2
	s_mov_b32 s2, -1
	s_cbranch_vccnz .LBB82_149
; %bb.144:
	v_cmp_gt_i64_e64 s2, s[0:1], 2
	s_delay_alu instid0(VALU_DEP_1)
	s_and_b32 vcc_lo, exec_lo, s2
	s_mov_b32 s2, -1
	s_cbranch_vccz .LBB82_146
; %bb.145:
	v_mov_b32_e32 v0, 0
	s_mov_b32 s2, 0
	global_store_b128 v0, v[14:17], s[14:15]
.LBB82_146:
	s_and_not1_b32 vcc_lo, exec_lo, s2
	s_cbranch_vccnz .LBB82_148
; %bb.147:
	v_mov_b32_e32 v0, 0
	global_store_b128 v0, v[10:13], s[14:15]
.LBB82_148:
	s_mov_b32 s2, 0
.LBB82_149:
	s_delay_alu instid0(SALU_CYCLE_1)
	s_and_not1_b32 vcc_lo, exec_lo, s2
	s_cbranch_vccnz .LBB82_154
; %bb.150:
	s_cmp_eq_u64 s[0:1], 1
	s_mov_b32 s0, -1
	s_cbranch_scc1 .LBB82_152
; %bb.151:
	v_mov_b32_e32 v0, 0
	s_mov_b32 s0, 0
	global_store_b128 v0, v[6:9], s[14:15]
.LBB82_152:
	s_and_not1_b32 vcc_lo, exec_lo, s0
	s_cbranch_vccnz .LBB82_154
; %bb.153:
	v_mov_b32_e32 v0, 0
	global_store_b128 v0, v[2:5], s[14:15]
.LBB82_154:
	s_nop 0
	s_sendmsg sendmsg(MSG_DEALLOC_VGPRS)
	s_endpgm
.LBB82_155:
	s_waitcnt lgkmcnt(7)
	global_store_b128 v[34:35], v[6:9], off
	s_or_b32 exec_lo, exec_lo, s2
	s_delay_alu instid0(SALU_CYCLE_1)
	s_mov_b32 s2, exec_lo
	v_cmpx_gt_u32_e64 s24, v79
	s_cbranch_execz .LBB82_120
.LBB82_156:
	v_add_co_u32 v36, vcc_lo, 0x1000, v34
	v_add_co_ci_u32_e32 v37, vcc_lo, 0, v35, vcc_lo
	s_waitcnt lgkmcnt(6)
	global_store_b128 v[36:37], v[2:5], off
	s_or_b32 exec_lo, exec_lo, s2
	s_delay_alu instid0(SALU_CYCLE_1)
	s_mov_b32 s2, exec_lo
	v_cmpx_gt_u32_e64 s24, v78
	s_cbranch_execz .LBB82_121
.LBB82_157:
	v_add_co_u32 v36, vcc_lo, 0x2000, v34
	v_add_co_ci_u32_e32 v37, vcc_lo, 0, v35, vcc_lo
	s_waitcnt lgkmcnt(5)
	global_store_b128 v[36:37], v[10:13], off
	s_or_b32 exec_lo, exec_lo, s2
	s_delay_alu instid0(SALU_CYCLE_1)
	s_mov_b32 s2, exec_lo
	v_cmpx_gt_u32_e64 s24, v77
	s_cbranch_execz .LBB82_122
.LBB82_158:
	v_add_co_u32 v36, vcc_lo, 0x3000, v34
	v_add_co_ci_u32_e32 v37, vcc_lo, 0, v35, vcc_lo
	s_waitcnt lgkmcnt(4)
	global_store_b128 v[36:37], v[14:17], off
	s_or_b32 exec_lo, exec_lo, s2
	s_delay_alu instid0(SALU_CYCLE_1)
	s_mov_b32 s2, exec_lo
	v_cmpx_gt_u32_e64 s24, v76
	s_cbranch_execz .LBB82_123
.LBB82_159:
	v_add_co_u32 v36, vcc_lo, 0x4000, v34
	v_add_co_ci_u32_e32 v37, vcc_lo, 0, v35, vcc_lo
	s_waitcnt lgkmcnt(3)
	global_store_b128 v[36:37], v[18:21], off
	s_or_b32 exec_lo, exec_lo, s2
	s_delay_alu instid0(SALU_CYCLE_1)
	s_mov_b32 s2, exec_lo
	v_cmpx_gt_u32_e64 s24, v75
	s_cbranch_execz .LBB82_124
.LBB82_160:
	v_add_co_u32 v36, vcc_lo, 0x5000, v34
	v_add_co_ci_u32_e32 v37, vcc_lo, 0, v35, vcc_lo
	s_waitcnt lgkmcnt(2)
	global_store_b128 v[36:37], v[22:25], off
	s_or_b32 exec_lo, exec_lo, s2
	s_delay_alu instid0(SALU_CYCLE_1)
	s_mov_b32 s2, exec_lo
	v_cmpx_gt_u32_e64 s24, v74
	s_cbranch_execz .LBB82_125
.LBB82_161:
	v_add_co_u32 v36, vcc_lo, 0x6000, v34
	v_add_co_ci_u32_e32 v37, vcc_lo, 0, v35, vcc_lo
	s_waitcnt lgkmcnt(1)
	global_store_b128 v[36:37], v[26:29], off
	s_or_b32 exec_lo, exec_lo, s2
	s_delay_alu instid0(SALU_CYCLE_1)
	s_mov_b32 s2, exec_lo
	v_cmpx_gt_u32_e64 s24, v73
	s_cbranch_execnz .LBB82_126
	s_branch .LBB82_127
	.section	.rodata,"a",@progbits
	.p2align	6, 0x0
	.amdhsa_kernel _ZN7rocprim17ROCPRIM_304000_NS6detail20lookback_scan_kernelILNS1_25lookback_scan_determinismE0ELb0ENS1_19wrapped_scan_configINS0_14default_configEN3c107complexIdEEEEPKS8_PS8_St4plusIS8_ES8_S8_NS1_19lookback_scan_stateIS8_Lb0ELb0EEEEEvT2_T3_mT5_T4_T7_jPT6_SN_bb
		.amdhsa_group_segment_fixed_size 33792
		.amdhsa_private_segment_fixed_size 0
		.amdhsa_kernarg_size 108
		.amdhsa_user_sgpr_count 15
		.amdhsa_user_sgpr_dispatch_ptr 0
		.amdhsa_user_sgpr_queue_ptr 0
		.amdhsa_user_sgpr_kernarg_segment_ptr 1
		.amdhsa_user_sgpr_dispatch_id 0
		.amdhsa_user_sgpr_private_segment_size 0
		.amdhsa_wavefront_size32 1
		.amdhsa_uses_dynamic_stack 0
		.amdhsa_enable_private_segment 0
		.amdhsa_system_sgpr_workgroup_id_x 1
		.amdhsa_system_sgpr_workgroup_id_y 0
		.amdhsa_system_sgpr_workgroup_id_z 0
		.amdhsa_system_sgpr_workgroup_info 0
		.amdhsa_system_vgpr_workitem_id 0
		.amdhsa_next_free_vgpr 85
		.amdhsa_next_free_sgpr 27
		.amdhsa_reserve_vcc 1
		.amdhsa_float_round_mode_32 0
		.amdhsa_float_round_mode_16_64 0
		.amdhsa_float_denorm_mode_32 3
		.amdhsa_float_denorm_mode_16_64 3
		.amdhsa_dx10_clamp 1
		.amdhsa_ieee_mode 1
		.amdhsa_fp16_overflow 0
		.amdhsa_workgroup_processor_mode 1
		.amdhsa_memory_ordered 1
		.amdhsa_forward_progress 0
		.amdhsa_shared_vgpr_count 0
		.amdhsa_exception_fp_ieee_invalid_op 0
		.amdhsa_exception_fp_denorm_src 0
		.amdhsa_exception_fp_ieee_div_zero 0
		.amdhsa_exception_fp_ieee_overflow 0
		.amdhsa_exception_fp_ieee_underflow 0
		.amdhsa_exception_fp_ieee_inexact 0
		.amdhsa_exception_int_div_zero 0
	.end_amdhsa_kernel
	.section	.text._ZN7rocprim17ROCPRIM_304000_NS6detail20lookback_scan_kernelILNS1_25lookback_scan_determinismE0ELb0ENS1_19wrapped_scan_configINS0_14default_configEN3c107complexIdEEEEPKS8_PS8_St4plusIS8_ES8_S8_NS1_19lookback_scan_stateIS8_Lb0ELb0EEEEEvT2_T3_mT5_T4_T7_jPT6_SN_bb,"axG",@progbits,_ZN7rocprim17ROCPRIM_304000_NS6detail20lookback_scan_kernelILNS1_25lookback_scan_determinismE0ELb0ENS1_19wrapped_scan_configINS0_14default_configEN3c107complexIdEEEEPKS8_PS8_St4plusIS8_ES8_S8_NS1_19lookback_scan_stateIS8_Lb0ELb0EEEEEvT2_T3_mT5_T4_T7_jPT6_SN_bb,comdat
.Lfunc_end82:
	.size	_ZN7rocprim17ROCPRIM_304000_NS6detail20lookback_scan_kernelILNS1_25lookback_scan_determinismE0ELb0ENS1_19wrapped_scan_configINS0_14default_configEN3c107complexIdEEEEPKS8_PS8_St4plusIS8_ES8_S8_NS1_19lookback_scan_stateIS8_Lb0ELb0EEEEEvT2_T3_mT5_T4_T7_jPT6_SN_bb, .Lfunc_end82-_ZN7rocprim17ROCPRIM_304000_NS6detail20lookback_scan_kernelILNS1_25lookback_scan_determinismE0ELb0ENS1_19wrapped_scan_configINS0_14default_configEN3c107complexIdEEEEPKS8_PS8_St4plusIS8_ES8_S8_NS1_19lookback_scan_stateIS8_Lb0ELb0EEEEEvT2_T3_mT5_T4_T7_jPT6_SN_bb
                                        ; -- End function
	.section	.AMDGPU.csdata,"",@progbits
; Kernel info:
; codeLenInByte = 7668
; NumSgprs: 29
; NumVgprs: 85
; ScratchSize: 0
; MemoryBound: 1
; FloatMode: 240
; IeeeMode: 1
; LDSByteSize: 33792 bytes/workgroup (compile time only)
; SGPRBlocks: 3
; VGPRBlocks: 10
; NumSGPRsForWavesPerEU: 29
; NumVGPRsForWavesPerEU: 85
; Occupancy: 6
; WaveLimiterHint : 1
; COMPUTE_PGM_RSRC2:SCRATCH_EN: 0
; COMPUTE_PGM_RSRC2:USER_SGPR: 15
; COMPUTE_PGM_RSRC2:TRAP_HANDLER: 0
; COMPUTE_PGM_RSRC2:TGID_X_EN: 1
; COMPUTE_PGM_RSRC2:TGID_Y_EN: 0
; COMPUTE_PGM_RSRC2:TGID_Z_EN: 0
; COMPUTE_PGM_RSRC2:TIDIG_COMP_CNT: 0
	.section	.text._ZN7rocprim17ROCPRIM_304000_NS6detail16transform_kernelINS1_24wrapped_transform_configINS0_14default_configEN3c107complexIdEEEES7_PS7_S9_NS0_8identityIS7_EEEEvT1_mT2_T3_,"axG",@progbits,_ZN7rocprim17ROCPRIM_304000_NS6detail16transform_kernelINS1_24wrapped_transform_configINS0_14default_configEN3c107complexIdEEEES7_PS7_S9_NS0_8identityIS7_EEEEvT1_mT2_T3_,comdat
	.protected	_ZN7rocprim17ROCPRIM_304000_NS6detail16transform_kernelINS1_24wrapped_transform_configINS0_14default_configEN3c107complexIdEEEES7_PS7_S9_NS0_8identityIS7_EEEEvT1_mT2_T3_ ; -- Begin function _ZN7rocprim17ROCPRIM_304000_NS6detail16transform_kernelINS1_24wrapped_transform_configINS0_14default_configEN3c107complexIdEEEES7_PS7_S9_NS0_8identityIS7_EEEEvT1_mT2_T3_
	.globl	_ZN7rocprim17ROCPRIM_304000_NS6detail16transform_kernelINS1_24wrapped_transform_configINS0_14default_configEN3c107complexIdEEEES7_PS7_S9_NS0_8identityIS7_EEEEvT1_mT2_T3_
	.p2align	8
	.type	_ZN7rocprim17ROCPRIM_304000_NS6detail16transform_kernelINS1_24wrapped_transform_configINS0_14default_configEN3c107complexIdEEEES7_PS7_S9_NS0_8identityIS7_EEEEvT1_mT2_T3_,@function
_ZN7rocprim17ROCPRIM_304000_NS6detail16transform_kernelINS1_24wrapped_transform_configINS0_14default_configEN3c107complexIdEEEES7_PS7_S9_NS0_8identityIS7_EEEEvT1_mT2_T3_: ; @_ZN7rocprim17ROCPRIM_304000_NS6detail16transform_kernelINS1_24wrapped_transform_configINS0_14default_configEN3c107complexIdEEEES7_PS7_S9_NS0_8identityIS7_EEEEvT1_mT2_T3_
; %bb.0:
	s_clause 0x1
	s_load_b32 s2, s[0:1], 0x20
	s_load_b128 s[4:7], s[0:1], 0x0
	s_waitcnt lgkmcnt(0)
	s_add_i32 s3, s2, -1
	s_lshl_b32 s2, s15, 10
	s_cmp_lg_u32 s15, s3
	s_cselect_b32 s3, -1, 0
	s_sub_i32 s6, s6, s2
	s_delay_alu instid0(SALU_CYCLE_1) | instskip(SKIP_1) | instid1(SALU_CYCLE_1)
	v_cmp_gt_u32_e32 vcc_lo, s6, v0
	s_or_b32 s3, vcc_lo, s3
	s_and_saveexec_b32 s6, s3
	s_cbranch_execz .LBB83_2
; %bb.1:
	s_load_b64 s[0:1], s[0:1], 0x10
	s_mov_b32 s3, 0
	v_lshlrev_b32_e32 v4, 4, v0
	s_lshl_b64 s[2:3], s[2:3], 4
	s_waitcnt lgkmcnt(0)
	s_add_u32 s0, s0, s2
	s_addc_u32 s1, s1, s3
	s_add_u32 s2, s4, s2
	s_addc_u32 s3, s5, s3
	global_load_b128 v[0:3], v4, s[2:3]
	s_waitcnt vmcnt(0)
	global_store_b128 v4, v[0:3], s[0:1]
.LBB83_2:
	s_nop 0
	s_sendmsg sendmsg(MSG_DEALLOC_VGPRS)
	s_endpgm
	.section	.rodata,"a",@progbits
	.p2align	6, 0x0
	.amdhsa_kernel _ZN7rocprim17ROCPRIM_304000_NS6detail16transform_kernelINS1_24wrapped_transform_configINS0_14default_configEN3c107complexIdEEEES7_PS7_S9_NS0_8identityIS7_EEEEvT1_mT2_T3_
		.amdhsa_group_segment_fixed_size 0
		.amdhsa_private_segment_fixed_size 0
		.amdhsa_kernarg_size 288
		.amdhsa_user_sgpr_count 15
		.amdhsa_user_sgpr_dispatch_ptr 0
		.amdhsa_user_sgpr_queue_ptr 0
		.amdhsa_user_sgpr_kernarg_segment_ptr 1
		.amdhsa_user_sgpr_dispatch_id 0
		.amdhsa_user_sgpr_private_segment_size 0
		.amdhsa_wavefront_size32 1
		.amdhsa_uses_dynamic_stack 0
		.amdhsa_enable_private_segment 0
		.amdhsa_system_sgpr_workgroup_id_x 1
		.amdhsa_system_sgpr_workgroup_id_y 0
		.amdhsa_system_sgpr_workgroup_id_z 0
		.amdhsa_system_sgpr_workgroup_info 0
		.amdhsa_system_vgpr_workitem_id 0
		.amdhsa_next_free_vgpr 5
		.amdhsa_next_free_sgpr 16
		.amdhsa_reserve_vcc 1
		.amdhsa_float_round_mode_32 0
		.amdhsa_float_round_mode_16_64 0
		.amdhsa_float_denorm_mode_32 3
		.amdhsa_float_denorm_mode_16_64 3
		.amdhsa_dx10_clamp 1
		.amdhsa_ieee_mode 1
		.amdhsa_fp16_overflow 0
		.amdhsa_workgroup_processor_mode 1
		.amdhsa_memory_ordered 1
		.amdhsa_forward_progress 0
		.amdhsa_shared_vgpr_count 0
		.amdhsa_exception_fp_ieee_invalid_op 0
		.amdhsa_exception_fp_denorm_src 0
		.amdhsa_exception_fp_ieee_div_zero 0
		.amdhsa_exception_fp_ieee_overflow 0
		.amdhsa_exception_fp_ieee_underflow 0
		.amdhsa_exception_fp_ieee_inexact 0
		.amdhsa_exception_int_div_zero 0
	.end_amdhsa_kernel
	.section	.text._ZN7rocprim17ROCPRIM_304000_NS6detail16transform_kernelINS1_24wrapped_transform_configINS0_14default_configEN3c107complexIdEEEES7_PS7_S9_NS0_8identityIS7_EEEEvT1_mT2_T3_,"axG",@progbits,_ZN7rocprim17ROCPRIM_304000_NS6detail16transform_kernelINS1_24wrapped_transform_configINS0_14default_configEN3c107complexIdEEEES7_PS7_S9_NS0_8identityIS7_EEEEvT1_mT2_T3_,comdat
.Lfunc_end83:
	.size	_ZN7rocprim17ROCPRIM_304000_NS6detail16transform_kernelINS1_24wrapped_transform_configINS0_14default_configEN3c107complexIdEEEES7_PS7_S9_NS0_8identityIS7_EEEEvT1_mT2_T3_, .Lfunc_end83-_ZN7rocprim17ROCPRIM_304000_NS6detail16transform_kernelINS1_24wrapped_transform_configINS0_14default_configEN3c107complexIdEEEES7_PS7_S9_NS0_8identityIS7_EEEEvT1_mT2_T3_
                                        ; -- End function
	.section	.AMDGPU.csdata,"",@progbits
; Kernel info:
; codeLenInByte = 136
; NumSgprs: 18
; NumVgprs: 5
; ScratchSize: 0
; MemoryBound: 0
; FloatMode: 240
; IeeeMode: 1
; LDSByteSize: 0 bytes/workgroup (compile time only)
; SGPRBlocks: 2
; VGPRBlocks: 0
; NumSGPRsForWavesPerEU: 18
; NumVGPRsForWavesPerEU: 5
; Occupancy: 16
; WaveLimiterHint : 0
; COMPUTE_PGM_RSRC2:SCRATCH_EN: 0
; COMPUTE_PGM_RSRC2:USER_SGPR: 15
; COMPUTE_PGM_RSRC2:TRAP_HANDLER: 0
; COMPUTE_PGM_RSRC2:TGID_X_EN: 1
; COMPUTE_PGM_RSRC2:TGID_Y_EN: 0
; COMPUTE_PGM_RSRC2:TGID_Z_EN: 0
; COMPUTE_PGM_RSRC2:TIDIG_COMP_CNT: 0
	.section	.text._ZN7rocprim17ROCPRIM_304000_NS6detail18single_scan_kernelILb0ENS1_19wrapped_scan_configINS0_14default_configEN3c107complexIdEEEEPKS7_PS7_St4plusIS7_ES7_S7_EEvT1_mT4_T2_T3_,"axG",@progbits,_ZN7rocprim17ROCPRIM_304000_NS6detail18single_scan_kernelILb0ENS1_19wrapped_scan_configINS0_14default_configEN3c107complexIdEEEEPKS7_PS7_St4plusIS7_ES7_S7_EEvT1_mT4_T2_T3_,comdat
	.protected	_ZN7rocprim17ROCPRIM_304000_NS6detail18single_scan_kernelILb0ENS1_19wrapped_scan_configINS0_14default_configEN3c107complexIdEEEEPKS7_PS7_St4plusIS7_ES7_S7_EEvT1_mT4_T2_T3_ ; -- Begin function _ZN7rocprim17ROCPRIM_304000_NS6detail18single_scan_kernelILb0ENS1_19wrapped_scan_configINS0_14default_configEN3c107complexIdEEEEPKS7_PS7_St4plusIS7_ES7_S7_EEvT1_mT4_T2_T3_
	.globl	_ZN7rocprim17ROCPRIM_304000_NS6detail18single_scan_kernelILb0ENS1_19wrapped_scan_configINS0_14default_configEN3c107complexIdEEEEPKS7_PS7_St4plusIS7_ES7_S7_EEvT1_mT4_T2_T3_
	.p2align	8
	.type	_ZN7rocprim17ROCPRIM_304000_NS6detail18single_scan_kernelILb0ENS1_19wrapped_scan_configINS0_14default_configEN3c107complexIdEEEEPKS7_PS7_St4plusIS7_ES7_S7_EEvT1_mT4_T2_T3_,@function
_ZN7rocprim17ROCPRIM_304000_NS6detail18single_scan_kernelILb0ENS1_19wrapped_scan_configINS0_14default_configEN3c107complexIdEEEEPKS7_PS7_St4plusIS7_ES7_S7_EEvT1_mT4_T2_T3_: ; @_ZN7rocprim17ROCPRIM_304000_NS6detail18single_scan_kernelILb0ENS1_19wrapped_scan_configINS0_14default_configEN3c107complexIdEEEEPKS7_PS7_St4plusIS7_ES7_S7_EEvT1_mT4_T2_T3_
; %bb.0:
	s_load_b128 s[8:11], s[0:1], 0x0
	s_waitcnt lgkmcnt(0)
	s_load_b128 s[12:15], s[8:9], 0x0
	v_lshlrev_b32_e32 v73, 4, v0
	v_cmp_gt_u32_e32 vcc_lo, s10, v0
	s_waitcnt lgkmcnt(0)
	v_dual_mov_b32 v3, s14 :: v_dual_mov_b32 v4, s15
	s_delay_alu instid0(VALU_DEP_3)
	v_add_co_u32 v33, s2, s8, v73
	v_dual_mov_b32 v1, s12 :: v_dual_mov_b32 v2, s13
	v_add_co_ci_u32_e64 v34, null, s9, 0, s2
	s_and_saveexec_b32 s2, vcc_lo
	s_cbranch_execz .LBB84_2
; %bb.1:
	global_load_b128 v[1:4], v[33:34], off
.LBB84_2:
	s_or_b32 exec_lo, exec_lo, s2
	v_or_b32_e32 v35, 0x100, v0
	v_dual_mov_b32 v7, s14 :: v_dual_mov_b32 v8, s15
	v_dual_mov_b32 v5, s12 :: v_dual_mov_b32 v6, s13
	s_delay_alu instid0(VALU_DEP_3) | instskip(NEXT) | instid1(VALU_DEP_1)
	v_cmp_gt_u32_e64 s2, s10, v35
	s_and_saveexec_b32 s4, s2
	s_cbranch_execz .LBB84_4
; %bb.3:
	v_add_co_u32 v5, s3, 0x1000, v33
	s_delay_alu instid0(VALU_DEP_1)
	v_add_co_ci_u32_e64 v6, s3, 0, v34, s3
	global_load_b128 v[5:8], v[5:6], off
.LBB84_4:
	s_or_b32 exec_lo, exec_lo, s4
	v_or_b32_e32 v36, 0x200, v0
	v_dual_mov_b32 v11, s14 :: v_dual_mov_b32 v12, s15
	v_dual_mov_b32 v9, s12 :: v_dual_mov_b32 v10, s13
	s_delay_alu instid0(VALU_DEP_3) | instskip(NEXT) | instid1(VALU_DEP_1)
	v_cmp_gt_u32_e64 s3, s10, v36
	s_and_saveexec_b32 s5, s3
	s_cbranch_execz .LBB84_6
; %bb.5:
	v_add_co_u32 v9, s4, 0x2000, v33
	s_delay_alu instid0(VALU_DEP_1)
	v_add_co_ci_u32_e64 v10, s4, 0, v34, s4
	global_load_b128 v[9:12], v[9:10], off
.LBB84_6:
	;; [unrolled: 14-line block ×7, first 2 shown]
	s_or_b32 exec_lo, exec_lo, s10
	v_lshrrev_b32_e32 v33, 1, v0
	v_lshrrev_b32_e32 v34, 1, v35
	;; [unrolled: 1-line block ×4, first 2 shown]
	v_mbcnt_lo_u32_b32 v84, -1, 0
	v_and_b32_e32 v83, 0x70, v33
	v_and_b32_e32 v33, 0xf0, v34
	;; [unrolled: 1-line block ×3, first 2 shown]
	v_lshrrev_b32_e32 v35, 1, v37
	v_and_b32_e32 v85, 15, v84
	v_add_nc_u32_e32 v74, v83, v73
	v_add_nc_u32_e32 v75, v33, v73
	;; [unrolled: 1-line block ×3, first 2 shown]
	v_lshrrev_b32_e32 v33, 1, v39
	v_and_b32_e32 v34, 0x1f0, v35
	s_waitcnt vmcnt(0)
	ds_store_b128 v74, v[1:4]
	ds_store_b128 v75, v[5:8] offset:4096
	ds_store_b128 v76, v[9:12] offset:8192
	v_lshrrev_b32_e32 v1, 1, v40
	v_and_b32_e32 v2, 0x3f0, v36
	v_lshrrev_b32_e32 v3, 1, v41
	v_and_b32_e32 v4, 0x3f0, v33
	v_add_nc_u32_e32 v77, v34, v73
	v_and_b32_e32 v1, 0x3f0, v1
	v_add_nc_u32_e32 v78, v2, v73
	v_and_b32_e32 v2, 0x3f0, v3
	v_lshrrev_b32_e32 v3, 2, v0
	v_add_nc_u32_e32 v79, v4, v73
	v_add_nc_u32_e32 v80, v1, v73
	v_lshlrev_b32_e32 v1, 3, v0
	v_add_nc_u32_e32 v81, v2, v73
	ds_store_b128 v77, v[13:16] offset:12288
	ds_store_b128 v78, v[17:20] offset:16384
	;; [unrolled: 1-line block ×4, first 2 shown]
	s_mov_b32 s10, exec_lo
	v_add_lshl_u32 v82, v3, v1, 4
	ds_store_b128 v81, v[29:32] offset:28672
	s_waitcnt lgkmcnt(0)
	s_barrier
	buffer_gl0_inv
	ds_load_b128 v[1:4], v82
	ds_load_b128 v[9:12], v82 offset:16
	ds_load_b128 v[41:44], v82 offset:32
	;; [unrolled: 1-line block ×7, first 2 shown]
	s_waitcnt lgkmcnt(0)
	s_barrier
	buffer_gl0_inv
	v_add_f64 v[33:34], v[1:2], v[9:10]
	v_add_f64 v[35:36], v[3:4], v[11:12]
	s_delay_alu instid0(VALU_DEP_2) | instskip(NEXT) | instid1(VALU_DEP_2)
	v_add_f64 v[29:30], v[33:34], v[41:42]
	v_add_f64 v[31:32], v[35:36], v[43:44]
	s_delay_alu instid0(VALU_DEP_2) | instskip(NEXT) | instid1(VALU_DEP_2)
	;; [unrolled: 3-line block ×6, first 2 shown]
	v_add_f64 v[5:6], v[13:14], v[53:54]
	v_add_f64 v[7:8], v[15:16], v[55:56]
	s_delay_alu instid0(VALU_DEP_2) | instskip(SKIP_1) | instid1(VALU_DEP_3)
	v_mov_b32_e32 v68, v6
	v_mov_b32_e32 v62, v6
	;; [unrolled: 1-line block ×3, first 2 shown]
	v_mov_b32_dpp v69, v5 row_shr:1 row_mask:0xf bank_mask:0xf
	v_mov_b32_dpp v70, v6 row_shr:1 row_mask:0xf bank_mask:0xf
	;; [unrolled: 1-line block ×4, first 2 shown]
	v_mov_b32_e32 v61, v5
	v_dual_mov_b32 v63, v7 :: v_dual_mov_b32 v66, v8
	v_mov_b32_e32 v65, v7
	v_mov_b32_e32 v67, v5
	v_cmpx_ne_u32_e32 0, v85
; %bb.17:
	v_add_f64 v[63:64], v[7:8], v[71:72]
	v_add_f64 v[61:62], v[5:6], v[69:70]
	s_delay_alu instid0(VALU_DEP_2) | instskip(NEXT) | instid1(VALU_DEP_2)
	v_dual_mov_b32 v66, v64 :: v_dual_mov_b32 v65, v63
	v_dual_mov_b32 v68, v62 :: v_dual_mov_b32 v67, v61
; %bb.18:
	s_or_b32 exec_lo, exec_lo, s10
	s_delay_alu instid0(VALU_DEP_1) | instskip(NEXT) | instid1(VALU_DEP_2)
	v_mov_b32_dpp v69, v67 row_shr:2 row_mask:0xf bank_mask:0xf
	v_mov_b32_dpp v70, v68 row_shr:2 row_mask:0xf bank_mask:0xf
	;; [unrolled: 1-line block ×4, first 2 shown]
	s_mov_b32 s10, exec_lo
	v_cmpx_lt_u32_e32 1, v85
; %bb.19:
	v_add_f64 v[67:68], v[61:62], v[69:70]
	s_delay_alu instid0(VALU_DEP_3) | instskip(NEXT) | instid1(VALU_DEP_2)
	v_add_f64 v[65:66], v[63:64], v[71:72]
	v_dual_mov_b32 v61, v67 :: v_dual_mov_b32 v62, v68
	s_delay_alu instid0(VALU_DEP_2)
	v_dual_mov_b32 v63, v65 :: v_dual_mov_b32 v64, v66
; %bb.20:
	s_or_b32 exec_lo, exec_lo, s10
	v_mov_b32_dpp v69, v67 row_shr:4 row_mask:0xf bank_mask:0xf
	v_mov_b32_dpp v70, v68 row_shr:4 row_mask:0xf bank_mask:0xf
	;; [unrolled: 1-line block ×4, first 2 shown]
	s_mov_b32 s10, exec_lo
	v_cmpx_lt_u32_e32 3, v85
; %bb.21:
	v_add_f64 v[67:68], v[61:62], v[69:70]
	s_delay_alu instid0(VALU_DEP_3) | instskip(NEXT) | instid1(VALU_DEP_2)
	v_add_f64 v[65:66], v[63:64], v[71:72]
	v_dual_mov_b32 v61, v67 :: v_dual_mov_b32 v62, v68
	s_delay_alu instid0(VALU_DEP_2)
	v_dual_mov_b32 v63, v65 :: v_dual_mov_b32 v64, v66
; %bb.22:
	s_or_b32 exec_lo, exec_lo, s10
	v_mov_b32_dpp v69, v67 row_shr:8 row_mask:0xf bank_mask:0xf
	v_mov_b32_dpp v70, v68 row_shr:8 row_mask:0xf bank_mask:0xf
	;; [unrolled: 1-line block ×4, first 2 shown]
	s_mov_b32 s10, exec_lo
	v_cmpx_lt_u32_e32 7, v85
; %bb.23:
	s_delay_alu instid0(VALU_DEP_2) | instskip(SKIP_1) | instid1(VALU_DEP_2)
	v_add_f64 v[63:64], v[63:64], v[71:72]
	v_add_f64 v[61:62], v[61:62], v[69:70]
	v_dual_mov_b32 v66, v64 :: v_dual_mov_b32 v65, v63
	s_delay_alu instid0(VALU_DEP_2)
	v_dual_mov_b32 v68, v62 :: v_dual_mov_b32 v67, v61
; %bb.24:
	s_or_b32 exec_lo, exec_lo, s10
	ds_swizzle_b32 v67, v67 offset:swizzle(BROADCAST,32,15)
	ds_swizzle_b32 v68, v68 offset:swizzle(BROADCAST,32,15)
	;; [unrolled: 1-line block ×4, first 2 shown]
	v_and_b32_e32 v69, 16, v84
	s_mov_b32 s10, exec_lo
	s_delay_alu instid0(VALU_DEP_1)
	v_cmpx_ne_u32_e32 0, v69
	s_cbranch_execz .LBB84_26
; %bb.25:
	s_waitcnt lgkmcnt(0)
	v_add_f64 v[63:64], v[63:64], v[65:66]
	v_add_f64 v[61:62], v[61:62], v[67:68]
.LBB84_26:
	s_or_b32 exec_lo, exec_lo, s10
	s_waitcnt lgkmcnt(1)
	v_or_b32_e32 v65, 31, v0
	s_mov_b32 s10, exec_lo
	s_delay_alu instid0(VALU_DEP_1)
	v_cmpx_eq_u32_e64 v65, v0
	s_cbranch_execz .LBB84_28
; %bb.27:
	ds_store_b128 v83, v[61:64]
.LBB84_28:
	s_or_b32 exec_lo, exec_lo, s10
	s_delay_alu instid0(SALU_CYCLE_1)
	s_mov_b32 s10, exec_lo
	s_waitcnt lgkmcnt(0)
	s_barrier
	buffer_gl0_inv
	v_cmpx_gt_u32_e32 8, v0
	s_cbranch_execz .LBB84_36
; %bb.29:
	ds_load_b128 v[65:68], v73
	v_and_b32_e32 v85, 7, v84
	s_mov_b32 s11, exec_lo
	s_waitcnt lgkmcnt(0)
	v_mov_b32_dpp v69, v65 row_shr:1 row_mask:0xf bank_mask:0xf
	v_mov_b32_dpp v70, v66 row_shr:1 row_mask:0xf bank_mask:0xf
	;; [unrolled: 1-line block ×4, first 2 shown]
	v_cmpx_ne_u32_e32 0, v85
; %bb.30:
	s_delay_alu instid0(VALU_DEP_2)
	v_add_f64 v[67:68], v[67:68], v[71:72]
	v_add_f64 v[65:66], v[65:66], v[69:70]
; %bb.31:
	s_or_b32 exec_lo, exec_lo, s11
	s_delay_alu instid0(VALU_DEP_1) | instskip(NEXT) | instid1(VALU_DEP_2)
	v_mov_b32_dpp v69, v65 row_shr:2 row_mask:0xf bank_mask:0xf
	v_mov_b32_dpp v70, v66 row_shr:2 row_mask:0xf bank_mask:0xf
	s_delay_alu instid0(VALU_DEP_4)
	v_mov_b32_dpp v71, v67 row_shr:2 row_mask:0xf bank_mask:0xf
	v_mov_b32_dpp v72, v68 row_shr:2 row_mask:0xf bank_mask:0xf
	s_mov_b32 s11, exec_lo
	v_cmpx_lt_u32_e32 1, v85
; %bb.32:
	s_delay_alu instid0(VALU_DEP_2)
	v_add_f64 v[67:68], v[67:68], v[71:72]
	v_add_f64 v[65:66], v[65:66], v[69:70]
; %bb.33:
	s_or_b32 exec_lo, exec_lo, s11
	s_delay_alu instid0(VALU_DEP_1) | instskip(NEXT) | instid1(VALU_DEP_2)
	v_mov_b32_dpp v69, v65 row_shr:4 row_mask:0xf bank_mask:0xf
	v_mov_b32_dpp v70, v66 row_shr:4 row_mask:0xf bank_mask:0xf
	s_delay_alu instid0(VALU_DEP_4)
	v_mov_b32_dpp v71, v67 row_shr:4 row_mask:0xf bank_mask:0xf
	v_mov_b32_dpp v72, v68 row_shr:4 row_mask:0xf bank_mask:0xf
	s_mov_b32 s11, exec_lo
	v_cmpx_lt_u32_e32 3, v85
; %bb.34:
	s_delay_alu instid0(VALU_DEP_2)
	v_add_f64 v[67:68], v[67:68], v[71:72]
	v_add_f64 v[65:66], v[65:66], v[69:70]
; %bb.35:
	s_or_b32 exec_lo, exec_lo, s11
	ds_store_b128 v73, v[65:68]
.LBB84_36:
	s_or_b32 exec_lo, exec_lo, s10
	v_mov_b32_e32 v67, 0
	v_mov_b32_e32 v68, 0
	s_delay_alu instid0(VALU_DEP_2)
	v_mov_b32_e32 v65, v67
	s_mov_b32 s10, exec_lo
	s_waitcnt lgkmcnt(0)
	s_barrier
	v_mov_b32_e32 v66, v68
	buffer_gl0_inv
	v_cmpx_lt_u32_e32 31, v0
	s_cbranch_execz .LBB84_38
; %bb.37:
	v_add_nc_u32_e32 v65, -16, v83
	ds_load_b128 v[65:68], v65
	s_waitcnt lgkmcnt(0)
	v_add_f64 v[61:62], v[61:62], v[65:66]
	v_add_f64 v[63:64], v[63:64], v[67:68]
.LBB84_38:
	s_or_b32 exec_lo, exec_lo, s10
	v_add_nc_u32_e32 v69, -1, v84
	s_mov_b32 s10, exec_lo
	s_delay_alu instid0(VALU_DEP_1) | instskip(NEXT) | instid1(VALU_DEP_1)
	v_cmp_gt_i32_e64 s9, 0, v69
	v_cndmask_b32_e64 v69, v69, v84, s9
	s_delay_alu instid0(VALU_DEP_1)
	v_lshlrev_b32_e32 v70, 2, v69
	ds_bpermute_b32 v61, v70, v61
	ds_bpermute_b32 v69, v70, v62
	;; [unrolled: 1-line block ×4, first 2 shown]
	v_cmpx_ne_u32_e32 0, v0
	s_cbranch_execz .LBB84_40
; %bb.39:
	v_cmp_eq_u32_e64 s9, 0, v84
	s_waitcnt lgkmcnt(0)
	s_delay_alu instid0(VALU_DEP_1) | instskip(SKIP_3) | instid1(VALU_DEP_2)
	v_cndmask_b32_e64 v6, v63, v68, s9
	v_cndmask_b32_e64 v8, v69, v66, s9
	;; [unrolled: 1-line block ×4, first 2 shown]
	v_add_f64 v[1:2], v[1:2], v[7:8]
	s_delay_alu instid0(VALU_DEP_2) | instskip(NEXT) | instid1(VALU_DEP_2)
	v_add_f64 v[3:4], v[3:4], v[5:6]
	v_add_f64 v[33:34], v[9:10], v[1:2]
	s_delay_alu instid0(VALU_DEP_2) | instskip(NEXT) | instid1(VALU_DEP_2)
	v_add_f64 v[35:36], v[11:12], v[3:4]
	;; [unrolled: 3-line block ×7, first 2 shown]
	v_add_f64 v[5:6], v[53:54], v[13:14]
	s_delay_alu instid0(VALU_DEP_2)
	v_add_f64 v[7:8], v[55:56], v[15:16]
.LBB84_40:
	s_or_b32 exec_lo, exec_lo, s10
	s_load_b64 s[0:1], s[0:1], 0x20
	s_waitcnt lgkmcnt(0)
	s_barrier
	buffer_gl0_inv
	ds_store_b128 v82, v[1:4]
	ds_store_b128 v82, v[33:36] offset:16
	ds_store_b128 v82, v[29:32] offset:32
	ds_store_b128 v82, v[25:28] offset:48
	ds_store_b128 v82, v[21:24] offset:64
	ds_store_b128 v82, v[17:20] offset:80
	ds_store_b128 v82, v[13:16] offset:96
	ds_store_b128 v82, v[5:8] offset:112
	s_waitcnt lgkmcnt(0)
	s_barrier
	buffer_gl0_inv
	ds_load_b128 v[24:27], v75 offset:4096
	ds_load_b128 v[20:23], v76 offset:8192
	;; [unrolled: 1-line block ×7, first 2 shown]
	v_add_co_u32 v28, s0, s0, v73
	s_delay_alu instid0(VALU_DEP_1)
	v_add_co_ci_u32_e64 v29, null, s1, 0, s0
	s_and_saveexec_b32 s0, vcc_lo
	s_cbranch_execnz .LBB84_49
; %bb.41:
	s_or_b32 exec_lo, exec_lo, s0
	s_and_saveexec_b32 s0, s2
	s_cbranch_execnz .LBB84_50
.LBB84_42:
	s_or_b32 exec_lo, exec_lo, s0
	s_and_saveexec_b32 s0, s3
	s_cbranch_execnz .LBB84_51
.LBB84_43:
	s_or_b32 exec_lo, exec_lo, s0
	s_and_saveexec_b32 s0, s4
	s_cbranch_execnz .LBB84_52
.LBB84_44:
	s_or_b32 exec_lo, exec_lo, s0
	s_and_saveexec_b32 s0, s5
	s_cbranch_execnz .LBB84_53
.LBB84_45:
	s_or_b32 exec_lo, exec_lo, s0
	s_and_saveexec_b32 s0, s6
	s_cbranch_execnz .LBB84_54
.LBB84_46:
	s_or_b32 exec_lo, exec_lo, s0
	s_and_saveexec_b32 s0, s7
	s_cbranch_execnz .LBB84_55
.LBB84_47:
	s_or_b32 exec_lo, exec_lo, s0
	s_and_saveexec_b32 s0, s8
	s_cbranch_execnz .LBB84_56
.LBB84_48:
	s_nop 0
	s_sendmsg sendmsg(MSG_DEALLOC_VGPRS)
	s_endpgm
.LBB84_49:
	ds_load_b128 v[30:33], v74
	s_waitcnt lgkmcnt(0)
	global_store_b128 v[28:29], v[30:33], off
	s_or_b32 exec_lo, exec_lo, s0
	s_and_saveexec_b32 s0, s2
	s_cbranch_execz .LBB84_42
.LBB84_50:
	v_add_co_u32 v30, vcc_lo, 0x1000, v28
	v_add_co_ci_u32_e32 v31, vcc_lo, 0, v29, vcc_lo
	s_waitcnt lgkmcnt(6)
	global_store_b128 v[30:31], v[24:27], off
	s_or_b32 exec_lo, exec_lo, s0
	s_and_saveexec_b32 s0, s3
	s_cbranch_execz .LBB84_43
.LBB84_51:
	s_waitcnt lgkmcnt(6)
	v_add_co_u32 v24, vcc_lo, 0x2000, v28
	v_add_co_ci_u32_e32 v25, vcc_lo, 0, v29, vcc_lo
	s_waitcnt lgkmcnt(5)
	global_store_b128 v[24:25], v[20:23], off
	s_or_b32 exec_lo, exec_lo, s0
	s_and_saveexec_b32 s0, s4
	s_cbranch_execz .LBB84_44
.LBB84_52:
	s_waitcnt lgkmcnt(5)
	v_add_co_u32 v20, vcc_lo, 0x3000, v28
	v_add_co_ci_u32_e32 v21, vcc_lo, 0, v29, vcc_lo
	s_waitcnt lgkmcnt(4)
	global_store_b128 v[20:21], v[16:19], off
	s_or_b32 exec_lo, exec_lo, s0
	s_and_saveexec_b32 s0, s5
	s_cbranch_execz .LBB84_45
.LBB84_53:
	s_waitcnt lgkmcnt(4)
	v_add_co_u32 v16, vcc_lo, 0x4000, v28
	v_add_co_ci_u32_e32 v17, vcc_lo, 0, v29, vcc_lo
	s_waitcnt lgkmcnt(3)
	global_store_b128 v[16:17], v[12:15], off
	s_or_b32 exec_lo, exec_lo, s0
	s_and_saveexec_b32 s0, s6
	s_cbranch_execz .LBB84_46
.LBB84_54:
	s_waitcnt lgkmcnt(3)
	v_add_co_u32 v12, vcc_lo, 0x5000, v28
	v_add_co_ci_u32_e32 v13, vcc_lo, 0, v29, vcc_lo
	s_waitcnt lgkmcnt(2)
	global_store_b128 v[12:13], v[8:11], off
	s_or_b32 exec_lo, exec_lo, s0
	s_and_saveexec_b32 s0, s7
	s_cbranch_execz .LBB84_47
.LBB84_55:
	s_waitcnt lgkmcnt(2)
	v_add_co_u32 v8, vcc_lo, 0x6000, v28
	v_add_co_ci_u32_e32 v9, vcc_lo, 0, v29, vcc_lo
	s_waitcnt lgkmcnt(1)
	global_store_b128 v[8:9], v[4:7], off
	s_or_b32 exec_lo, exec_lo, s0
	s_and_saveexec_b32 s0, s8
	s_cbranch_execz .LBB84_48
.LBB84_56:
	s_waitcnt lgkmcnt(1)
	v_add_co_u32 v4, vcc_lo, 0x7000, v28
	v_add_co_ci_u32_e32 v5, vcc_lo, 0, v29, vcc_lo
	s_waitcnt lgkmcnt(0)
	global_store_b128 v[4:5], v[0:3], off
	s_nop 0
	s_sendmsg sendmsg(MSG_DEALLOC_VGPRS)
	s_endpgm
	.section	.rodata,"a",@progbits
	.p2align	6, 0x0
	.amdhsa_kernel _ZN7rocprim17ROCPRIM_304000_NS6detail18single_scan_kernelILb0ENS1_19wrapped_scan_configINS0_14default_configEN3c107complexIdEEEEPKS7_PS7_St4plusIS7_ES7_S7_EEvT1_mT4_T2_T3_
		.amdhsa_group_segment_fixed_size 33792
		.amdhsa_private_segment_fixed_size 0
		.amdhsa_kernarg_size 44
		.amdhsa_user_sgpr_count 15
		.amdhsa_user_sgpr_dispatch_ptr 0
		.amdhsa_user_sgpr_queue_ptr 0
		.amdhsa_user_sgpr_kernarg_segment_ptr 1
		.amdhsa_user_sgpr_dispatch_id 0
		.amdhsa_user_sgpr_private_segment_size 0
		.amdhsa_wavefront_size32 1
		.amdhsa_uses_dynamic_stack 0
		.amdhsa_enable_private_segment 0
		.amdhsa_system_sgpr_workgroup_id_x 1
		.amdhsa_system_sgpr_workgroup_id_y 0
		.amdhsa_system_sgpr_workgroup_id_z 0
		.amdhsa_system_sgpr_workgroup_info 0
		.amdhsa_system_vgpr_workitem_id 0
		.amdhsa_next_free_vgpr 86
		.amdhsa_next_free_sgpr 16
		.amdhsa_reserve_vcc 1
		.amdhsa_float_round_mode_32 0
		.amdhsa_float_round_mode_16_64 0
		.amdhsa_float_denorm_mode_32 3
		.amdhsa_float_denorm_mode_16_64 3
		.amdhsa_dx10_clamp 1
		.amdhsa_ieee_mode 1
		.amdhsa_fp16_overflow 0
		.amdhsa_workgroup_processor_mode 1
		.amdhsa_memory_ordered 1
		.amdhsa_forward_progress 0
		.amdhsa_shared_vgpr_count 0
		.amdhsa_exception_fp_ieee_invalid_op 0
		.amdhsa_exception_fp_denorm_src 0
		.amdhsa_exception_fp_ieee_div_zero 0
		.amdhsa_exception_fp_ieee_overflow 0
		.amdhsa_exception_fp_ieee_underflow 0
		.amdhsa_exception_fp_ieee_inexact 0
		.amdhsa_exception_int_div_zero 0
	.end_amdhsa_kernel
	.section	.text._ZN7rocprim17ROCPRIM_304000_NS6detail18single_scan_kernelILb0ENS1_19wrapped_scan_configINS0_14default_configEN3c107complexIdEEEEPKS7_PS7_St4plusIS7_ES7_S7_EEvT1_mT4_T2_T3_,"axG",@progbits,_ZN7rocprim17ROCPRIM_304000_NS6detail18single_scan_kernelILb0ENS1_19wrapped_scan_configINS0_14default_configEN3c107complexIdEEEEPKS7_PS7_St4plusIS7_ES7_S7_EEvT1_mT4_T2_T3_,comdat
.Lfunc_end84:
	.size	_ZN7rocprim17ROCPRIM_304000_NS6detail18single_scan_kernelILb0ENS1_19wrapped_scan_configINS0_14default_configEN3c107complexIdEEEEPKS7_PS7_St4plusIS7_ES7_S7_EEvT1_mT4_T2_T3_, .Lfunc_end84-_ZN7rocprim17ROCPRIM_304000_NS6detail18single_scan_kernelILb0ENS1_19wrapped_scan_configINS0_14default_configEN3c107complexIdEEEEPKS7_PS7_St4plusIS7_ES7_S7_EEvT1_mT4_T2_T3_
                                        ; -- End function
	.section	.AMDGPU.csdata,"",@progbits
; Kernel info:
; codeLenInByte = 2852
; NumSgprs: 18
; NumVgprs: 86
; ScratchSize: 0
; MemoryBound: 1
; FloatMode: 240
; IeeeMode: 1
; LDSByteSize: 33792 bytes/workgroup (compile time only)
; SGPRBlocks: 2
; VGPRBlocks: 10
; NumSGPRsForWavesPerEU: 18
; NumVGPRsForWavesPerEU: 86
; Occupancy: 6
; WaveLimiterHint : 0
; COMPUTE_PGM_RSRC2:SCRATCH_EN: 0
; COMPUTE_PGM_RSRC2:USER_SGPR: 15
; COMPUTE_PGM_RSRC2:TRAP_HANDLER: 0
; COMPUTE_PGM_RSRC2:TGID_X_EN: 1
; COMPUTE_PGM_RSRC2:TGID_Y_EN: 0
; COMPUTE_PGM_RSRC2:TGID_Z_EN: 0
; COMPUTE_PGM_RSRC2:TIDIG_COMP_CNT: 0
	.section	.text._ZN2at6native32tensor_kernel_scan_innermost_dimIN3c107complexIdEESt4plusIS4_EEEvPT_PKS7_jjjS7_T0_,"axG",@progbits,_ZN2at6native32tensor_kernel_scan_innermost_dimIN3c107complexIdEESt4plusIS4_EEEvPT_PKS7_jjjS7_T0_,comdat
	.protected	_ZN2at6native32tensor_kernel_scan_innermost_dimIN3c107complexIdEESt4plusIS4_EEEvPT_PKS7_jjjS7_T0_ ; -- Begin function _ZN2at6native32tensor_kernel_scan_innermost_dimIN3c107complexIdEESt4plusIS4_EEEvPT_PKS7_jjjS7_T0_
	.globl	_ZN2at6native32tensor_kernel_scan_innermost_dimIN3c107complexIdEESt4plusIS4_EEEvPT_PKS7_jjjS7_T0_
	.p2align	8
	.type	_ZN2at6native32tensor_kernel_scan_innermost_dimIN3c107complexIdEESt4plusIS4_EEEvPT_PKS7_jjjS7_T0_,@function
_ZN2at6native32tensor_kernel_scan_innermost_dimIN3c107complexIdEESt4plusIS4_EEEvPT_PKS7_jjjS7_T0_: ; @_ZN2at6native32tensor_kernel_scan_innermost_dimIN3c107complexIdEESt4plusIS4_EEEvPT_PKS7_jjjS7_T0_
; %bb.0:
	s_clause 0x1
	s_load_b256 s[16:23], s[0:1], 0x0
	s_load_b128 s[8:11], s[0:1], 0x20
	v_bfe_u32 v10, v0, 10, 10
	s_waitcnt lgkmcnt(0)
	s_lshl_b32 s5, 2, s22
	s_mul_hi_u32 s2, s20, s21
	s_delay_alu instid0(VALU_DEP_1) | instskip(SKIP_3) | instid1(VALU_DEP_1)
	v_mul_lo_u32 v1, s5, v10
	s_mov_b32 s6, s20
	s_cmp_lg_u32 s2, 0
	s_mov_b32 s2, -1
	v_lshl_add_u32 v11, v1, 4, 0
	s_cbranch_scc1 .LBB85_30
; %bb.1:
	s_load_b32 s4, s[0:1], 0x44
	s_add_u32 s2, s0, 56
	s_addc_u32 s3, s1, 0
	s_waitcnt lgkmcnt(0)
	s_lshr_b32 s4, s4, 16
	s_delay_alu instid0(SALU_CYCLE_1) | instskip(NEXT) | instid1(SALU_CYCLE_1)
	s_mul_i32 s7, s15, s4
	s_cmp_ge_u32 s7, s20
	s_cbranch_scc1 .LBB85_29
; %bb.2:
	s_load_b32 s14, s[2:3], 0x0
	v_dual_mov_b32 v6, 0 :: v_dual_and_b32 v9, 0x3ff, v0
	s_lshl_b32 s12, 1, s22
	s_cmp_lg_u32 s21, 0
	s_delay_alu instid0(VALU_DEP_1)
	v_lshl_add_u32 v12, v9, 4, v11
	s_cselect_b32 s13, -1, 0
	s_lshl_b32 s3, s5, 4
	v_cmp_eq_u32_e64 s2, 0, v9
	v_add3_u32 v13, v11, s3, -16
	v_lshl_add_u32 v14, s12, 4, v12
	s_add_i32 s23, s22, 1
	s_waitcnt lgkmcnt(0)
	s_mul_i32 s14, s14, s4
	s_branch .LBB85_4
.LBB85_3:                               ;   in Loop: Header=BB85_4 Depth=1
	s_add_i32 s7, s7, s14
	s_delay_alu instid0(SALU_CYCLE_1)
	s_cmp_ge_u32 s7, s20
	s_cbranch_scc1 .LBB85_29
.LBB85_4:                               ; =>This Loop Header: Depth=1
                                        ;     Child Loop BB85_7 Depth 2
                                        ;       Child Loop BB85_18 Depth 3
	s_and_not1_b32 vcc_lo, exec_lo, s13
	s_cbranch_vccnz .LBB85_3
; %bb.5:                                ;   in Loop: Header=BB85_4 Depth=1
	v_add_nc_u32_e32 v7, s7, v10
	v_dual_mov_b32 v1, s8 :: v_dual_mov_b32 v2, s9
	s_mov_b32 s24, 0
	s_delay_alu instid0(VALU_DEP_2) | instskip(SKIP_2) | instid1(VALU_DEP_3)
	v_mul_lo_u32 v5, v7, s21
	v_cmp_gt_u32_e32 vcc_lo, s20, v7
	v_cmp_le_u32_e64 s3, s20, v7
	v_lshlrev_b64 v[3:4], 4, v[5:6]
	s_delay_alu instid0(VALU_DEP_1) | instskip(NEXT) | instid1(VALU_DEP_1)
	v_add_co_u32 v15, s4, s18, v3
	v_add_co_ci_u32_e64 v16, s4, s19, v4, s4
	v_add_co_u32 v17, s4, s16, v3
	s_delay_alu instid0(VALU_DEP_1)
	v_add_co_ci_u32_e64 v18, s4, s17, v4, s4
	v_dual_mov_b32 v3, s10 :: v_dual_mov_b32 v4, s11
	s_branch .LBB85_7
.LBB85_6:                               ;   in Loop: Header=BB85_7 Depth=2
	s_or_b32 exec_lo, exec_lo, s25
	ds_load_b128 v[1:4], v13
	s_add_i32 s24, s24, s5
	s_waitcnt lgkmcnt(0)
	s_waitcnt_vscnt null, 0x0
	s_cmp_ge_u32 s24, s21
	s_barrier
	buffer_gl0_inv
	s_cbranch_scc1 .LBB85_3
.LBB85_7:                               ;   Parent Loop BB85_4 Depth=1
                                        ; =>  This Loop Header: Depth=2
                                        ;       Child Loop BB85_18 Depth 3
	v_add_nc_u32_e32 v5, s24, v9
	s_delay_alu instid0(VALU_DEP_1)
	v_add_nc_u32_e32 v7, s12, v5
	s_and_saveexec_b32 s25, vcc_lo
	s_cbranch_execz .LBB85_16
; %bb.8:                                ;   in Loop: Header=BB85_7 Depth=2
	v_cmp_le_u32_e64 s4, s21, v5
	s_delay_alu instid0(VALU_DEP_1) | instskip(NEXT) | instid1(SALU_CYCLE_1)
	s_and_saveexec_b32 s26, s4
	s_xor_b32 s4, exec_lo, s26
	s_cbranch_execz .LBB85_10
; %bb.9:                                ;   in Loop: Header=BB85_7 Depth=2
	v_dual_mov_b32 v19, s8 :: v_dual_mov_b32 v20, s9
	v_dual_mov_b32 v21, s10 :: v_dual_mov_b32 v22, s11
	ds_store_b128 v12, v[19:22]
.LBB85_10:                              ;   in Loop: Header=BB85_7 Depth=2
	s_and_not1_saveexec_b32 s26, s4
	s_cbranch_execz .LBB85_12
; %bb.11:                               ;   in Loop: Header=BB85_7 Depth=2
	v_lshlrev_b64 v[19:20], 4, v[5:6]
	s_delay_alu instid0(VALU_DEP_1) | instskip(NEXT) | instid1(VALU_DEP_1)
	v_add_co_u32 v19, s4, v15, v19
	v_add_co_ci_u32_e64 v20, s4, v16, v20, s4
	global_load_b128 v[19:22], v[19:20], off
	s_waitcnt vmcnt(0)
	ds_store_b128 v12, v[19:22]
.LBB85_12:                              ;   in Loop: Header=BB85_7 Depth=2
	s_or_b32 exec_lo, exec_lo, s26
	v_cmp_le_u32_e64 s4, s21, v7
	s_delay_alu instid0(VALU_DEP_1) | instskip(NEXT) | instid1(SALU_CYCLE_1)
	s_and_saveexec_b32 s26, s4
	s_xor_b32 s4, exec_lo, s26
	s_cbranch_execnz .LBB85_27
; %bb.13:                               ;   in Loop: Header=BB85_7 Depth=2
	s_and_not1_saveexec_b32 s26, s4
	s_cbranch_execnz .LBB85_28
.LBB85_14:                              ;   in Loop: Header=BB85_7 Depth=2
	s_or_b32 exec_lo, exec_lo, s26
	s_delay_alu instid0(SALU_CYCLE_1)
	s_and_b32 exec_lo, exec_lo, s2
	s_cbranch_execz .LBB85_16
.LBB85_15:                              ;   in Loop: Header=BB85_7 Depth=2
	ds_load_b128 v[19:22], v11
	s_waitcnt lgkmcnt(0)
	v_add_f64 v[1:2], v[1:2], v[19:20]
	v_add_f64 v[3:4], v[3:4], v[21:22]
	ds_store_b128 v11, v[1:4]
.LBB85_16:                              ;   in Loop: Header=BB85_7 Depth=2
	s_or_b32 exec_lo, exec_lo, s25
	v_mov_b32_e32 v2, 0
	s_mov_b32 s25, 0
	s_waitcnt lgkmcnt(0)
	s_barrier
	buffer_gl0_inv
	s_set_inst_prefetch_distance 0x1
	s_branch .LBB85_18
	.p2align	6
.LBB85_17:                              ;   in Loop: Header=BB85_18 Depth=3
	s_or_b32 exec_lo, exec_lo, s4
	s_delay_alu instid0(VALU_DEP_1) | instskip(SKIP_4) | instid1(SALU_CYCLE_1)
	v_cmp_eq_u32_e64 s4, s23, v2
	s_waitcnt lgkmcnt(0)
	s_barrier
	buffer_gl0_inv
	s_or_b32 s25, s4, s25
	s_and_not1_b32 exec_lo, exec_lo, s25
	s_cbranch_execz .LBB85_22
.LBB85_18:                              ;   Parent Loop BB85_4 Depth=1
                                        ;     Parent Loop BB85_7 Depth=2
                                        ; =>    This Inner Loop Header: Depth=3
	v_add_nc_u32_e32 v1, 1, v2
	s_and_saveexec_b32 s4, s3
	s_delay_alu instid0(SALU_CYCLE_1)
	s_xor_b32 s4, exec_lo, s4
; %bb.19:                               ;   in Loop: Header=BB85_18 Depth=3
	v_add_nc_u32_e32 v2, 1, v2
                                        ; implicit-def: $vgpr1
; %bb.20:                               ;   in Loop: Header=BB85_18 Depth=3
	s_and_not1_saveexec_b32 s4, s4
	s_cbranch_execz .LBB85_17
; %bb.21:                               ;   in Loop: Header=BB85_18 Depth=3
	s_delay_alu instid0(VALU_DEP_1) | instskip(SKIP_2) | instid1(VALU_DEP_2)
	v_lshlrev_b32_e64 v3, v2, 1
	v_lshrrev_b32_e32 v4, v2, v9
	v_bfm_b32 v2, v2, 0
	v_lshl_or_b32 v3, v4, v1, v3
	s_delay_alu instid0(VALU_DEP_2) | instskip(NEXT) | instid1(VALU_DEP_2)
	v_and_b32_e32 v2, v2, v9
	v_lshl_add_u32 v3, v3, 4, v11
	s_delay_alu instid0(VALU_DEP_1)
	v_lshl_add_u32 v4, v2, 4, v3
	v_add_nc_u32_e32 v2, -16, v3
	ds_load_b128 v[19:22], v4
	ds_load_b128 v[23:26], v2
	v_mov_b32_e32 v2, v1
	s_waitcnt lgkmcnt(0)
	v_add_f64 v[19:20], v[19:20], v[23:24]
	v_add_f64 v[21:22], v[21:22], v[25:26]
	ds_store_b128 v4, v[19:22]
	s_branch .LBB85_17
.LBB85_22:                              ;   in Loop: Header=BB85_7 Depth=2
	s_set_inst_prefetch_distance 0x2
	s_or_b32 exec_lo, exec_lo, s25
	s_and_saveexec_b32 s25, vcc_lo
	s_cbranch_execz .LBB85_6
; %bb.23:                               ;   in Loop: Header=BB85_7 Depth=2
	s_mov_b32 s26, exec_lo
	v_cmpx_gt_u32_e64 s21, v5
	s_cbranch_execz .LBB85_25
; %bb.24:                               ;   in Loop: Header=BB85_7 Depth=2
	ds_load_b128 v[1:4], v12
	v_lshlrev_b64 v[19:20], 4, v[5:6]
	s_delay_alu instid0(VALU_DEP_1) | instskip(NEXT) | instid1(VALU_DEP_1)
	v_add_co_u32 v19, s4, v17, v19
	v_add_co_ci_u32_e64 v20, s4, v18, v20, s4
	s_waitcnt lgkmcnt(0)
	global_store_b128 v[19:20], v[1:4], off
.LBB85_25:                              ;   in Loop: Header=BB85_7 Depth=2
	s_or_b32 exec_lo, exec_lo, s26
	v_cmp_gt_u32_e64 s4, s21, v7
	s_delay_alu instid0(VALU_DEP_1)
	s_and_b32 exec_lo, exec_lo, s4
	s_cbranch_execz .LBB85_6
; %bb.26:                               ;   in Loop: Header=BB85_7 Depth=2
	ds_load_b128 v[1:4], v14
	v_mov_b32_e32 v8, v6
	s_delay_alu instid0(VALU_DEP_1) | instskip(NEXT) | instid1(VALU_DEP_1)
	v_lshlrev_b64 v[7:8], 4, v[7:8]
	v_add_co_u32 v7, s4, v17, v7
	s_delay_alu instid0(VALU_DEP_1)
	v_add_co_ci_u32_e64 v8, s4, v18, v8, s4
	s_waitcnt lgkmcnt(0)
	global_store_b128 v[7:8], v[1:4], off
	s_branch .LBB85_6
.LBB85_27:                              ;   in Loop: Header=BB85_7 Depth=2
	v_dual_mov_b32 v19, s8 :: v_dual_mov_b32 v20, s9
	v_dual_mov_b32 v21, s10 :: v_dual_mov_b32 v22, s11
	ds_store_b128 v14, v[19:22]
	s_and_not1_saveexec_b32 s26, s4
	s_cbranch_execz .LBB85_14
.LBB85_28:                              ;   in Loop: Header=BB85_7 Depth=2
	v_mov_b32_e32 v8, v6
	s_delay_alu instid0(VALU_DEP_1) | instskip(NEXT) | instid1(VALU_DEP_1)
	v_lshlrev_b64 v[19:20], 4, v[7:8]
	v_add_co_u32 v19, s4, v15, v19
	s_delay_alu instid0(VALU_DEP_1) | instskip(SKIP_4) | instid1(SALU_CYCLE_1)
	v_add_co_ci_u32_e64 v20, s4, v16, v20, s4
	global_load_b128 v[19:22], v[19:20], off
	s_waitcnt vmcnt(0)
	ds_store_b128 v14, v[19:22]
	s_or_b32 exec_lo, exec_lo, s26
	s_and_b32 exec_lo, exec_lo, s2
	s_cbranch_execnz .LBB85_15
	s_branch .LBB85_16
.LBB85_29:
	s_mov_b32 s2, 0
.LBB85_30:
	s_delay_alu instid0(SALU_CYCLE_1)
	s_and_not1_b32 vcc_lo, exec_lo, s2
	s_cbranch_vccnz .LBB85_61
; %bb.31:
	s_load_b32 s2, s[0:1], 0x44
	s_add_u32 s0, s0, 56
	s_addc_u32 s1, s1, 0
	s_mov_b32 s7, 0
	s_waitcnt lgkmcnt(0)
	s_lshr_b32 s2, s2, 16
	s_delay_alu instid0(SALU_CYCLE_1) | instskip(SKIP_1) | instid1(SALU_CYCLE_1)
	s_mul_hi_u32 s5, s2, s15
	s_mul_i32 s4, s2, s15
	v_cmp_ge_u64_e64 s3, s[4:5], s[6:7]
	s_delay_alu instid0(VALU_DEP_1)
	s_and_b32 vcc_lo, exec_lo, s3
	s_cbranch_vccnz .LBB85_61
; %bb.32:
	s_load_b32 s1, s[0:1], 0x0
	v_dual_mov_b32 v5, 0 :: v_dual_and_b32 v4, 0x3ff, v0
	s_lshl_b32 s12, 1, s22
	s_and_b32 s2, 0xffff, s2
	s_ashr_i32 s13, s12, 31
	s_cmp_lg_u32 s21, 0
	v_lshl_add_u32 v12, v4, 4, v11
	s_mov_b32 s14, s21
	s_cselect_b32 s3, -1, 0
	s_lshl_b64 s[20:21], s[12:13], 1
	v_cmp_eq_u32_e64 s0, 0, v4
	s_lshl_b32 s15, s20, 4
	v_lshl_add_u32 v14, s12, 4, v12
	v_add3_u32 v13, v11, s15, -16
	s_mov_b32 s15, s7
	s_add_i32 s25, s22, 1
	s_waitcnt lgkmcnt(0)
	s_mul_i32 s24, s1, s2
	s_branch .LBB85_34
.LBB85_33:                              ;   in Loop: Header=BB85_34 Depth=1
	s_add_u32 s4, s4, s24
	s_addc_u32 s5, s5, 0
	s_delay_alu instid0(SALU_CYCLE_1) | instskip(NEXT) | instid1(VALU_DEP_1)
	v_cmp_ge_u64_e64 s1, s[4:5], s[6:7]
	s_and_b32 vcc_lo, exec_lo, s1
	s_cbranch_vccnz .LBB85_61
.LBB85_34:                              ; =>This Loop Header: Depth=1
                                        ;     Child Loop BB85_37 Depth 2
                                        ;       Child Loop BB85_49 Depth 3
	s_and_not1_b32 vcc_lo, exec_lo, s3
	s_cbranch_vccnz .LBB85_33
; %bb.35:                               ;   in Loop: Header=BB85_34 Depth=1
	v_add_co_u32 v2, s1, s4, v10
	s_delay_alu instid0(VALU_DEP_1) | instskip(SKIP_1) | instid1(VALU_DEP_2)
	v_add_co_ci_u32_e64 v3, null, s5, 0, s1
	s_mov_b64 s[22:23], 0
	v_mad_u64_u32 v[0:1], null, v2, s14, 0
	s_delay_alu instid0(VALU_DEP_2) | instskip(SKIP_1) | instid1(VALU_DEP_3)
	v_cmp_gt_u64_e64 s1, s[6:7], v[2:3]
	v_cmp_le_u64_e64 s2, s[6:7], v[2:3]
	v_mad_u64_u32 v[6:7], null, v3, s14, v[1:2]
	v_dual_mov_b32 v2, s10 :: v_dual_mov_b32 v3, s11
	s_delay_alu instid0(VALU_DEP_2) | instskip(NEXT) | instid1(VALU_DEP_1)
	v_mov_b32_e32 v1, v6
	v_lshlrev_b64 v[6:7], 4, v[0:1]
	v_dual_mov_b32 v0, s8 :: v_dual_mov_b32 v1, s9
	s_delay_alu instid0(VALU_DEP_2) | instskip(NEXT) | instid1(VALU_DEP_3)
	v_add_co_u32 v15, vcc_lo, s18, v6
	v_add_co_ci_u32_e32 v16, vcc_lo, s19, v7, vcc_lo
	v_add_co_u32 v17, vcc_lo, s16, v6
	v_add_co_ci_u32_e32 v18, vcc_lo, s17, v7, vcc_lo
	s_branch .LBB85_37
.LBB85_36:                              ;   in Loop: Header=BB85_37 Depth=2
	s_or_b32 exec_lo, exec_lo, s26
	ds_load_b128 v[0:3], v13
	s_add_u32 s22, s22, s20
	s_addc_u32 s23, s23, s21
	s_waitcnt lgkmcnt(0)
	s_waitcnt_vscnt null, 0x0
	v_cmp_ge_u64_e64 s26, s[22:23], s[14:15]
	s_barrier
	buffer_gl0_inv
	s_and_b32 vcc_lo, exec_lo, s26
	s_cbranch_vccnz .LBB85_33
.LBB85_37:                              ;   Parent Loop BB85_34 Depth=1
                                        ; =>  This Loop Header: Depth=2
                                        ;       Child Loop BB85_49 Depth 3
	v_add_co_u32 v8, s26, s22, v4
	s_delay_alu instid0(VALU_DEP_1) | instskip(NEXT) | instid1(VALU_DEP_2)
	v_add_co_ci_u32_e64 v9, null, s23, 0, s26
	v_add_co_u32 v6, vcc_lo, v8, s12
	s_delay_alu instid0(VALU_DEP_2)
	v_add_co_ci_u32_e32 v7, vcc_lo, s13, v9, vcc_lo
	s_and_saveexec_b32 s26, s1
	s_cbranch_execz .LBB85_46
; %bb.38:                               ;   in Loop: Header=BB85_37 Depth=2
	s_mov_b32 s27, exec_lo
	v_cmpx_le_u64_e64 s[14:15], v[8:9]
	s_xor_b32 s27, exec_lo, s27
	s_cbranch_execz .LBB85_40
; %bb.39:                               ;   in Loop: Header=BB85_37 Depth=2
	v_dual_mov_b32 v19, s8 :: v_dual_mov_b32 v20, s9
	v_dual_mov_b32 v21, s10 :: v_dual_mov_b32 v22, s11
	ds_store_b128 v12, v[19:22]
.LBB85_40:                              ;   in Loop: Header=BB85_37 Depth=2
	s_and_not1_saveexec_b32 s27, s27
	s_cbranch_execz .LBB85_42
; %bb.41:                               ;   in Loop: Header=BB85_37 Depth=2
	v_lshlrev_b64 v[19:20], 4, v[8:9]
	s_delay_alu instid0(VALU_DEP_1) | instskip(NEXT) | instid1(VALU_DEP_2)
	v_add_co_u32 v19, vcc_lo, v15, v19
	v_add_co_ci_u32_e32 v20, vcc_lo, v16, v20, vcc_lo
	global_load_b128 v[19:22], v[19:20], off
	s_waitcnt vmcnt(0)
	ds_store_b128 v12, v[19:22]
.LBB85_42:                              ;   in Loop: Header=BB85_37 Depth=2
	s_or_b32 exec_lo, exec_lo, s27
	s_delay_alu instid0(SALU_CYCLE_1)
	s_mov_b32 s27, exec_lo
	v_cmpx_le_u64_e64 s[14:15], v[6:7]
	s_xor_b32 s27, exec_lo, s27
	s_cbranch_execnz .LBB85_59
; %bb.43:                               ;   in Loop: Header=BB85_37 Depth=2
	s_and_not1_saveexec_b32 s27, s27
	s_cbranch_execnz .LBB85_60
.LBB85_44:                              ;   in Loop: Header=BB85_37 Depth=2
	s_or_b32 exec_lo, exec_lo, s27
	s_delay_alu instid0(SALU_CYCLE_1)
	s_and_b32 exec_lo, exec_lo, s0
	s_cbranch_execz .LBB85_46
.LBB85_45:                              ;   in Loop: Header=BB85_37 Depth=2
	ds_load_b128 v[19:22], v11
	s_waitcnt lgkmcnt(0)
	v_add_f64 v[0:1], v[0:1], v[19:20]
	v_add_f64 v[2:3], v[2:3], v[21:22]
	ds_store_b128 v11, v[0:3]
.LBB85_46:                              ;   in Loop: Header=BB85_37 Depth=2
	s_or_b32 exec_lo, exec_lo, s26
	v_mov_b32_e32 v19, 0
	s_mov_b32 s26, 0
	s_waitcnt lgkmcnt(0)
	s_barrier
	buffer_gl0_inv
	s_branch .LBB85_49
.LBB85_47:                              ;   in Loop: Header=BB85_49 Depth=3
	s_or_b32 exec_lo, exec_lo, s28
	v_lshrrev_b32_e32 v2, v19, v4
	s_delay_alu instid0(VALU_DEP_1) | instskip(NEXT) | instid1(VALU_DEP_1)
	v_lshl_or_b32 v0, v2, v3, v0
	v_lshl_add_u32 v0, v0, 4, v11
	s_delay_alu instid0(VALU_DEP_1)
	v_lshl_add_u32 v1, v1, 4, v0
	v_add_nc_u32_e32 v0, -16, v0
	ds_load_b128 v[19:22], v1
	ds_load_b128 v[23:26], v0
	s_waitcnt lgkmcnt(0)
	v_add_f64 v[19:20], v[19:20], v[23:24]
	v_add_f64 v[21:22], v[21:22], v[25:26]
	ds_store_b128 v1, v[19:22]
.LBB85_48:                              ;   in Loop: Header=BB85_49 Depth=3
	s_or_b32 exec_lo, exec_lo, s27
	s_delay_alu instid0(VALU_DEP_1)
	v_cmp_eq_u32_e32 vcc_lo, s25, v3
	v_mov_b32_e32 v19, v3
	s_waitcnt lgkmcnt(0)
	s_barrier
	buffer_gl0_inv
	s_or_b32 s26, vcc_lo, s26
	s_delay_alu instid0(SALU_CYCLE_1)
	s_and_not1_b32 exec_lo, exec_lo, s26
	s_cbranch_execz .LBB85_54
.LBB85_49:                              ;   Parent Loop BB85_34 Depth=1
                                        ;     Parent Loop BB85_37 Depth=2
                                        ; =>    This Inner Loop Header: Depth=3
	v_add_nc_u32_e32 v3, 1, v19
	s_and_saveexec_b32 s27, s2
	s_delay_alu instid0(SALU_CYCLE_1)
	s_xor_b32 s27, exec_lo, s27
; %bb.50:                               ;   in Loop: Header=BB85_49 Depth=3
	v_add_nc_u32_e32 v3, 1, v19
                                        ; implicit-def: $vgpr19
; %bb.51:                               ;   in Loop: Header=BB85_49 Depth=3
	s_and_not1_saveexec_b32 s27, s27
	s_cbranch_execz .LBB85_48
; %bb.52:                               ;   in Loop: Header=BB85_49 Depth=3
	v_lshlrev_b32_e64 v0, v19, 1
	s_delay_alu instid0(VALU_DEP_1) | instskip(NEXT) | instid1(VALU_DEP_1)
	v_ashrrev_i32_e32 v1, 31, v0
	v_cmp_ge_u64_e32 vcc_lo, v[4:5], v[0:1]
	v_dual_mov_b32 v1, v4 :: v_dual_mov_b32 v2, v5
	s_and_saveexec_b32 s28, vcc_lo
	s_cbranch_execz .LBB85_47
; %bb.53:                               ;   in Loop: Header=BB85_49 Depth=3
	v_cvt_f32_u32_e32 v1, v0
	v_sub_nc_u32_e32 v2, 0, v0
	s_delay_alu instid0(VALU_DEP_2) | instskip(SKIP_2) | instid1(VALU_DEP_1)
	v_rcp_iflag_f32_e32 v1, v1
	s_waitcnt_depctr 0xfff
	v_mul_f32_e32 v1, 0x4f7ffffe, v1
	v_cvt_u32_f32_e32 v1, v1
	s_delay_alu instid0(VALU_DEP_1) | instskip(NEXT) | instid1(VALU_DEP_1)
	v_mul_lo_u32 v2, v2, v1
	v_mul_hi_u32 v2, v1, v2
	s_delay_alu instid0(VALU_DEP_1) | instskip(NEXT) | instid1(VALU_DEP_1)
	v_add_nc_u32_e32 v1, v1, v2
	v_mul_hi_u32 v1, v4, v1
	s_delay_alu instid0(VALU_DEP_1) | instskip(NEXT) | instid1(VALU_DEP_1)
	v_mul_lo_u32 v1, v1, v0
	v_sub_nc_u32_e32 v1, v4, v1
	s_delay_alu instid0(VALU_DEP_1) | instskip(SKIP_1) | instid1(VALU_DEP_2)
	v_sub_nc_u32_e32 v2, v1, v0
	v_cmp_ge_u32_e32 vcc_lo, v1, v0
	v_cndmask_b32_e32 v1, v1, v2, vcc_lo
	s_delay_alu instid0(VALU_DEP_1) | instskip(SKIP_1) | instid1(VALU_DEP_2)
	v_sub_nc_u32_e32 v2, v1, v0
	v_cmp_ge_u32_e32 vcc_lo, v1, v0
	v_cndmask_b32_e32 v1, v1, v2, vcc_lo
	s_branch .LBB85_47
.LBB85_54:                              ;   in Loop: Header=BB85_37 Depth=2
	s_or_b32 exec_lo, exec_lo, s26
	s_and_saveexec_b32 s26, s1
	s_cbranch_execz .LBB85_36
; %bb.55:                               ;   in Loop: Header=BB85_37 Depth=2
	s_mov_b32 s27, exec_lo
	v_cmpx_gt_u64_e64 s[14:15], v[8:9]
	s_cbranch_execz .LBB85_57
; %bb.56:                               ;   in Loop: Header=BB85_37 Depth=2
	ds_load_b128 v[0:3], v12
	v_lshlrev_b64 v[8:9], 4, v[8:9]
	s_delay_alu instid0(VALU_DEP_1) | instskip(NEXT) | instid1(VALU_DEP_2)
	v_add_co_u32 v8, vcc_lo, v17, v8
	v_add_co_ci_u32_e32 v9, vcc_lo, v18, v9, vcc_lo
	s_waitcnt lgkmcnt(0)
	global_store_b128 v[8:9], v[0:3], off
.LBB85_57:                              ;   in Loop: Header=BB85_37 Depth=2
	s_or_b32 exec_lo, exec_lo, s27
	v_cmp_gt_u64_e32 vcc_lo, s[14:15], v[6:7]
	s_and_b32 exec_lo, exec_lo, vcc_lo
	s_cbranch_execz .LBB85_36
; %bb.58:                               ;   in Loop: Header=BB85_37 Depth=2
	ds_load_b128 v[0:3], v14
	v_lshlrev_b64 v[6:7], 4, v[6:7]
	s_delay_alu instid0(VALU_DEP_1) | instskip(NEXT) | instid1(VALU_DEP_2)
	v_add_co_u32 v6, vcc_lo, v17, v6
	v_add_co_ci_u32_e32 v7, vcc_lo, v18, v7, vcc_lo
	s_waitcnt lgkmcnt(0)
	global_store_b128 v[6:7], v[0:3], off
	s_branch .LBB85_36
.LBB85_59:                              ;   in Loop: Header=BB85_37 Depth=2
	v_dual_mov_b32 v19, s8 :: v_dual_mov_b32 v20, s9
	v_dual_mov_b32 v21, s10 :: v_dual_mov_b32 v22, s11
	ds_store_b128 v14, v[19:22]
	s_and_not1_saveexec_b32 s27, s27
	s_cbranch_execz .LBB85_44
.LBB85_60:                              ;   in Loop: Header=BB85_37 Depth=2
	v_lshlrev_b64 v[19:20], 4, v[6:7]
	s_delay_alu instid0(VALU_DEP_1) | instskip(NEXT) | instid1(VALU_DEP_2)
	v_add_co_u32 v19, vcc_lo, v15, v19
	v_add_co_ci_u32_e32 v20, vcc_lo, v16, v20, vcc_lo
	global_load_b128 v[19:22], v[19:20], off
	s_waitcnt vmcnt(0)
	ds_store_b128 v14, v[19:22]
	s_or_b32 exec_lo, exec_lo, s27
	s_delay_alu instid0(SALU_CYCLE_1)
	s_and_b32 exec_lo, exec_lo, s0
	s_cbranch_execnz .LBB85_45
	s_branch .LBB85_46
.LBB85_61:
	s_endpgm
	.section	.rodata,"a",@progbits
	.p2align	6, 0x0
	.amdhsa_kernel _ZN2at6native32tensor_kernel_scan_innermost_dimIN3c107complexIdEESt4plusIS4_EEEvPT_PKS7_jjjS7_T0_
		.amdhsa_group_segment_fixed_size 0
		.amdhsa_private_segment_fixed_size 0
		.amdhsa_kernarg_size 312
		.amdhsa_user_sgpr_count 15
		.amdhsa_user_sgpr_dispatch_ptr 0
		.amdhsa_user_sgpr_queue_ptr 0
		.amdhsa_user_sgpr_kernarg_segment_ptr 1
		.amdhsa_user_sgpr_dispatch_id 0
		.amdhsa_user_sgpr_private_segment_size 0
		.amdhsa_wavefront_size32 1
		.amdhsa_uses_dynamic_stack 0
		.amdhsa_enable_private_segment 0
		.amdhsa_system_sgpr_workgroup_id_x 1
		.amdhsa_system_sgpr_workgroup_id_y 0
		.amdhsa_system_sgpr_workgroup_id_z 0
		.amdhsa_system_sgpr_workgroup_info 0
		.amdhsa_system_vgpr_workitem_id 1
		.amdhsa_next_free_vgpr 27
		.amdhsa_next_free_sgpr 29
		.amdhsa_reserve_vcc 1
		.amdhsa_float_round_mode_32 0
		.amdhsa_float_round_mode_16_64 0
		.amdhsa_float_denorm_mode_32 3
		.amdhsa_float_denorm_mode_16_64 3
		.amdhsa_dx10_clamp 1
		.amdhsa_ieee_mode 1
		.amdhsa_fp16_overflow 0
		.amdhsa_workgroup_processor_mode 1
		.amdhsa_memory_ordered 1
		.amdhsa_forward_progress 0
		.amdhsa_shared_vgpr_count 0
		.amdhsa_exception_fp_ieee_invalid_op 0
		.amdhsa_exception_fp_denorm_src 0
		.amdhsa_exception_fp_ieee_div_zero 0
		.amdhsa_exception_fp_ieee_overflow 0
		.amdhsa_exception_fp_ieee_underflow 0
		.amdhsa_exception_fp_ieee_inexact 0
		.amdhsa_exception_int_div_zero 0
	.end_amdhsa_kernel
	.section	.text._ZN2at6native32tensor_kernel_scan_innermost_dimIN3c107complexIdEESt4plusIS4_EEEvPT_PKS7_jjjS7_T0_,"axG",@progbits,_ZN2at6native32tensor_kernel_scan_innermost_dimIN3c107complexIdEESt4plusIS4_EEEvPT_PKS7_jjjS7_T0_,comdat
.Lfunc_end85:
	.size	_ZN2at6native32tensor_kernel_scan_innermost_dimIN3c107complexIdEESt4plusIS4_EEEvPT_PKS7_jjjS7_T0_, .Lfunc_end85-_ZN2at6native32tensor_kernel_scan_innermost_dimIN3c107complexIdEESt4plusIS4_EEEvPT_PKS7_jjjS7_T0_
                                        ; -- End function
	.section	.AMDGPU.csdata,"",@progbits
; Kernel info:
; codeLenInByte = 2292
; NumSgprs: 31
; NumVgprs: 27
; ScratchSize: 0
; MemoryBound: 0
; FloatMode: 240
; IeeeMode: 1
; LDSByteSize: 0 bytes/workgroup (compile time only)
; SGPRBlocks: 3
; VGPRBlocks: 3
; NumSGPRsForWavesPerEU: 31
; NumVGPRsForWavesPerEU: 27
; Occupancy: 16
; WaveLimiterHint : 0
; COMPUTE_PGM_RSRC2:SCRATCH_EN: 0
; COMPUTE_PGM_RSRC2:USER_SGPR: 15
; COMPUTE_PGM_RSRC2:TRAP_HANDLER: 0
; COMPUTE_PGM_RSRC2:TGID_X_EN: 1
; COMPUTE_PGM_RSRC2:TGID_Y_EN: 0
; COMPUTE_PGM_RSRC2:TGID_Z_EN: 0
; COMPUTE_PGM_RSRC2:TIDIG_COMP_CNT: 1
	.section	.text._ZN2at6native28tensor_kernel_scan_outer_dimIN3c107complexIdEEjSt4plusIS4_EEEvPT_PKS7_jjjS7_T1_,"axG",@progbits,_ZN2at6native28tensor_kernel_scan_outer_dimIN3c107complexIdEEjSt4plusIS4_EEEvPT_PKS7_jjjS7_T1_,comdat
	.protected	_ZN2at6native28tensor_kernel_scan_outer_dimIN3c107complexIdEEjSt4plusIS4_EEEvPT_PKS7_jjjS7_T1_ ; -- Begin function _ZN2at6native28tensor_kernel_scan_outer_dimIN3c107complexIdEEjSt4plusIS4_EEEvPT_PKS7_jjjS7_T1_
	.globl	_ZN2at6native28tensor_kernel_scan_outer_dimIN3c107complexIdEEjSt4plusIS4_EEEvPT_PKS7_jjjS7_T1_
	.p2align	8
	.type	_ZN2at6native28tensor_kernel_scan_outer_dimIN3c107complexIdEEjSt4plusIS4_EEEvPT_PKS7_jjjS7_T1_,@function
_ZN2at6native28tensor_kernel_scan_outer_dimIN3c107complexIdEEjSt4plusIS4_EEEvPT_PKS7_jjjS7_T1_: ; @_ZN2at6native28tensor_kernel_scan_outer_dimIN3c107complexIdEEjSt4plusIS4_EEEvPT_PKS7_jjjS7_T1_
; %bb.0:
	s_load_b128 s[4:7], s[0:1], 0x10
	s_waitcnt lgkmcnt(0)
	s_cmp_ge_u32 s14, s4
	s_cbranch_scc1 .LBB86_9
; %bb.1:
	s_clause 0x3
	s_load_b32 s12, s[0:1], 0x44
	s_load_b32 s7, s[0:1], 0x38
	s_load_b128 s[8:11], s[0:1], 0x0
	s_load_b128 s[16:19], s[0:1], 0x20
	s_add_u32 s2, s0, 56
	s_addc_u32 s3, s1, 0
	s_mul_i32 s0, s14, s6
	v_mov_b32_e32 v6, 0
	s_mul_i32 s22, s0, s5
	s_mov_b32 s13, 0
	s_waitcnt lgkmcnt(0)
	s_and_b32 s1, s12, 0xffff
	s_mov_b32 s12, s5
	v_mad_u64_u32 v[4:5], null, s15, s1, v[0:1]
	s_cmp_lg_u32 s6, 0
	s_mul_i32 s24, s7, s6
	s_cselect_b32 s15, -1, 0
	s_mul_i32 s24, s24, s5
	s_lshl_b64 s[20:21], s[12:13], 4
	s_mov_b32 s12, s22
	s_delay_alu instid0(VALU_DEP_1)
	v_cmp_gt_u32_e64 s0, s5, v4
	s_branch .LBB86_3
.LBB86_2:                               ;   in Loop: Header=BB86_3 Depth=1
	s_set_inst_prefetch_distance 0x2
	s_or_b32 exec_lo, exec_lo, s25
	s_add_i32 s14, s7, s14
	s_add_i32 s12, s12, s24
	s_cmp_ge_u32 s14, s4
	s_cbranch_scc1 .LBB86_9
.LBB86_3:                               ; =>This Loop Header: Depth=1
                                        ;     Child Loop BB86_6 Depth 2
                                        ;       Child Loop BB86_8 Depth 3
	s_delay_alu instid0(VALU_DEP_1)
	s_and_saveexec_b32 s25, s0
	s_cbranch_execz .LBB86_2
; %bb.4:                                ;   in Loop: Header=BB86_3 Depth=1
	s_load_b32 s26, s[2:3], 0x4
	v_mov_b32_e32 v5, v4
	s_lshl_b64 s[22:23], s[12:13], 4
	s_mov_b32 s27, 0
	s_or_b32 s22, s22, 8
	s_waitcnt lgkmcnt(0)
	s_mul_i32 s26, s26, s1
	s_set_inst_prefetch_distance 0x1
	s_branch .LBB86_6
	.p2align	6
.LBB86_5:                               ;   in Loop: Header=BB86_6 Depth=2
	v_add_nc_u32_e32 v5, s26, v5
	s_delay_alu instid0(VALU_DEP_1) | instskip(SKIP_1) | instid1(SALU_CYCLE_1)
	v_cmp_le_u32_e32 vcc_lo, s5, v5
	s_or_b32 s27, vcc_lo, s27
	s_and_not1_b32 exec_lo, exec_lo, s27
	s_cbranch_execz .LBB86_2
.LBB86_6:                               ;   Parent Loop BB86_3 Depth=1
                                        ; =>  This Loop Header: Depth=2
                                        ;       Child Loop BB86_8 Depth 3
	s_and_not1_b32 vcc_lo, exec_lo, s15
	s_cbranch_vccnz .LBB86_5
; %bb.7:                                ;   in Loop: Header=BB86_6 Depth=2
	v_lshlrev_b64 v[0:1], 4, v[5:6]
	v_dual_mov_b32 v2, s18 :: v_dual_mov_b32 v3, s19
	s_mov_b32 s28, s6
	s_delay_alu instid0(VALU_DEP_2) | instskip(NEXT) | instid1(VALU_DEP_3)
	v_add_co_u32 v7, vcc_lo, s22, v0
	v_add_co_ci_u32_e32 v8, vcc_lo, s23, v1, vcc_lo
	v_dual_mov_b32 v0, s16 :: v_dual_mov_b32 v1, s17
	.p2align	6
.LBB86_8:                               ;   Parent Loop BB86_3 Depth=1
                                        ;     Parent Loop BB86_6 Depth=2
                                        ; =>    This Inner Loop Header: Depth=3
	s_delay_alu instid0(VALU_DEP_3) | instskip(NEXT) | instid1(VALU_DEP_3)
	v_add_co_u32 v9, vcc_lo, s10, v7
	v_add_co_ci_u32_e32 v10, vcc_lo, s11, v8, vcc_lo
	s_add_i32 s28, s28, -1
	s_delay_alu instid0(SALU_CYCLE_1)
	s_cmp_eq_u32 s28, 0
	global_load_b128 v[9:12], v[9:10], off offset:-8
	s_waitcnt vmcnt(0)
	v_add_f64 v[0:1], v[0:1], v[9:10]
	v_add_f64 v[2:3], v[2:3], v[11:12]
	v_add_co_u32 v9, vcc_lo, s8, v7
	v_add_co_ci_u32_e32 v10, vcc_lo, s9, v8, vcc_lo
	v_add_co_u32 v7, vcc_lo, v7, s20
	v_add_co_ci_u32_e32 v8, vcc_lo, s21, v8, vcc_lo
	global_store_b128 v[9:10], v[0:3], off offset:-8
	s_cbranch_scc0 .LBB86_8
	s_branch .LBB86_5
.LBB86_9:
	s_nop 0
	s_sendmsg sendmsg(MSG_DEALLOC_VGPRS)
	s_endpgm
	.section	.rodata,"a",@progbits
	.p2align	6, 0x0
	.amdhsa_kernel _ZN2at6native28tensor_kernel_scan_outer_dimIN3c107complexIdEEjSt4plusIS4_EEEvPT_PKS7_jjjS7_T1_
		.amdhsa_group_segment_fixed_size 0
		.amdhsa_private_segment_fixed_size 0
		.amdhsa_kernarg_size 312
		.amdhsa_user_sgpr_count 14
		.amdhsa_user_sgpr_dispatch_ptr 0
		.amdhsa_user_sgpr_queue_ptr 0
		.amdhsa_user_sgpr_kernarg_segment_ptr 1
		.amdhsa_user_sgpr_dispatch_id 0
		.amdhsa_user_sgpr_private_segment_size 0
		.amdhsa_wavefront_size32 1
		.amdhsa_uses_dynamic_stack 0
		.amdhsa_enable_private_segment 0
		.amdhsa_system_sgpr_workgroup_id_x 1
		.amdhsa_system_sgpr_workgroup_id_y 1
		.amdhsa_system_sgpr_workgroup_id_z 0
		.amdhsa_system_sgpr_workgroup_info 0
		.amdhsa_system_vgpr_workitem_id 0
		.amdhsa_next_free_vgpr 13
		.amdhsa_next_free_sgpr 29
		.amdhsa_reserve_vcc 1
		.amdhsa_float_round_mode_32 0
		.amdhsa_float_round_mode_16_64 0
		.amdhsa_float_denorm_mode_32 3
		.amdhsa_float_denorm_mode_16_64 3
		.amdhsa_dx10_clamp 1
		.amdhsa_ieee_mode 1
		.amdhsa_fp16_overflow 0
		.amdhsa_workgroup_processor_mode 1
		.amdhsa_memory_ordered 1
		.amdhsa_forward_progress 0
		.amdhsa_shared_vgpr_count 0
		.amdhsa_exception_fp_ieee_invalid_op 0
		.amdhsa_exception_fp_denorm_src 0
		.amdhsa_exception_fp_ieee_div_zero 0
		.amdhsa_exception_fp_ieee_overflow 0
		.amdhsa_exception_fp_ieee_underflow 0
		.amdhsa_exception_fp_ieee_inexact 0
		.amdhsa_exception_int_div_zero 0
	.end_amdhsa_kernel
	.section	.text._ZN2at6native28tensor_kernel_scan_outer_dimIN3c107complexIdEEjSt4plusIS4_EEEvPT_PKS7_jjjS7_T1_,"axG",@progbits,_ZN2at6native28tensor_kernel_scan_outer_dimIN3c107complexIdEEjSt4plusIS4_EEEvPT_PKS7_jjjS7_T1_,comdat
.Lfunc_end86:
	.size	_ZN2at6native28tensor_kernel_scan_outer_dimIN3c107complexIdEEjSt4plusIS4_EEEvPT_PKS7_jjjS7_T1_, .Lfunc_end86-_ZN2at6native28tensor_kernel_scan_outer_dimIN3c107complexIdEEjSt4plusIS4_EEEvPT_PKS7_jjjS7_T1_
                                        ; -- End function
	.section	.AMDGPU.csdata,"",@progbits
; Kernel info:
; codeLenInByte = 404
; NumSgprs: 31
; NumVgprs: 13
; ScratchSize: 0
; MemoryBound: 0
; FloatMode: 240
; IeeeMode: 1
; LDSByteSize: 0 bytes/workgroup (compile time only)
; SGPRBlocks: 3
; VGPRBlocks: 1
; NumSGPRsForWavesPerEU: 31
; NumVGPRsForWavesPerEU: 13
; Occupancy: 16
; WaveLimiterHint : 0
; COMPUTE_PGM_RSRC2:SCRATCH_EN: 0
; COMPUTE_PGM_RSRC2:USER_SGPR: 14
; COMPUTE_PGM_RSRC2:TRAP_HANDLER: 0
; COMPUTE_PGM_RSRC2:TGID_X_EN: 1
; COMPUTE_PGM_RSRC2:TGID_Y_EN: 1
; COMPUTE_PGM_RSRC2:TGID_Z_EN: 0
; COMPUTE_PGM_RSRC2:TIDIG_COMP_CNT: 0
	.section	.text._ZN2at6native28tensor_kernel_scan_outer_dimIN3c107complexIdEEmSt4plusIS4_EEEvPT_PKS7_jjjS7_T1_,"axG",@progbits,_ZN2at6native28tensor_kernel_scan_outer_dimIN3c107complexIdEEmSt4plusIS4_EEEvPT_PKS7_jjjS7_T1_,comdat
	.protected	_ZN2at6native28tensor_kernel_scan_outer_dimIN3c107complexIdEEmSt4plusIS4_EEEvPT_PKS7_jjjS7_T1_ ; -- Begin function _ZN2at6native28tensor_kernel_scan_outer_dimIN3c107complexIdEEmSt4plusIS4_EEEvPT_PKS7_jjjS7_T1_
	.globl	_ZN2at6native28tensor_kernel_scan_outer_dimIN3c107complexIdEEmSt4plusIS4_EEEvPT_PKS7_jjjS7_T1_
	.p2align	8
	.type	_ZN2at6native28tensor_kernel_scan_outer_dimIN3c107complexIdEEmSt4plusIS4_EEEvPT_PKS7_jjjS7_T1_,@function
_ZN2at6native28tensor_kernel_scan_outer_dimIN3c107complexIdEEmSt4plusIS4_EEEvPT_PKS7_jjjS7_T1_: ; @_ZN2at6native28tensor_kernel_scan_outer_dimIN3c107complexIdEEmSt4plusIS4_EEEvPT_PKS7_jjjS7_T1_
; %bb.0:
	s_load_b128 s[4:7], s[0:1], 0x10
	s_waitcnt lgkmcnt(0)
	s_cmp_ge_u32 s14, s4
	s_cbranch_scc1 .LBB87_9
; %bb.1:
	s_clause 0x3
	s_load_b32 s12, s[0:1], 0x44
	s_load_b32 s7, s[0:1], 0x38
	s_load_b128 s[8:11], s[0:1], 0x0
	s_load_b128 s[16:19], s[0:1], 0x20
	s_add_u32 s2, s0, 56
	s_addc_u32 s3, s1, 0
	v_mov_b32_e32 v6, 0
	s_mov_b32 s21, 0
	s_mul_hi_u32 s13, s6, s5
	s_mov_b32 s20, s5
	s_waitcnt lgkmcnt(0)
	s_and_b32 s1, s12, 0xffff
	s_cmp_lg_u32 s6, 0
	v_mad_u64_u32 v[4:5], null, s15, s1, v[0:1]
	s_mul_i32 s12, s6, s5
	s_cselect_b32 s15, -1, 0
	s_lshl_b64 s[12:13], s[12:13], 4
	s_lshl_b64 s[20:21], s[20:21], 4
	s_delay_alu instid0(VALU_DEP_1)
	v_cmp_gt_u32_e64 s0, s5, v4
	s_branch .LBB87_3
.LBB87_2:                               ;   in Loop: Header=BB87_3 Depth=1
	s_set_inst_prefetch_distance 0x2
	s_or_b32 exec_lo, exec_lo, s22
	s_add_i32 s14, s14, s7
	s_delay_alu instid0(SALU_CYCLE_1)
	s_cmp_ge_u32 s14, s4
	s_cbranch_scc1 .LBB87_9
.LBB87_3:                               ; =>This Loop Header: Depth=1
                                        ;     Child Loop BB87_6 Depth 2
                                        ;       Child Loop BB87_8 Depth 3
	s_delay_alu instid0(VALU_DEP_1)
	s_and_saveexec_b32 s22, s0
	s_cbranch_execz .LBB87_2
; %bb.4:                                ;   in Loop: Header=BB87_3 Depth=1
	s_load_b32 s25, s[2:3], 0x4
	s_mul_i32 s23, s13, s14
	s_mul_hi_u32 s24, s12, s14
	s_mul_i32 s26, s12, s14
	v_mov_b32_e32 v5, v4
	s_add_i32 s24, s24, s23
	s_add_u32 s23, s26, 8
	s_addc_u32 s24, s24, 0
	s_mov_b32 s26, 0
	s_waitcnt lgkmcnt(0)
	s_mul_i32 s25, s25, s1
	s_set_inst_prefetch_distance 0x1
	s_branch .LBB87_6
	.p2align	6
.LBB87_5:                               ;   in Loop: Header=BB87_6 Depth=2
	v_add_nc_u32_e32 v5, s25, v5
	s_delay_alu instid0(VALU_DEP_1) | instskip(SKIP_1) | instid1(SALU_CYCLE_1)
	v_cmp_le_u32_e32 vcc_lo, s5, v5
	s_or_b32 s26, vcc_lo, s26
	s_and_not1_b32 exec_lo, exec_lo, s26
	s_cbranch_execz .LBB87_2
.LBB87_6:                               ;   Parent Loop BB87_3 Depth=1
                                        ; =>  This Loop Header: Depth=2
                                        ;       Child Loop BB87_8 Depth 3
	s_and_not1_b32 vcc_lo, exec_lo, s15
	s_cbranch_vccnz .LBB87_5
; %bb.7:                                ;   in Loop: Header=BB87_6 Depth=2
	v_lshlrev_b64 v[0:1], 4, v[5:6]
	v_dual_mov_b32 v2, s18 :: v_dual_mov_b32 v3, s19
	s_mov_b32 s27, s6
	s_delay_alu instid0(VALU_DEP_2) | instskip(NEXT) | instid1(VALU_DEP_3)
	v_add_co_u32 v7, vcc_lo, s23, v0
	v_add_co_ci_u32_e32 v8, vcc_lo, s24, v1, vcc_lo
	v_dual_mov_b32 v0, s16 :: v_dual_mov_b32 v1, s17
	.p2align	6
.LBB87_8:                               ;   Parent Loop BB87_3 Depth=1
                                        ;     Parent Loop BB87_6 Depth=2
                                        ; =>    This Inner Loop Header: Depth=3
	s_delay_alu instid0(VALU_DEP_3) | instskip(NEXT) | instid1(VALU_DEP_3)
	v_add_co_u32 v9, vcc_lo, s10, v7
	v_add_co_ci_u32_e32 v10, vcc_lo, s11, v8, vcc_lo
	s_add_i32 s27, s27, -1
	s_delay_alu instid0(SALU_CYCLE_1)
	s_cmp_eq_u32 s27, 0
	global_load_b128 v[9:12], v[9:10], off offset:-8
	s_waitcnt vmcnt(0)
	v_add_f64 v[0:1], v[0:1], v[9:10]
	v_add_f64 v[2:3], v[2:3], v[11:12]
	v_add_co_u32 v9, vcc_lo, s8, v7
	v_add_co_ci_u32_e32 v10, vcc_lo, s9, v8, vcc_lo
	v_add_co_u32 v7, vcc_lo, v7, s20
	v_add_co_ci_u32_e32 v8, vcc_lo, s21, v8, vcc_lo
	global_store_b128 v[9:10], v[0:3], off offset:-8
	s_cbranch_scc0 .LBB87_8
	s_branch .LBB87_5
.LBB87_9:
	s_nop 0
	s_sendmsg sendmsg(MSG_DEALLOC_VGPRS)
	s_endpgm
	.section	.rodata,"a",@progbits
	.p2align	6, 0x0
	.amdhsa_kernel _ZN2at6native28tensor_kernel_scan_outer_dimIN3c107complexIdEEmSt4plusIS4_EEEvPT_PKS7_jjjS7_T1_
		.amdhsa_group_segment_fixed_size 0
		.amdhsa_private_segment_fixed_size 0
		.amdhsa_kernarg_size 312
		.amdhsa_user_sgpr_count 14
		.amdhsa_user_sgpr_dispatch_ptr 0
		.amdhsa_user_sgpr_queue_ptr 0
		.amdhsa_user_sgpr_kernarg_segment_ptr 1
		.amdhsa_user_sgpr_dispatch_id 0
		.amdhsa_user_sgpr_private_segment_size 0
		.amdhsa_wavefront_size32 1
		.amdhsa_uses_dynamic_stack 0
		.amdhsa_enable_private_segment 0
		.amdhsa_system_sgpr_workgroup_id_x 1
		.amdhsa_system_sgpr_workgroup_id_y 1
		.amdhsa_system_sgpr_workgroup_id_z 0
		.amdhsa_system_sgpr_workgroup_info 0
		.amdhsa_system_vgpr_workitem_id 0
		.amdhsa_next_free_vgpr 13
		.amdhsa_next_free_sgpr 28
		.amdhsa_reserve_vcc 1
		.amdhsa_float_round_mode_32 0
		.amdhsa_float_round_mode_16_64 0
		.amdhsa_float_denorm_mode_32 3
		.amdhsa_float_denorm_mode_16_64 3
		.amdhsa_dx10_clamp 1
		.amdhsa_ieee_mode 1
		.amdhsa_fp16_overflow 0
		.amdhsa_workgroup_processor_mode 1
		.amdhsa_memory_ordered 1
		.amdhsa_forward_progress 0
		.amdhsa_shared_vgpr_count 0
		.amdhsa_exception_fp_ieee_invalid_op 0
		.amdhsa_exception_fp_denorm_src 0
		.amdhsa_exception_fp_ieee_div_zero 0
		.amdhsa_exception_fp_ieee_overflow 0
		.amdhsa_exception_fp_ieee_underflow 0
		.amdhsa_exception_fp_ieee_inexact 0
		.amdhsa_exception_int_div_zero 0
	.end_amdhsa_kernel
	.section	.text._ZN2at6native28tensor_kernel_scan_outer_dimIN3c107complexIdEEmSt4plusIS4_EEEvPT_PKS7_jjjS7_T1_,"axG",@progbits,_ZN2at6native28tensor_kernel_scan_outer_dimIN3c107complexIdEEmSt4plusIS4_EEEvPT_PKS7_jjjS7_T1_,comdat
.Lfunc_end87:
	.size	_ZN2at6native28tensor_kernel_scan_outer_dimIN3c107complexIdEEmSt4plusIS4_EEEvPT_PKS7_jjjS7_T1_, .Lfunc_end87-_ZN2at6native28tensor_kernel_scan_outer_dimIN3c107complexIdEEmSt4plusIS4_EEEvPT_PKS7_jjjS7_T1_
                                        ; -- End function
	.section	.AMDGPU.csdata,"",@progbits
; Kernel info:
; codeLenInByte = 412
; NumSgprs: 30
; NumVgprs: 13
; ScratchSize: 0
; MemoryBound: 0
; FloatMode: 240
; IeeeMode: 1
; LDSByteSize: 0 bytes/workgroup (compile time only)
; SGPRBlocks: 3
; VGPRBlocks: 1
; NumSGPRsForWavesPerEU: 30
; NumVGPRsForWavesPerEU: 13
; Occupancy: 16
; WaveLimiterHint : 0
; COMPUTE_PGM_RSRC2:SCRATCH_EN: 0
; COMPUTE_PGM_RSRC2:USER_SGPR: 14
; COMPUTE_PGM_RSRC2:TRAP_HANDLER: 0
; COMPUTE_PGM_RSRC2:TGID_X_EN: 1
; COMPUTE_PGM_RSRC2:TGID_Y_EN: 1
; COMPUTE_PGM_RSRC2:TGID_Z_EN: 0
; COMPUTE_PGM_RSRC2:TIDIG_COMP_CNT: 0
	.section	.text._ZN2at4cuda3cub15calc_block_sumsILi256ELi16ELb0EN3c107complexIfEES5_EEvPKT2_PT3_li,"axG",@progbits,_ZN2at4cuda3cub15calc_block_sumsILi256ELi16ELb0EN3c107complexIfEES5_EEvPKT2_PT3_li,comdat
	.protected	_ZN2at4cuda3cub15calc_block_sumsILi256ELi16ELb0EN3c107complexIfEES5_EEvPKT2_PT3_li ; -- Begin function _ZN2at4cuda3cub15calc_block_sumsILi256ELi16ELb0EN3c107complexIfEES5_EEvPKT2_PT3_li
	.globl	_ZN2at4cuda3cub15calc_block_sumsILi256ELi16ELb0EN3c107complexIfEES5_EEvPKT2_PT3_li
	.p2align	8
	.type	_ZN2at4cuda3cub15calc_block_sumsILi256ELi16ELb0EN3c107complexIfEES5_EEvPKT2_PT3_li,@function
_ZN2at4cuda3cub15calc_block_sumsILi256ELi16ELb0EN3c107complexIfEES5_EEvPKT2_PT3_li: ; @_ZN2at4cuda3cub15calc_block_sumsILi256ELi16ELb0EN3c107complexIfEES5_EEvPKT2_PT3_li
; %bb.0:
	s_clause 0x1
	s_load_b32 s12, s[0:1], 0x18
	s_load_b64 s[4:5], s[0:1], 0x10
	s_waitcnt lgkmcnt(0)
	s_lshl_b32 s3, s12, 12
	s_delay_alu instid0(SALU_CYCLE_1)
	s_ashr_i32 s6, s3, 31
	s_mul_hi_u32 s7, s3, s15
	s_mul_i32 s6, s6, s15
	s_mul_i32 s10, s3, s15
	s_add_i32 s11, s7, s6
	s_sub_u32 s8, s4, s10
	s_subb_u32 s9, s5, s11
	s_delay_alu instid0(SALU_CYCLE_1) | instskip(NEXT) | instid1(VALU_DEP_1)
	v_cmp_lt_i64_e64 s3, s[8:9], 1
	s_and_b32 vcc_lo, exec_lo, s3
	s_cbranch_vccnz .LBB88_56
; %bb.1:
	s_load_b128 s[4:7], s[0:1], 0x0
	s_mov_b32 s2, s15
	s_mov_b32 s3, 0
	s_cmp_gt_i32 s12, 0
	s_mov_b32 s1, 0
	s_cbranch_scc1 .LBB88_3
; %bb.2:
	s_mov_b32 s0, -1
	s_mov_b32 s13, 0
	s_delay_alu instid0(SALU_CYCLE_1)
	v_dual_mov_b32 v2, s13 :: v_dual_mov_b32 v1, s13
	s_and_not1_b32 vcc_lo, exec_lo, s1
	s_cbranch_vccz .LBB88_4
	s_branch .LBB88_53
.LBB88_3:
	s_mov_b32 s0, 0
                                        ; implicit-def: $sgpr13
	v_dual_mov_b32 v2, s13 :: v_dual_mov_b32 v1, s13
.LBB88_4:
	v_lshrrev_b32_e32 v1, 2, v0
	s_lshl_b64 s[10:11], s[10:11], 3
	v_dual_mov_b32 v2, 0 :: v_dual_add_nc_u32 v37, 0x100, v0
	s_waitcnt lgkmcnt(0)
	s_add_u32 s1, s4, s10
	v_and_b32_e32 v52, 0xf8, v1
	v_lshlrev_b32_e32 v1, 3, v0
	s_addc_u32 s4, s5, s11
	v_dual_mov_b32 v53, 0 :: v_dual_add_nc_u32 v38, 0x200, v0
	v_add_nc_u32_e32 v39, 0x300, v0
	s_delay_alu instid0(VALU_DEP_3)
	v_add_co_u32 v3, s1, s1, v1
	v_or_b32_e32 v40, 0x400, v0
	v_add_nc_u32_e32 v41, 0x500, v0
	v_dual_mov_b32 v1, 0 :: v_dual_add_nc_u32 v42, 0x600, v0
	v_add_nc_u32_e32 v43, 0x700, v0
	v_or_b32_e32 v44, 0x800, v0
	v_add_nc_u32_e32 v45, 0x900, v0
	v_add_nc_u32_e32 v46, 0xa00, v0
	v_add_nc_u32_e32 v47, 0xb00, v0
	v_or_b32_e32 v48, 0xc00, v0
	v_add_nc_u32_e32 v49, 0xd00, v0
	v_add_nc_u32_e32 v50, 0xe00, v0
	;; [unrolled: 1-line block ×3, first 2 shown]
	v_cmp_gt_u32_e64 s0, 32, v0
	v_add_co_ci_u32_e64 v4, null, s4, 0, s1
	v_mbcnt_lo_u32_b32 v54, -1, 0
	s_branch .LBB88_6
.LBB88_5:                               ;   in Loop: Header=BB88_6 Depth=1
	s_add_u32 s8, s8, 0xfffff000
	v_add_co_u32 v3, vcc_lo, 0x8000, v3
	s_addc_u32 s9, s9, -1
	s_add_i32 s12, s12, -1
	v_dual_add_f32 v2, v2, v6 :: v_dual_add_f32 v1, v1, v5
	v_add_co_ci_u32_e32 v4, vcc_lo, 0, v4, vcc_lo
	s_cmp_eq_u32 s12, 0
	s_mov_b32 s1, 0
	s_cselect_b32 s4, -1, 0
	s_barrier
	buffer_gl0_inv
	s_and_not1_b32 vcc_lo, exec_lo, s4
	s_cbranch_vccz .LBB88_52
.LBB88_6:                               ; =>This Inner Loop Header: Depth=1
	v_cmp_gt_i64_e64 s1, 0x1000, s[8:9]
	s_delay_alu instid0(VALU_DEP_1)
	s_and_b32 vcc_lo, exec_lo, s1
	s_cbranch_vccz .LBB88_44
; %bb.7:                                ;   in Loop: Header=BB88_6 Depth=1
	v_dual_mov_b32 v6, 0 :: v_dual_mov_b32 v7, 0
	v_mov_b32_e32 v8, 0
	s_mov_b32 s1, exec_lo
	v_cmpx_gt_u32_e64 s8, v0
	s_cbranch_execz .LBB88_9
; %bb.8:                                ;   in Loop: Header=BB88_6 Depth=1
	global_load_b64 v[7:8], v[3:4], off
.LBB88_9:                               ;   in Loop: Header=BB88_6 Depth=1
	s_or_b32 exec_lo, exec_lo, s1
	v_mov_b32_e32 v5, 0
	s_mov_b32 s1, exec_lo
	v_cmpx_gt_u32_e64 s8, v37
	s_cbranch_execz .LBB88_11
; %bb.10:                               ;   in Loop: Header=BB88_6 Depth=1
	global_load_b64 v[5:6], v[3:4], off offset:2048
.LBB88_11:                              ;   in Loop: Header=BB88_6 Depth=1
	s_or_b32 exec_lo, exec_lo, s1
	v_dual_mov_b32 v10, 0 :: v_dual_mov_b32 v11, 0
	v_mov_b32_e32 v12, 0
	s_mov_b32 s1, exec_lo
	v_cmpx_gt_u32_e64 s8, v38
	s_cbranch_execz .LBB88_13
; %bb.12:                               ;   in Loop: Header=BB88_6 Depth=1
	v_add_co_u32 v11, vcc_lo, 0x1000, v3
	v_add_co_ci_u32_e32 v12, vcc_lo, 0, v4, vcc_lo
	global_load_b64 v[11:12], v[11:12], off
.LBB88_13:                              ;   in Loop: Header=BB88_6 Depth=1
	s_or_b32 exec_lo, exec_lo, s1
	v_mov_b32_e32 v9, 0
	s_mov_b32 s1, exec_lo
	v_cmpx_gt_u32_e64 s8, v39
	s_cbranch_execz .LBB88_15
; %bb.14:                               ;   in Loop: Header=BB88_6 Depth=1
	v_add_co_u32 v9, vcc_lo, 0x1000, v3
	v_add_co_ci_u32_e32 v10, vcc_lo, 0, v4, vcc_lo
	global_load_b64 v[9:10], v[9:10], off offset:2048
.LBB88_15:                              ;   in Loop: Header=BB88_6 Depth=1
	s_or_b32 exec_lo, exec_lo, s1
	v_dual_mov_b32 v14, 0 :: v_dual_mov_b32 v15, 0
	v_mov_b32_e32 v16, 0
	s_mov_b32 s1, exec_lo
	v_cmpx_gt_u32_e64 s8, v40
	s_cbranch_execz .LBB88_17
; %bb.16:                               ;   in Loop: Header=BB88_6 Depth=1
	v_add_co_u32 v15, vcc_lo, 0x2000, v3
	v_add_co_ci_u32_e32 v16, vcc_lo, 0, v4, vcc_lo
	global_load_b64 v[15:16], v[15:16], off
.LBB88_17:                              ;   in Loop: Header=BB88_6 Depth=1
	s_or_b32 exec_lo, exec_lo, s1
	v_mov_b32_e32 v13, 0
	s_mov_b32 s1, exec_lo
	v_cmpx_gt_u32_e64 s8, v41
	s_cbranch_execz .LBB88_19
; %bb.18:                               ;   in Loop: Header=BB88_6 Depth=1
	v_add_co_u32 v13, vcc_lo, 0x2000, v3
	v_add_co_ci_u32_e32 v14, vcc_lo, 0, v4, vcc_lo
	global_load_b64 v[13:14], v[13:14], off offset:2048
.LBB88_19:                              ;   in Loop: Header=BB88_6 Depth=1
	;; [unrolled: 21-line block ×7, first 2 shown]
	s_or_b32 exec_lo, exec_lo, s1
	s_waitcnt vmcnt(0)
	v_dual_add_f32 v5, v5, v7 :: v_dual_add_f32 v6, v6, v8
	s_mov_b32 s1, exec_lo
	s_barrier
	s_delay_alu instid0(VALU_DEP_1) | instskip(SKIP_2) | instid1(VALU_DEP_1)
	v_dual_add_f32 v5, v5, v11 :: v_dual_add_f32 v6, v6, v12
	buffer_gl0_inv
	v_dual_add_f32 v5, v5, v9 :: v_dual_add_f32 v6, v6, v10
	v_dual_add_f32 v5, v5, v15 :: v_dual_add_f32 v6, v6, v16
	s_delay_alu instid0(VALU_DEP_1) | instskip(NEXT) | instid1(VALU_DEP_1)
	v_dual_add_f32 v5, v5, v13 :: v_dual_add_f32 v6, v6, v14
	v_dual_add_f32 v5, v5, v19 :: v_dual_add_f32 v6, v6, v20
	s_delay_alu instid0(VALU_DEP_1) | instskip(NEXT) | instid1(VALU_DEP_1)
	;; [unrolled: 3-line block ×6, first 2 shown]
	v_dual_add_f32 v5, v5, v33 :: v_dual_add_f32 v6, v6, v34
	v_mov_b32_dpp v7, v5 quad_perm:[1,0,3,2] row_mask:0xf bank_mask:0xf
	s_delay_alu instid0(VALU_DEP_2) | instskip(NEXT) | instid1(VALU_DEP_1)
	v_mov_b32_dpp v8, v6 quad_perm:[1,0,3,2] row_mask:0xf bank_mask:0xf
	v_dual_add_f32 v5, v5, v7 :: v_dual_add_f32 v6, v6, v8
	s_delay_alu instid0(VALU_DEP_1) | instskip(NEXT) | instid1(VALU_DEP_2)
	v_mov_b32_dpp v7, v5 quad_perm:[2,3,0,1] row_mask:0xf bank_mask:0xf
	v_mov_b32_dpp v8, v6 quad_perm:[2,3,0,1] row_mask:0xf bank_mask:0xf
	s_delay_alu instid0(VALU_DEP_1) | instskip(NEXT) | instid1(VALU_DEP_1)
	v_dual_add_f32 v5, v5, v7 :: v_dual_add_f32 v6, v6, v8
	v_mov_b32_dpp v7, v5 row_ror:4 row_mask:0xf bank_mask:0xf
	s_delay_alu instid0(VALU_DEP_2) | instskip(NEXT) | instid1(VALU_DEP_1)
	v_mov_b32_dpp v8, v6 row_ror:4 row_mask:0xf bank_mask:0xf
	v_dual_add_f32 v5, v5, v7 :: v_dual_add_f32 v6, v6, v8
	s_delay_alu instid0(VALU_DEP_1) | instskip(NEXT) | instid1(VALU_DEP_2)
	v_mov_b32_dpp v7, v5 row_ror:8 row_mask:0xf bank_mask:0xf
	v_mov_b32_dpp v8, v6 row_ror:8 row_mask:0xf bank_mask:0xf
	s_delay_alu instid0(VALU_DEP_1)
	v_dual_add_f32 v5, v5, v7 :: v_dual_add_f32 v6, v6, v8
	ds_swizzle_b32 v7, v5 offset:swizzle(BROADCAST,32,15)
	ds_swizzle_b32 v8, v6 offset:swizzle(BROADCAST,32,15)
	s_waitcnt lgkmcnt(0)
	v_dual_add_f32 v5, v5, v7 :: v_dual_add_f32 v6, v6, v8
	ds_bpermute_b32 v5, v53, v5 offset:124
	ds_bpermute_b32 v6, v53, v6 offset:124
	v_cmpx_eq_u32_e32 0, v54
	s_cbranch_execz .LBB88_41
; %bb.40:                               ;   in Loop: Header=BB88_6 Depth=1
	s_waitcnt lgkmcnt(0)
	ds_store_b64 v52, v[5:6]
.LBB88_41:                              ;   in Loop: Header=BB88_6 Depth=1
	s_or_b32 exec_lo, exec_lo, s1
	s_waitcnt lgkmcnt(0)
	s_barrier
	buffer_gl0_inv
	s_and_saveexec_b32 s1, s0
	s_cbranch_execz .LBB88_43
; %bb.42:                               ;   in Loop: Header=BB88_6 Depth=1
	v_and_b32_e32 v7, 7, v54
	s_delay_alu instid0(VALU_DEP_1) | instskip(SKIP_3) | instid1(VALU_DEP_1)
	v_lshlrev_b32_e32 v5, 3, v7
	v_cmp_ne_u32_e32 vcc_lo, 7, v7
	ds_load_b64 v[5:6], v5
	v_add_co_ci_u32_e32 v8, vcc_lo, 0, v54, vcc_lo
	v_lshlrev_b32_e32 v8, 2, v8
	s_waitcnt lgkmcnt(0)
	ds_bpermute_b32 v9, v8, v5
	s_waitcnt lgkmcnt(0)
	v_add_f32_e32 v5, v5, v9
	ds_bpermute_b32 v8, v8, v6
	s_waitcnt lgkmcnt(0)
	v_add_f32_e32 v6, v6, v8
	v_cmp_gt_u32_e32 vcc_lo, 6, v7
	v_cndmask_b32_e64 v10, 0, 1, vcc_lo
	v_cmp_gt_u32_e32 vcc_lo, 4, v7
	s_delay_alu instid0(VALU_DEP_2) | instskip(SKIP_1) | instid1(VALU_DEP_2)
	v_lshlrev_b32_e32 v10, 1, v10
	v_cndmask_b32_e64 v7, 0, 1, vcc_lo
	v_add_lshl_u32 v10, v10, v54, 2
	s_delay_alu instid0(VALU_DEP_2)
	v_lshlrev_b32_e32 v7, 2, v7
	ds_bpermute_b32 v8, v10, v5
	ds_bpermute_b32 v9, v10, v6
	v_add_lshl_u32 v7, v7, v54, 2
	s_waitcnt lgkmcnt(0)
	v_dual_add_f32 v5, v5, v8 :: v_dual_add_f32 v6, v6, v9
	ds_bpermute_b32 v8, v7, v5
	ds_bpermute_b32 v7, v7, v6
	s_waitcnt lgkmcnt(0)
	v_dual_add_f32 v5, v5, v8 :: v_dual_add_f32 v6, v6, v7
.LBB88_43:                              ;   in Loop: Header=BB88_6 Depth=1
	s_or_b32 exec_lo, exec_lo, s1
	s_branch .LBB88_50
.LBB88_44:                              ;   in Loop: Header=BB88_6 Depth=1
                                        ; implicit-def: $vgpr6
	s_cbranch_execz .LBB88_50
; %bb.45:                               ;   in Loop: Header=BB88_6 Depth=1
	v_add_co_u32 v9, vcc_lo, v3, 0x2000
	v_add_co_ci_u32_e32 v10, vcc_lo, 0, v4, vcc_lo
	s_clause 0x1
	global_load_b64 v[5:6], v[3:4], off
	global_load_b64 v[7:8], v[3:4], off offset:2048
	v_add_co_u32 v11, vcc_lo, 0x1000, v3
	v_add_co_ci_u32_e32 v12, vcc_lo, 0, v4, vcc_lo
	s_clause 0x1
	global_load_b64 v[13:14], v[9:10], off offset:-4096
	global_load_b64 v[11:12], v[11:12], off offset:2048
	v_add_co_u32 v15, vcc_lo, 0x2000, v3
	v_add_co_ci_u32_e32 v16, vcc_lo, 0, v4, vcc_lo
	s_clause 0x1
	global_load_b64 v[9:10], v[9:10], off
	global_load_b64 v[15:16], v[15:16], off offset:2048
	v_add_co_u32 v17, vcc_lo, v3, 0x4000
	v_add_co_ci_u32_e32 v18, vcc_lo, 0, v4, vcc_lo
	v_add_co_u32 v19, vcc_lo, 0x3000, v3
	v_add_co_ci_u32_e32 v20, vcc_lo, 0, v4, vcc_lo
	s_clause 0x1
	global_load_b64 v[21:22], v[17:18], off offset:-4096
	global_load_b64 v[19:20], v[19:20], off offset:2048
	v_add_co_u32 v23, vcc_lo, 0x4000, v3
	v_add_co_ci_u32_e32 v24, vcc_lo, 0, v4, vcc_lo
	global_load_b64 v[17:18], v[17:18], off
	v_add_co_u32 v25, vcc_lo, v3, 0x6000
	global_load_b64 v[23:24], v[23:24], off offset:2048
	v_add_co_ci_u32_e32 v26, vcc_lo, 0, v4, vcc_lo
	v_add_co_u32 v27, vcc_lo, 0x5000, v3
	v_add_co_ci_u32_e32 v28, vcc_lo, 0, v4, vcc_lo
	s_clause 0x1
	global_load_b64 v[29:30], v[25:26], off offset:-4096
	global_load_b64 v[27:28], v[27:28], off offset:2048
	v_add_co_u32 v31, vcc_lo, 0x6000, v3
	v_add_co_ci_u32_e32 v32, vcc_lo, 0, v4, vcc_lo
	global_load_b64 v[25:26], v[25:26], off
	v_add_co_u32 v33, vcc_lo, 0x7000, v3
	v_add_co_ci_u32_e32 v34, vcc_lo, 0, v4, vcc_lo
	s_clause 0x2
	global_load_b64 v[31:32], v[31:32], off offset:2048
	global_load_b64 v[35:36], v[33:34], off
	global_load_b64 v[33:34], v[33:34], off offset:2048
	s_mov_b32 s1, exec_lo
	s_waitcnt vmcnt(0)
	s_barrier
	buffer_gl0_inv
	v_dual_add_f32 v5, v7, v5 :: v_dual_add_f32 v6, v8, v6
	s_delay_alu instid0(VALU_DEP_1) | instskip(NEXT) | instid1(VALU_DEP_1)
	v_dual_add_f32 v5, v5, v13 :: v_dual_add_f32 v6, v6, v14
	v_dual_add_f32 v5, v5, v11 :: v_dual_add_f32 v6, v6, v12
	s_delay_alu instid0(VALU_DEP_1) | instskip(NEXT) | instid1(VALU_DEP_1)
	v_dual_add_f32 v5, v5, v9 :: v_dual_add_f32 v6, v6, v10
	;; [unrolled: 3-line block ×7, first 2 shown]
	v_dual_add_f32 v5, v5, v33 :: v_dual_add_f32 v6, v6, v34
	s_delay_alu instid0(VALU_DEP_1) | instskip(NEXT) | instid1(VALU_DEP_2)
	v_mov_b32_dpp v7, v5 quad_perm:[1,0,3,2] row_mask:0xf bank_mask:0xf
	v_mov_b32_dpp v8, v6 quad_perm:[1,0,3,2] row_mask:0xf bank_mask:0xf
	s_delay_alu instid0(VALU_DEP_1) | instskip(NEXT) | instid1(VALU_DEP_1)
	v_dual_add_f32 v5, v5, v7 :: v_dual_add_f32 v6, v6, v8
	v_mov_b32_dpp v7, v5 quad_perm:[2,3,0,1] row_mask:0xf bank_mask:0xf
	s_delay_alu instid0(VALU_DEP_2) | instskip(NEXT) | instid1(VALU_DEP_1)
	v_mov_b32_dpp v8, v6 quad_perm:[2,3,0,1] row_mask:0xf bank_mask:0xf
	v_dual_add_f32 v5, v5, v7 :: v_dual_add_f32 v6, v6, v8
	s_delay_alu instid0(VALU_DEP_1) | instskip(NEXT) | instid1(VALU_DEP_2)
	v_mov_b32_dpp v7, v5 row_ror:4 row_mask:0xf bank_mask:0xf
	v_mov_b32_dpp v8, v6 row_ror:4 row_mask:0xf bank_mask:0xf
	s_delay_alu instid0(VALU_DEP_1) | instskip(NEXT) | instid1(VALU_DEP_1)
	v_dual_add_f32 v5, v5, v7 :: v_dual_add_f32 v6, v6, v8
	v_mov_b32_dpp v7, v5 row_ror:8 row_mask:0xf bank_mask:0xf
	s_delay_alu instid0(VALU_DEP_2) | instskip(NEXT) | instid1(VALU_DEP_1)
	v_mov_b32_dpp v8, v6 row_ror:8 row_mask:0xf bank_mask:0xf
	v_dual_add_f32 v5, v5, v7 :: v_dual_add_f32 v6, v6, v8
	ds_swizzle_b32 v7, v5 offset:swizzle(BROADCAST,32,15)
	ds_swizzle_b32 v8, v6 offset:swizzle(BROADCAST,32,15)
	s_waitcnt lgkmcnt(0)
	v_dual_add_f32 v5, v5, v7 :: v_dual_add_f32 v6, v6, v8
	ds_bpermute_b32 v5, v53, v5 offset:124
	ds_bpermute_b32 v6, v53, v6 offset:124
	v_cmpx_eq_u32_e32 0, v54
	s_cbranch_execz .LBB88_47
; %bb.46:                               ;   in Loop: Header=BB88_6 Depth=1
	s_waitcnt lgkmcnt(0)
	ds_store_b64 v52, v[5:6]
.LBB88_47:                              ;   in Loop: Header=BB88_6 Depth=1
	s_or_b32 exec_lo, exec_lo, s1
	s_waitcnt lgkmcnt(0)
	s_barrier
	buffer_gl0_inv
	s_and_saveexec_b32 s1, s0
	s_cbranch_execz .LBB88_49
; %bb.48:                               ;   in Loop: Header=BB88_6 Depth=1
	v_and_b32_e32 v7, 7, v54
	s_delay_alu instid0(VALU_DEP_1) | instskip(SKIP_3) | instid1(VALU_DEP_1)
	v_lshlrev_b32_e32 v5, 3, v7
	v_cmp_ne_u32_e32 vcc_lo, 7, v7
	ds_load_b64 v[5:6], v5
	v_add_co_ci_u32_e32 v8, vcc_lo, 0, v54, vcc_lo
	v_lshlrev_b32_e32 v8, 2, v8
	s_waitcnt lgkmcnt(0)
	ds_bpermute_b32 v9, v8, v5
	s_waitcnt lgkmcnt(0)
	v_add_f32_e32 v5, v5, v9
	ds_bpermute_b32 v8, v8, v6
	s_waitcnt lgkmcnt(0)
	v_add_f32_e32 v6, v6, v8
	v_cmp_gt_u32_e32 vcc_lo, 6, v7
	v_cndmask_b32_e64 v10, 0, 1, vcc_lo
	v_cmp_gt_u32_e32 vcc_lo, 4, v7
	s_delay_alu instid0(VALU_DEP_2) | instskip(SKIP_1) | instid1(VALU_DEP_2)
	v_lshlrev_b32_e32 v10, 1, v10
	v_cndmask_b32_e64 v7, 0, 1, vcc_lo
	v_add_lshl_u32 v10, v10, v54, 2
	s_delay_alu instid0(VALU_DEP_2)
	v_lshlrev_b32_e32 v7, 2, v7
	ds_bpermute_b32 v8, v10, v5
	ds_bpermute_b32 v9, v10, v6
	v_add_lshl_u32 v7, v7, v54, 2
	s_waitcnt lgkmcnt(0)
	v_dual_add_f32 v5, v5, v8 :: v_dual_add_f32 v6, v6, v9
	ds_bpermute_b32 v8, v7, v5
	ds_bpermute_b32 v7, v7, v6
	s_waitcnt lgkmcnt(0)
	v_dual_add_f32 v5, v5, v8 :: v_dual_add_f32 v6, v6, v7
.LBB88_49:                              ;   in Loop: Header=BB88_6 Depth=1
	s_or_b32 exec_lo, exec_lo, s1
.LBB88_50:                              ;   in Loop: Header=BB88_6 Depth=1
	v_cmp_gt_i64_e64 s1, 0x1001, s[8:9]
	s_delay_alu instid0(VALU_DEP_1)
	s_and_b32 vcc_lo, exec_lo, s1
	s_cbranch_vccz .LBB88_5
; %bb.51:
	s_mov_b32 s1, -1
                                        ; implicit-def: $sgpr8_sgpr9
                                        ; implicit-def: $sgpr12
                                        ; implicit-def: $vgpr3_vgpr4
                                        ; implicit-def: $vgpr1
.LBB88_52:
	s_delay_alu instid0(SALU_CYCLE_1)
	s_xor_b32 s0, s1, -1
.LBB88_53:
	s_delay_alu instid0(SALU_CYCLE_1)
	s_and_b32 vcc_lo, exec_lo, s0
	s_cbranch_vccz .LBB88_56
; %bb.54:
	s_mov_b32 s0, exec_lo
	v_cmpx_eq_u32_e32 0, v0
	s_cbranch_execz .LBB88_56
; %bb.55:
	s_lshl_b64 s[0:1], s[2:3], 3
	v_mov_b32_e32 v0, 0
	s_waitcnt lgkmcnt(0)
	s_add_u32 s0, s6, s0
	s_addc_u32 s1, s7, s1
	global_store_b64 v0, v[1:2], s[0:1]
.LBB88_56:
	s_nop 0
	s_sendmsg sendmsg(MSG_DEALLOC_VGPRS)
	s_endpgm
	.section	.rodata,"a",@progbits
	.p2align	6, 0x0
	.amdhsa_kernel _ZN2at4cuda3cub15calc_block_sumsILi256ELi16ELb0EN3c107complexIfEES5_EEvPKT2_PT3_li
		.amdhsa_group_segment_fixed_size 64
		.amdhsa_private_segment_fixed_size 0
		.amdhsa_kernarg_size 28
		.amdhsa_user_sgpr_count 15
		.amdhsa_user_sgpr_dispatch_ptr 0
		.amdhsa_user_sgpr_queue_ptr 0
		.amdhsa_user_sgpr_kernarg_segment_ptr 1
		.amdhsa_user_sgpr_dispatch_id 0
		.amdhsa_user_sgpr_private_segment_size 0
		.amdhsa_wavefront_size32 1
		.amdhsa_uses_dynamic_stack 0
		.amdhsa_enable_private_segment 0
		.amdhsa_system_sgpr_workgroup_id_x 1
		.amdhsa_system_sgpr_workgroup_id_y 0
		.amdhsa_system_sgpr_workgroup_id_z 0
		.amdhsa_system_sgpr_workgroup_info 0
		.amdhsa_system_vgpr_workitem_id 0
		.amdhsa_next_free_vgpr 55
		.amdhsa_next_free_sgpr 16
		.amdhsa_reserve_vcc 1
		.amdhsa_float_round_mode_32 0
		.amdhsa_float_round_mode_16_64 0
		.amdhsa_float_denorm_mode_32 3
		.amdhsa_float_denorm_mode_16_64 3
		.amdhsa_dx10_clamp 1
		.amdhsa_ieee_mode 1
		.amdhsa_fp16_overflow 0
		.amdhsa_workgroup_processor_mode 1
		.amdhsa_memory_ordered 1
		.amdhsa_forward_progress 0
		.amdhsa_shared_vgpr_count 0
		.amdhsa_exception_fp_ieee_invalid_op 0
		.amdhsa_exception_fp_denorm_src 0
		.amdhsa_exception_fp_ieee_div_zero 0
		.amdhsa_exception_fp_ieee_overflow 0
		.amdhsa_exception_fp_ieee_underflow 0
		.amdhsa_exception_fp_ieee_inexact 0
		.amdhsa_exception_int_div_zero 0
	.end_amdhsa_kernel
	.section	.text._ZN2at4cuda3cub15calc_block_sumsILi256ELi16ELb0EN3c107complexIfEES5_EEvPKT2_PT3_li,"axG",@progbits,_ZN2at4cuda3cub15calc_block_sumsILi256ELi16ELb0EN3c107complexIfEES5_EEvPKT2_PT3_li,comdat
.Lfunc_end88:
	.size	_ZN2at4cuda3cub15calc_block_sumsILi256ELi16ELb0EN3c107complexIfEES5_EEvPKT2_PT3_li, .Lfunc_end88-_ZN2at4cuda3cub15calc_block_sumsILi256ELi16ELb0EN3c107complexIfEES5_EEvPKT2_PT3_li
                                        ; -- End function
	.section	.AMDGPU.csdata,"",@progbits
; Kernel info:
; codeLenInByte = 2800
; NumSgprs: 18
; NumVgprs: 55
; ScratchSize: 0
; MemoryBound: 0
; FloatMode: 240
; IeeeMode: 1
; LDSByteSize: 64 bytes/workgroup (compile time only)
; SGPRBlocks: 2
; VGPRBlocks: 6
; NumSGPRsForWavesPerEU: 18
; NumVGPRsForWavesPerEU: 55
; Occupancy: 16
; WaveLimiterHint : 1
; COMPUTE_PGM_RSRC2:SCRATCH_EN: 0
; COMPUTE_PGM_RSRC2:USER_SGPR: 15
; COMPUTE_PGM_RSRC2:TRAP_HANDLER: 0
; COMPUTE_PGM_RSRC2:TGID_X_EN: 1
; COMPUTE_PGM_RSRC2:TGID_Y_EN: 0
; COMPUTE_PGM_RSRC2:TGID_Z_EN: 0
; COMPUTE_PGM_RSRC2:TIDIG_COMP_CNT: 0
	.section	.text._ZN2at4cuda3cub17final_scan_kernelILi256ELi16EN3c107complexIfEEEEvPKT1_PS6_S9_li,"axG",@progbits,_ZN2at4cuda3cub17final_scan_kernelILi256ELi16EN3c107complexIfEEEEvPKT1_PS6_S9_li,comdat
	.protected	_ZN2at4cuda3cub17final_scan_kernelILi256ELi16EN3c107complexIfEEEEvPKT1_PS6_S9_li ; -- Begin function _ZN2at4cuda3cub17final_scan_kernelILi256ELi16EN3c107complexIfEEEEvPKT1_PS6_S9_li
	.globl	_ZN2at4cuda3cub17final_scan_kernelILi256ELi16EN3c107complexIfEEEEvPKT1_PS6_S9_li
	.p2align	8
	.type	_ZN2at4cuda3cub17final_scan_kernelILi256ELi16EN3c107complexIfEEEEvPKT1_PS6_S9_li,@function
_ZN2at4cuda3cub17final_scan_kernelILi256ELi16EN3c107complexIfEEEEvPKT1_PS6_S9_li: ; @_ZN2at4cuda3cub17final_scan_kernelILi256ELi16EN3c107complexIfEEEEvPKT1_PS6_S9_li
; %bb.0:
	s_clause 0x1
	s_load_b32 s26, s[0:1], 0x20
	s_load_b256 s[16:23], s[0:1], 0x0
	s_waitcnt lgkmcnt(0)
	s_lshl_b32 s2, s26, 12
	s_delay_alu instid0(SALU_CYCLE_1)
	s_ashr_i32 s3, s2, 31
	s_mul_hi_u32 s4, s2, s15
	s_mul_i32 s3, s3, s15
	s_mul_i32 s24, s2, s15
	s_add_i32 s25, s4, s3
	s_sub_u32 s22, s22, s24
	s_subb_u32 s23, s23, s25
	s_delay_alu instid0(SALU_CYCLE_1) | instskip(NEXT) | instid1(VALU_DEP_1)
	v_cmp_lt_i64_e64 s2, s[22:23], 1
	s_and_b32 vcc_lo, exec_lo, s2
	s_cbranch_vccnz .LBB89_112
; %bb.1:
	v_dual_mov_b32 v1, 0 :: v_dual_lshlrev_b32 v70, 3, v0
	v_mov_b32_e32 v2, 0
	s_mov_b32 s2, exec_lo
	v_cmpx_gt_u32_e64 s15, v0
	s_cbranch_execz .LBB89_3
; %bb.2:
	global_load_b64 v[1:2], v70, s[20:21]
.LBB89_3:
	s_or_b32 exec_lo, exec_lo, s2
	s_load_b32 s0, s[0:1], 0x34
	s_waitcnt lgkmcnt(0)
	s_and_b32 s1, s0, 0xffff
	s_mov_b32 s0, exec_lo
	v_add_nc_u32_e32 v3, s1, v0
	s_delay_alu instid0(VALU_DEP_1)
	v_cmpx_gt_u32_e64 s15, v3
	s_cbranch_execz .LBB89_7
; %bb.4:
	v_mov_b32_e32 v4, 0
	s_mov_b32 s2, 0
.LBB89_5:                               ; =>This Inner Loop Header: Depth=1
	s_delay_alu instid0(VALU_DEP_1) | instskip(NEXT) | instid1(VALU_DEP_1)
	v_lshlrev_b64 v[5:6], 3, v[3:4]
	v_add_co_u32 v5, vcc_lo, s20, v5
	s_delay_alu instid0(VALU_DEP_2) | instskip(SKIP_3) | instid1(VALU_DEP_1)
	v_add_co_ci_u32_e32 v6, vcc_lo, s21, v6, vcc_lo
	global_load_b64 v[5:6], v[5:6], off
	s_waitcnt vmcnt(0)
	v_dual_add_f32 v2, v2, v6 :: v_dual_add_nc_u32 v3, s1, v3
	v_cmp_le_u32_e32 vcc_lo, s15, v3
	v_add_f32_e32 v1, v1, v5
	s_or_b32 s2, vcc_lo, s2
	s_delay_alu instid0(SALU_CYCLE_1)
	s_and_not1_b32 exec_lo, exec_lo, s2
	s_cbranch_execnz .LBB89_5
; %bb.6:
	s_or_b32 exec_lo, exec_lo, s2
.LBB89_7:
	s_delay_alu instid0(SALU_CYCLE_1) | instskip(SKIP_3) | instid1(VALU_DEP_1)
	s_or_b32 exec_lo, exec_lo, s0
	s_waitcnt vmcnt(0)
	v_mov_b32_dpp v3, v1 quad_perm:[1,0,3,2] row_mask:0xf bank_mask:0xf
	v_mov_b32_dpp v4, v2 quad_perm:[1,0,3,2] row_mask:0xf bank_mask:0xf
	v_dual_add_f32 v1, v1, v3 :: v_dual_add_f32 v2, v2, v4
	s_delay_alu instid0(VALU_DEP_1) | instskip(NEXT) | instid1(VALU_DEP_2)
	v_mov_b32_dpp v3, v1 quad_perm:[2,3,0,1] row_mask:0xf bank_mask:0xf
	v_mov_b32_dpp v4, v2 quad_perm:[2,3,0,1] row_mask:0xf bank_mask:0xf
	s_delay_alu instid0(VALU_DEP_1) | instskip(NEXT) | instid1(VALU_DEP_1)
	v_dual_add_f32 v1, v1, v3 :: v_dual_add_f32 v2, v2, v4
	v_mov_b32_dpp v3, v1 row_ror:4 row_mask:0xf bank_mask:0xf
	s_delay_alu instid0(VALU_DEP_2) | instskip(NEXT) | instid1(VALU_DEP_1)
	v_mov_b32_dpp v4, v2 row_ror:4 row_mask:0xf bank_mask:0xf
	v_dual_add_f32 v1, v1, v3 :: v_dual_add_f32 v2, v2, v4
	s_delay_alu instid0(VALU_DEP_1) | instskip(NEXT) | instid1(VALU_DEP_2)
	v_mov_b32_dpp v3, v1 row_ror:8 row_mask:0xf bank_mask:0xf
	v_mov_b32_dpp v4, v2 row_ror:8 row_mask:0xf bank_mask:0xf
	s_delay_alu instid0(VALU_DEP_1)
	v_dual_add_f32 v1, v1, v3 :: v_dual_add_f32 v2, v2, v4
	ds_swizzle_b32 v3, v1 offset:swizzle(BROADCAST,32,15)
	ds_swizzle_b32 v4, v2 offset:swizzle(BROADCAST,32,15)
	v_mov_b32_e32 v5, 0
	s_waitcnt lgkmcnt(0)
	v_dual_add_f32 v1, v1, v3 :: v_dual_add_f32 v2, v2, v4
	ds_bpermute_b32 v32, v5, v1 offset:124
	ds_bpermute_b32 v33, v5, v2 offset:124
	v_mbcnt_lo_u32_b32 v1, -1, 0
	s_delay_alu instid0(VALU_DEP_1) | instskip(NEXT) | instid1(VALU_DEP_1)
	v_cmp_eq_u32_e64 s0, 0, v1
	s_and_saveexec_b32 s1, s0
	s_cbranch_execz .LBB89_9
; %bb.8:
	v_lshrrev_b32_e32 v2, 2, v0
	s_delay_alu instid0(VALU_DEP_1)
	v_and_b32_e32 v2, 0xf8, v2
	s_waitcnt lgkmcnt(0)
	ds_store_b64 v2, v[32:33]
.LBB89_9:
	s_or_b32 exec_lo, exec_lo, s1
	v_cmp_lt_u32_e64 s1, 31, v0
	v_cmp_gt_u32_e64 s2, 32, v0
	v_and_b32_e32 v2, 7, v1
	s_waitcnt lgkmcnt(0)
	s_barrier
	buffer_gl0_inv
	s_and_saveexec_b32 s3, s2
	s_cbranch_execz .LBB89_11
; %bb.10:
	v_lshlrev_b32_e32 v3, 3, v2
	v_cmp_ne_u32_e32 vcc_lo, 7, v2
	ds_load_b64 v[3:4], v3
	v_add_co_ci_u32_e32 v5, vcc_lo, 0, v1, vcc_lo
	v_cmp_gt_u32_e32 vcc_lo, 6, v2
	s_delay_alu instid0(VALU_DEP_2) | instskip(SKIP_2) | instid1(VALU_DEP_2)
	v_lshlrev_b32_e32 v5, 2, v5
	v_cndmask_b32_e64 v7, 0, 1, vcc_lo
	v_cmp_gt_u32_e32 vcc_lo, 4, v2
	v_lshlrev_b32_e32 v7, 1, v7
	s_delay_alu instid0(VALU_DEP_1)
	v_add_lshl_u32 v7, v7, v1, 2
	s_waitcnt lgkmcnt(0)
	ds_bpermute_b32 v6, v5, v3
	ds_bpermute_b32 v5, v5, v4
	s_waitcnt lgkmcnt(0)
	v_dual_add_f32 v3, v3, v6 :: v_dual_add_f32 v4, v4, v5
	ds_bpermute_b32 v5, v7, v3
	ds_bpermute_b32 v6, v7, v4
	v_cndmask_b32_e64 v7, 0, 1, vcc_lo
	s_delay_alu instid0(VALU_DEP_1) | instskip(NEXT) | instid1(VALU_DEP_1)
	v_lshlrev_b32_e32 v7, 2, v7
	v_add_lshl_u32 v7, v7, v1, 2
	s_waitcnt lgkmcnt(0)
	v_dual_add_f32 v3, v3, v5 :: v_dual_add_f32 v4, v4, v6
	ds_bpermute_b32 v5, v7, v3
	ds_bpermute_b32 v6, v7, v4
	s_waitcnt lgkmcnt(0)
	v_dual_add_f32 v32, v3, v5 :: v_dual_add_f32 v33, v4, v6
.LBB89_11:
	s_or_b32 exec_lo, exec_lo, s3
	s_cmp_gt_i32 s26, 0
	s_barrier
	buffer_gl0_inv
	s_cbranch_scc0 .LBB89_112
; %bb.12:
	v_dual_mov_b32 v108, 0 :: v_dual_lshlrev_b32 v3, 4, v0
	v_cmp_ne_u32_e64 s10, 0, v2
	v_cmp_lt_u32_e64 s11, 1, v2
	v_cmp_lt_u32_e64 s12, 3, v2
	s_delay_alu instid0(VALU_DEP_4)
	v_and_b32_e32 v3, 0x3e00, v3
	s_lshl_b64 s[14:15], s[24:25], 3
	v_cmp_gt_u32_e64 s9, 8, v0
	v_cmp_eq_u32_e64 s13, 0, v0
	v_lshlrev_b32_e32 v107, 3, v1
	v_or_b32_e32 v71, v1, v3
	v_lshrrev_b32_e32 v3, 5, v3
	s_delay_alu instid0(VALU_DEP_2)
	v_or_b32_e32 v72, 32, v71
	v_or_b32_e32 v76, 0xa0, v71
	;; [unrolled: 1-line block ×5, first 2 shown]
	v_lshrrev_b32_e32 v4, 5, v72
	v_or_b32_e32 v75, 0x80, v71
	v_or_b32_e32 v78, 0xe0, v71
	v_or_b32_e32 v80, 0x120, v71
	v_lshrrev_b32_e32 v6, 5, v74
	v_add_lshl_u32 v88, v4, v72, 3
	v_lshrrev_b32_e32 v4, 5, v76
	v_add_lshl_u32 v87, v3, v71, 3
	;; [unrolled: 2-line block ×6, first 2 shown]
	v_or_b32_e32 v73, 64, v71
	v_add_lshl_u32 v97, v4, v81, 3
	v_lshrrev_b32_e32 v4, 5, v84
	v_add_lshl_u32 v96, v3, v80, 3
	v_or_b32_e32 v77, 0xc0, v71
	v_lshrrev_b32_e32 v5, 5, v73
	v_or_b32_e32 v82, 0x160, v71
	v_add_lshl_u32 v100, v4, v84, 3
	v_and_b32_e32 v4, 15, v1
	v_or_b32_e32 v79, 0x100, v71
	v_add_lshl_u32 v89, v5, v73, 3
	v_lshrrev_b32_e32 v5, 5, v77
	v_or_b32_e32 v85, 0x1c0, v71
	v_cmp_ne_u32_e64 s3, 0, v4
	v_cmp_lt_u32_e64 s4, 1, v4
	v_cmp_lt_u32_e64 s5, 3, v4
	;; [unrolled: 1-line block ×3, first 2 shown]
	v_add_nc_u32_e32 v4, -1, v1
	v_add_lshl_u32 v93, v5, v77, 3
	v_lshrrev_b32_e32 v5, 5, v82
	v_or_b32_e32 v83, 0x180, v71
	v_lshrrev_b32_e32 v7, 5, v79
	v_cmp_gt_i32_e32 vcc_lo, 0, v4
	v_and_b32_e32 v6, 0x3e0, v0
	v_add_lshl_u32 v98, v5, v82, 3
	v_lshrrev_b32_e32 v5, 5, v85
	v_or_b32_e32 v86, 0x1e0, v71
	v_add_lshl_u32 v95, v7, v79, 3
	v_or_b32_e32 v3, v1, v6
	v_lshrrev_b32_e32 v7, 5, v83
	v_add_lshl_u32 v101, v5, v85, 3
	v_and_b32_e32 v5, 16, v1
	s_delay_alu instid0(VALU_DEP_4) | instskip(SKIP_4) | instid1(VALU_DEP_4)
	v_lshlrev_b32_e32 v8, 4, v3
	v_bfe_u32 v3, v3, 1, 27
	v_add_lshl_u32 v99, v7, v83, 3
	v_lshrrev_b32_e32 v7, 5, v86
	v_cmp_ne_u32_e64 s7, 0, v5
	v_add_lshl_u32 v103, v3, v8, 3
	v_min_u32_e32 v3, 0xe0, v6
	v_lshrrev_b32_e32 v6, 5, v0
	v_add_lshl_u32 v102, v7, v86, 3
	s_delay_alu instid0(VALU_DEP_3) | instskip(NEXT) | instid1(VALU_DEP_3)
	v_or_b32_e32 v3, 31, v3
	v_lshlrev_b32_e32 v2, 12, v6
	v_lshlrev_b32_e32 v104, 3, v6
	s_delay_alu instid0(VALU_DEP_3) | instskip(SKIP_1) | instid1(VALU_DEP_4)
	v_cmp_eq_u32_e64 s8, v3, v0
	v_cndmask_b32_e32 v3, v4, v1, vcc_lo
	v_add_co_u32 v0, s14, s14, v2
	s_delay_alu instid0(VALU_DEP_1) | instskip(SKIP_1) | instid1(VALU_DEP_3)
	v_add_co_ci_u32_e64 v1, null, s15, 0, s14
	v_add_nc_u32_e32 v105, -8, v104
	v_add_co_u32 v34, vcc_lo, s16, v0
	s_delay_alu instid0(VALU_DEP_3)
	v_add_co_ci_u32_e32 v35, vcc_lo, s17, v1, vcc_lo
	v_add_co_u32 v36, vcc_lo, s18, v0
	v_lshlrev_b32_e32 v106, 2, v3
	v_add_co_ci_u32_e32 v37, vcc_lo, s19, v1, vcc_lo
	s_branch .LBB89_14
.LBB89_13:                              ;   in Loop: Header=BB89_14 Depth=1
	v_add_co_u32 v34, vcc_lo, 0x8000, v34
	v_add_co_ci_u32_e32 v35, vcc_lo, 0, v35, vcc_lo
	s_add_u32 s22, s22, 0xfffff000
	v_add_co_u32 v36, vcc_lo, 0x8000, v36
	s_addc_u32 s23, s23, -1
	s_add_i32 s26, s26, -1
	v_add_co_ci_u32_e32 v37, vcc_lo, 0, v37, vcc_lo
	s_cmp_eq_u32 s26, 0
	s_waitcnt lgkmcnt(0)
	s_waitcnt_vscnt null, 0x0
	s_cselect_b32 s14, -1, 0
	s_barrier
	buffer_gl0_inv
	s_and_not1_b32 vcc_lo, exec_lo, s14
	s_cbranch_vccz .LBB89_112
.LBB89_14:                              ; =>This Inner Loop Header: Depth=1
	v_cmp_lt_i64_e64 s14, 0xfff, s[22:23]
	v_cmp_gt_i64_e64 s15, 0x1000, s[22:23]
	s_mov_b32 s16, -1
	s_delay_alu instid0(VALU_DEP_2)
	s_and_b32 vcc_lo, exec_lo, s14
	v_cmp_gt_u32_e64 s14, s22, v71
	s_cbranch_vccnz .LBB89_48
; %bb.15:                               ;   in Loop: Header=BB89_14 Depth=1
	v_add_co_u32 v4, vcc_lo, v34, v107
	v_add_co_ci_u32_e32 v5, vcc_lo, 0, v35, vcc_lo
	v_dual_mov_b32 v1, 0 :: v_dual_mov_b32 v2, 0
	v_mov_b32_e32 v3, 0
	s_and_saveexec_b32 s16, s14
	s_cbranch_execz .LBB89_17
; %bb.16:                               ;   in Loop: Header=BB89_14 Depth=1
	global_load_b64 v[2:3], v[4:5], off
.LBB89_17:                              ;   in Loop: Header=BB89_14 Depth=1
	s_or_b32 exec_lo, exec_lo, s16
	v_mov_b32_e32 v0, 0
	s_mov_b32 s14, exec_lo
	v_cmpx_gt_u32_e64 s22, v72
	s_cbranch_execz .LBB89_19
; %bb.18:                               ;   in Loop: Header=BB89_14 Depth=1
	global_load_b64 v[0:1], v[4:5], off offset:256
.LBB89_19:                              ;   in Loop: Header=BB89_14 Depth=1
	s_or_b32 exec_lo, exec_lo, s14
	s_waitcnt lgkmcnt(0)
	v_dual_mov_b32 v7, 0 :: v_dual_mov_b32 v8, 0
	v_mov_b32_e32 v9, 0
	s_mov_b32 s14, exec_lo
	v_cmpx_gt_u32_e64 s22, v73
	s_cbranch_execz .LBB89_21
; %bb.20:                               ;   in Loop: Header=BB89_14 Depth=1
	global_load_b64 v[8:9], v[4:5], off offset:512
.LBB89_21:                              ;   in Loop: Header=BB89_14 Depth=1
	s_or_b32 exec_lo, exec_lo, s14
	v_mov_b32_e32 v6, 0
	s_mov_b32 s14, exec_lo
	v_cmpx_gt_u32_e64 s22, v74
	s_cbranch_execz .LBB89_23
; %bb.22:                               ;   in Loop: Header=BB89_14 Depth=1
	global_load_b64 v[6:7], v[4:5], off offset:768
.LBB89_23:                              ;   in Loop: Header=BB89_14 Depth=1
	s_or_b32 exec_lo, exec_lo, s14
	v_dual_mov_b32 v11, 0 :: v_dual_mov_b32 v12, 0
	v_mov_b32_e32 v13, 0
	s_mov_b32 s14, exec_lo
	v_cmpx_gt_u32_e64 s22, v75
	s_cbranch_execz .LBB89_25
; %bb.24:                               ;   in Loop: Header=BB89_14 Depth=1
	global_load_b64 v[12:13], v[4:5], off offset:1024
.LBB89_25:                              ;   in Loop: Header=BB89_14 Depth=1
	s_or_b32 exec_lo, exec_lo, s14
	v_mov_b32_e32 v10, 0
	s_mov_b32 s14, exec_lo
	v_cmpx_gt_u32_e64 s22, v76
	s_cbranch_execz .LBB89_27
; %bb.26:                               ;   in Loop: Header=BB89_14 Depth=1
	global_load_b64 v[10:11], v[4:5], off offset:1280
.LBB89_27:                              ;   in Loop: Header=BB89_14 Depth=1
	s_or_b32 exec_lo, exec_lo, s14
	;; [unrolled: 17-line block ×6, first 2 shown]
	v_dual_mov_b32 v31, 0 :: v_dual_mov_b32 v38, 0
	v_mov_b32_e32 v39, 0
	s_mov_b32 s14, exec_lo
	v_cmpx_gt_u32_e64 s22, v85
	s_cbranch_execz .LBB89_45
; %bb.44:                               ;   in Loop: Header=BB89_14 Depth=1
	global_load_b64 v[38:39], v[4:5], off offset:3584
.LBB89_45:                              ;   in Loop: Header=BB89_14 Depth=1
	s_or_b32 exec_lo, exec_lo, s14
	v_mov_b32_e32 v30, 0
	s_mov_b32 s16, 0
	s_mov_b32 s14, exec_lo
	v_cmpx_gt_u32_e64 s22, v86
	s_cbranch_execz .LBB89_47
; %bb.46:                               ;   in Loop: Header=BB89_14 Depth=1
	global_load_b64 v[30:31], v[4:5], off offset:3840
.LBB89_47:                              ;   in Loop: Header=BB89_14 Depth=1
	s_or_b32 exec_lo, exec_lo, s14
	s_waitcnt vmcnt(0)
	ds_store_b64 v87, v[2:3]
	ds_store_b64 v88, v[0:1]
	;; [unrolled: 1-line block ×16, first 2 shown]
	; wave barrier
.LBB89_48:                              ;   in Loop: Header=BB89_14 Depth=1
	s_and_b32 vcc_lo, exec_lo, s16
	s_cbranch_vccz .LBB89_50
; %bb.49:                               ;   in Loop: Header=BB89_14 Depth=1
	v_add_co_u32 v0, vcc_lo, v34, v107
	v_add_co_ci_u32_e32 v1, vcc_lo, 0, v35, vcc_lo
	s_clause 0x1
	global_load_b64 v[2:3], v[0:1], off
	global_load_b64 v[4:5], v[0:1], off offset:256
	s_waitcnt lgkmcnt(0)
	s_clause 0xd
	global_load_b64 v[6:7], v[0:1], off offset:512
	global_load_b64 v[8:9], v[0:1], off offset:768
	;; [unrolled: 1-line block ×14, first 2 shown]
	s_waitcnt vmcnt(15)
	ds_store_b64 v87, v[2:3]
	s_waitcnt vmcnt(14)
	ds_store_b64 v88, v[4:5]
	;; [unrolled: 2-line block ×16, first 2 shown]
	; wave barrier
.LBB89_50:                              ;   in Loop: Header=BB89_14 Depth=1
	ds_load_2addr_b64 v[28:31], v103 offset1:1
	ds_load_2addr_b64 v[16:19], v103 offset0:2 offset1:3
	ds_load_2addr_b64 v[0:3], v103 offset0:4 offset1:5
	;; [unrolled: 1-line block ×4, first 2 shown]
	s_waitcnt lgkmcnt(6)
	ds_load_2addr_b64 v[20:23], v103 offset0:10 offset1:11
	ds_load_2addr_b64 v[24:27], v103 offset0:12 offset1:13
	s_waitcnt lgkmcnt(6)
	v_dual_add_f32 v4, v30, v28 :: v_dual_add_f32 v5, v31, v29
	s_waitcnt lgkmcnt(5)
	s_delay_alu instid0(VALU_DEP_1) | instskip(NEXT) | instid1(VALU_DEP_1)
	v_dual_add_f32 v4, v4, v16 :: v_dual_add_f32 v5, v5, v17
	v_dual_add_f32 v4, v4, v18 :: v_dual_add_f32 v5, v5, v19
	s_waitcnt lgkmcnt(4)
	s_delay_alu instid0(VALU_DEP_1) | instskip(NEXT) | instid1(VALU_DEP_1)
	v_dual_add_f32 v4, v4, v0 :: v_dual_add_f32 v5, v5, v1
	;; [unrolled: 4-line block ×4, first 2 shown]
	v_dual_add_f32 v38, v4, v14 :: v_dual_add_f32 v39, v5, v15
	ds_load_2addr_b64 v[4:7], v103 offset0:14 offset1:15
	s_waitcnt lgkmcnt(0)
	s_waitcnt_vscnt null, 0x0
	s_barrier
	v_dual_add_f32 v38, v38, v20 :: v_dual_add_f32 v39, v39, v21
	buffer_gl0_inv
	v_dual_add_f32 v38, v38, v22 :: v_dual_add_f32 v39, v39, v23
	s_delay_alu instid0(VALU_DEP_1) | instskip(NEXT) | instid1(VALU_DEP_1)
	v_dual_add_f32 v38, v38, v24 :: v_dual_add_f32 v39, v39, v25
	v_dual_add_f32 v38, v38, v26 :: v_dual_add_f32 v39, v39, v27
	s_delay_alu instid0(VALU_DEP_1) | instskip(NEXT) | instid1(VALU_DEP_1)
	v_dual_add_f32 v38, v38, v4 :: v_dual_add_f32 v39, v39, v5
	v_dual_add_f32 v38, v38, v6 :: v_dual_add_f32 v39, v39, v7
	s_delay_alu instid0(VALU_DEP_1) | instskip(NEXT) | instid1(VALU_DEP_2)
	v_mov_b32_dpp v40, v38 row_shr:1 row_mask:0xf bank_mask:0xf
	v_mov_b32_dpp v41, v39 row_shr:1 row_mask:0xf bank_mask:0xf
	s_and_saveexec_b32 s14, s3
; %bb.51:                               ;   in Loop: Header=BB89_14 Depth=1
	s_delay_alu instid0(VALU_DEP_1)
	v_dual_add_f32 v39, v39, v41 :: v_dual_add_f32 v38, v38, v40
; %bb.52:                               ;   in Loop: Header=BB89_14 Depth=1
	s_or_b32 exec_lo, exec_lo, s14
	s_delay_alu instid0(VALU_DEP_1) | instskip(NEXT) | instid1(VALU_DEP_2)
	v_mov_b32_dpp v40, v38 row_shr:2 row_mask:0xf bank_mask:0xf
	v_mov_b32_dpp v41, v39 row_shr:2 row_mask:0xf bank_mask:0xf
	s_and_saveexec_b32 s14, s4
; %bb.53:                               ;   in Loop: Header=BB89_14 Depth=1
	s_delay_alu instid0(VALU_DEP_1)
	v_dual_add_f32 v39, v39, v41 :: v_dual_add_f32 v38, v38, v40
; %bb.54:                               ;   in Loop: Header=BB89_14 Depth=1
	s_or_b32 exec_lo, exec_lo, s14
	;; [unrolled: 9-line block ×4, first 2 shown]
	ds_swizzle_b32 v40, v38 offset:swizzle(BROADCAST,32,15)
	ds_swizzle_b32 v41, v39 offset:swizzle(BROADCAST,32,15)
	s_and_saveexec_b32 s14, s7
	s_cbranch_execz .LBB89_60
; %bb.59:                               ;   in Loop: Header=BB89_14 Depth=1
	s_waitcnt lgkmcnt(0)
	v_dual_add_f32 v39, v39, v41 :: v_dual_add_f32 v38, v38, v40
.LBB89_60:                              ;   in Loop: Header=BB89_14 Depth=1
	s_or_b32 exec_lo, exec_lo, s14
	s_and_saveexec_b32 s14, s8
	s_cbranch_execz .LBB89_62
; %bb.61:                               ;   in Loop: Header=BB89_14 Depth=1
	ds_store_b64 v104, v[38:39]
.LBB89_62:                              ;   in Loop: Header=BB89_14 Depth=1
	s_or_b32 exec_lo, exec_lo, s14
	s_waitcnt lgkmcnt(0)
	s_barrier
	buffer_gl0_inv
	s_and_saveexec_b32 s14, s9
	s_cbranch_execz .LBB89_68
; %bb.63:                               ;   in Loop: Header=BB89_14 Depth=1
	ds_load_b64 v[40:41], v70
	s_waitcnt lgkmcnt(0)
	v_mov_b32_dpp v43, v40 row_shr:1 row_mask:0xf bank_mask:0xf
	v_mov_b32_dpp v42, v41 row_shr:1 row_mask:0xf bank_mask:0xf
	s_and_saveexec_b32 s16, s10
; %bb.64:                               ;   in Loop: Header=BB89_14 Depth=1
	s_delay_alu instid0(VALU_DEP_1)
	v_dual_add_f32 v40, v40, v43 :: v_dual_add_f32 v41, v41, v42
; %bb.65:                               ;   in Loop: Header=BB89_14 Depth=1
	s_or_b32 exec_lo, exec_lo, s16
	s_delay_alu instid0(VALU_DEP_1) | instskip(NEXT) | instid1(VALU_DEP_2)
	v_mov_b32_dpp v43, v40 row_shr:2 row_mask:0xf bank_mask:0xf
	v_mov_b32_dpp v42, v41 row_shr:2 row_mask:0xf bank_mask:0xf
	s_and_saveexec_b32 s16, s11
; %bb.66:                               ;   in Loop: Header=BB89_14 Depth=1
	s_delay_alu instid0(VALU_DEP_1)
	v_dual_add_f32 v40, v40, v43 :: v_dual_add_f32 v41, v41, v42
; %bb.67:                               ;   in Loop: Header=BB89_14 Depth=1
	s_or_b32 exec_lo, exec_lo, s16
	s_delay_alu instid0(VALU_DEP_1) | instskip(NEXT) | instid1(VALU_DEP_2)
	v_mov_b32_dpp v42, v40 row_shr:4 row_mask:0xf bank_mask:0xf
	v_mov_b32_dpp v43, v41 row_shr:4 row_mask:0xf bank_mask:0xf
	s_delay_alu instid0(VALU_DEP_1) | instskip(NEXT) | instid1(VALU_DEP_1)
	v_dual_add_f32 v42, v40, v42 :: v_dual_add_f32 v43, v41, v43
	v_cndmask_b32_e64 v40, v40, v42, s12
	s_delay_alu instid0(VALU_DEP_2)
	v_cndmask_b32_e64 v41, v41, v43, s12
	ds_store_b64 v70, v[40:41]
.LBB89_68:                              ;   in Loop: Header=BB89_14 Depth=1
	s_or_b32 exec_lo, exec_lo, s14
	v_dual_mov_b32 v41, 0 :: v_dual_mov_b32 v40, 0
	s_waitcnt lgkmcnt(0)
	s_barrier
	buffer_gl0_inv
	s_and_saveexec_b32 s14, s1
	s_cbranch_execz .LBB89_70
; %bb.69:                               ;   in Loop: Header=BB89_14 Depth=1
	ds_load_b64 v[40:41], v105
	s_waitcnt lgkmcnt(0)
	v_dual_add_f32 v38, v38, v40 :: v_dual_add_f32 v39, v39, v41
.LBB89_70:                              ;   in Loop: Header=BB89_14 Depth=1
	s_or_b32 exec_lo, exec_lo, s14
	ds_bpermute_b32 v42, v106, v38
	ds_bpermute_b32 v43, v106, v39
	s_and_saveexec_b32 s14, s2
	s_cbranch_execz .LBB89_74
; %bb.71:                               ;   in Loop: Header=BB89_14 Depth=1
	ds_load_b64 v[38:39], v108 offset:56
	s_and_saveexec_b32 s16, s13
	s_cbranch_execz .LBB89_73
; %bb.72:                               ;   in Loop: Header=BB89_14 Depth=1
	ds_store_b64 v108, v[32:33] offset:56
.LBB89_73:                              ;   in Loop: Header=BB89_14 Depth=1
	s_or_b32 exec_lo, exec_lo, s16
	s_waitcnt lgkmcnt(0)
	v_dual_add_f32 v32, v32, v38 :: v_dual_add_f32 v33, v33, v39
.LBB89_74:                              ;   in Loop: Header=BB89_14 Depth=1
	s_or_b32 exec_lo, exec_lo, s14
	s_waitcnt lgkmcnt(0)
	s_barrier
	buffer_gl0_inv
	ds_load_b64 v[38:39], v108 offset:56
	v_cndmask_b32_e64 v40, v42, v40, s0
	v_cndmask_b32_e64 v41, v43, v41, s0
	s_and_b32 vcc_lo, exec_lo, s15
	s_waitcnt lgkmcnt(0)
	s_barrier
	s_delay_alu instid0(VALU_DEP_1) | instskip(SKIP_3) | instid1(VALU_DEP_1)
	v_dual_add_f32 v40, v28, v40 :: v_dual_add_f32 v41, v29, v41
	buffer_gl0_inv
	v_cndmask_b32_e64 v28, v40, v28, s13
	v_cndmask_b32_e64 v29, v41, v29, s13
	v_dual_add_f32 v40, v38, v28 :: v_dual_add_f32 v41, v39, v29
	s_delay_alu instid0(VALU_DEP_1) | instskip(NEXT) | instid1(VALU_DEP_1)
	v_dual_add_f32 v46, v30, v40 :: v_dual_add_f32 v47, v31, v41
	v_dual_add_f32 v30, v16, v46 :: v_dual_add_f32 v31, v17, v47
	s_delay_alu instid0(VALU_DEP_1) | instskip(NEXT) | instid1(VALU_DEP_1)
	v_dual_add_f32 v44, v18, v30 :: v_dual_add_f32 v45, v19, v31
	;; [unrolled: 3-line block ×7, first 2 shown]
	v_dual_add_f32 v0, v4, v12 :: v_dual_add_f32 v1, v5, v13
	s_delay_alu instid0(VALU_DEP_1)
	v_dual_add_f32 v4, v6, v0 :: v_dual_add_f32 v5, v7, v1
	s_cbranch_vccz .LBB89_95
; %bb.75:                               ;   in Loop: Header=BB89_14 Depth=1
	ds_store_2addr_b64 v103, v[40:41], v[46:47] offset1:1
	ds_store_2addr_b64 v103, v[30:31], v[44:45] offset0:2 offset1:3
	ds_store_2addr_b64 v103, v[18:19], v[42:43] offset0:4 offset1:5
	;; [unrolled: 1-line block ×7, first 2 shown]
	; wave barrier
	ds_load_b64 v[68:69], v88
	ds_load_b64 v[66:67], v89
	;; [unrolled: 1-line block ×15, first 2 shown]
	v_add_co_u32 v22, vcc_lo, v36, v107
	v_add_co_ci_u32_e32 v23, vcc_lo, 0, v37, vcc_lo
	s_mov_b32 s14, exec_lo
	v_cmpx_gt_u32_e64 s22, v71
	s_cbranch_execnz .LBB89_98
; %bb.76:                               ;   in Loop: Header=BB89_14 Depth=1
	s_or_b32 exec_lo, exec_lo, s14
	s_delay_alu instid0(SALU_CYCLE_1)
	s_mov_b32 s14, exec_lo
	v_cmpx_gt_u32_e64 s22, v72
	s_cbranch_execnz .LBB89_99
.LBB89_77:                              ;   in Loop: Header=BB89_14 Depth=1
	s_or_b32 exec_lo, exec_lo, s14
	s_delay_alu instid0(SALU_CYCLE_1)
	s_mov_b32 s14, exec_lo
	v_cmpx_gt_u32_e64 s22, v73
	s_cbranch_execnz .LBB89_100
.LBB89_78:                              ;   in Loop: Header=BB89_14 Depth=1
	s_or_b32 exec_lo, exec_lo, s14
	s_delay_alu instid0(SALU_CYCLE_1)
	s_mov_b32 s14, exec_lo
	v_cmpx_gt_u32_e64 s22, v74
	s_cbranch_execnz .LBB89_101
.LBB89_79:                              ;   in Loop: Header=BB89_14 Depth=1
	s_or_b32 exec_lo, exec_lo, s14
	s_delay_alu instid0(SALU_CYCLE_1)
	s_mov_b32 s14, exec_lo
	v_cmpx_gt_u32_e64 s22, v75
	s_cbranch_execnz .LBB89_102
.LBB89_80:                              ;   in Loop: Header=BB89_14 Depth=1
	s_or_b32 exec_lo, exec_lo, s14
	s_delay_alu instid0(SALU_CYCLE_1)
	s_mov_b32 s14, exec_lo
	v_cmpx_gt_u32_e64 s22, v76
	s_cbranch_execnz .LBB89_103
.LBB89_81:                              ;   in Loop: Header=BB89_14 Depth=1
	s_or_b32 exec_lo, exec_lo, s14
	s_delay_alu instid0(SALU_CYCLE_1)
	s_mov_b32 s14, exec_lo
	v_cmpx_gt_u32_e64 s22, v77
	s_cbranch_execnz .LBB89_104
.LBB89_82:                              ;   in Loop: Header=BB89_14 Depth=1
	s_or_b32 exec_lo, exec_lo, s14
	s_delay_alu instid0(SALU_CYCLE_1)
	s_mov_b32 s14, exec_lo
	v_cmpx_gt_u32_e64 s22, v78
	s_cbranch_execnz .LBB89_105
.LBB89_83:                              ;   in Loop: Header=BB89_14 Depth=1
	s_or_b32 exec_lo, exec_lo, s14
	s_delay_alu instid0(SALU_CYCLE_1)
	s_mov_b32 s14, exec_lo
	v_cmpx_gt_u32_e64 s22, v79
	s_cbranch_execnz .LBB89_106
.LBB89_84:                              ;   in Loop: Header=BB89_14 Depth=1
	s_or_b32 exec_lo, exec_lo, s14
	s_delay_alu instid0(SALU_CYCLE_1)
	s_mov_b32 s14, exec_lo
	v_cmpx_gt_u32_e64 s22, v80
	s_cbranch_execnz .LBB89_107
.LBB89_85:                              ;   in Loop: Header=BB89_14 Depth=1
	s_or_b32 exec_lo, exec_lo, s14
	s_delay_alu instid0(SALU_CYCLE_1)
	s_mov_b32 s14, exec_lo
	v_cmpx_gt_u32_e64 s22, v81
	s_cbranch_execnz .LBB89_108
.LBB89_86:                              ;   in Loop: Header=BB89_14 Depth=1
	s_or_b32 exec_lo, exec_lo, s14
	s_delay_alu instid0(SALU_CYCLE_1)
	s_mov_b32 s14, exec_lo
	v_cmpx_gt_u32_e64 s22, v82
	s_cbranch_execnz .LBB89_109
.LBB89_87:                              ;   in Loop: Header=BB89_14 Depth=1
	s_or_b32 exec_lo, exec_lo, s14
	s_delay_alu instid0(SALU_CYCLE_1)
	s_mov_b32 s14, exec_lo
	v_cmpx_gt_u32_e64 s22, v83
	s_cbranch_execnz .LBB89_110
.LBB89_88:                              ;   in Loop: Header=BB89_14 Depth=1
	s_or_b32 exec_lo, exec_lo, s14
	s_delay_alu instid0(SALU_CYCLE_1)
	s_mov_b32 s14, exec_lo
	v_cmpx_gt_u32_e64 s22, v84
	s_cbranch_execnz .LBB89_111
.LBB89_89:                              ;   in Loop: Header=BB89_14 Depth=1
	s_or_b32 exec_lo, exec_lo, s14
	s_delay_alu instid0(SALU_CYCLE_1)
	s_mov_b32 s14, exec_lo
	v_cmpx_gt_u32_e64 s22, v85
	s_cbranch_execz .LBB89_91
.LBB89_90:                              ;   in Loop: Header=BB89_14 Depth=1
	s_waitcnt lgkmcnt(1)
	global_store_b64 v[22:23], v[20:21], off offset:3584
.LBB89_91:                              ;   in Loop: Header=BB89_14 Depth=1
	s_or_b32 exec_lo, exec_lo, s14
	v_cmp_gt_u32_e64 s14, s22, v86
	s_branch .LBB89_93
.LBB89_92:                              ;   in Loop: Header=BB89_14 Depth=1
	ds_store_2addr_b64 v103, v[40:41], v[46:47] offset1:1
	ds_store_2addr_b64 v103, v[30:31], v[44:45] offset0:2 offset1:3
	ds_store_2addr_b64 v103, v[18:19], v[42:43] offset0:4 offset1:5
	;; [unrolled: 1-line block ×7, first 2 shown]
	; wave barrier
	ds_load_b64 v[0:1], v87
	ds_load_b64 v[2:3], v88
	;; [unrolled: 1-line block ×9, first 2 shown]
	s_waitcnt lgkmcnt(18)
	ds_load_b64 v[20:21], v96
	ds_load_b64 v[22:23], v97
	;; [unrolled: 1-line block ×6, first 2 shown]
	s_waitcnt lgkmcnt(23)
	ds_load_b64 v[6:7], v102
	v_add_co_u32 v26, vcc_lo, v36, v107
	v_add_co_ci_u32_e32 v27, vcc_lo, 0, v37, vcc_lo
	s_or_b32 s14, s14, exec_lo
	s_waitcnt lgkmcnt(15)
	global_store_b64 v[26:27], v[0:1], off
	s_waitcnt lgkmcnt(14)
	global_store_b64 v[26:27], v[2:3], off offset:256
	s_waitcnt lgkmcnt(13)
	global_store_b64 v[26:27], v[4:5], off offset:512
	;; [unrolled: 2-line block ×14, first 2 shown]
.LBB89_93:                              ;   in Loop: Header=BB89_14 Depth=1
	s_delay_alu instid0(VALU_DEP_1)
	s_and_saveexec_b32 s15, s14
	s_cbranch_execnz .LBB89_96
; %bb.94:                               ;   in Loop: Header=BB89_14 Depth=1
	s_or_b32 exec_lo, exec_lo, s15
	v_cmp_gt_i64_e64 s14, 0x1001, s[22:23]
	s_delay_alu instid0(VALU_DEP_1)
	s_and_b32 vcc_lo, exec_lo, s14
	s_cbranch_vccz .LBB89_13
	s_branch .LBB89_97
.LBB89_95:                              ;   in Loop: Header=BB89_14 Depth=1
	s_mov_b32 s14, 0
                                        ; implicit-def: $vgpr6_vgpr7
	s_cbranch_execnz .LBB89_92
	s_branch .LBB89_93
.LBB89_96:                              ;   in Loop: Header=BB89_14 Depth=1
	v_add_co_u32 v0, vcc_lo, v36, v107
	v_add_co_ci_u32_e32 v1, vcc_lo, 0, v37, vcc_lo
	s_waitcnt lgkmcnt(0)
	global_store_b64 v[0:1], v[6:7], off offset:3840
	s_or_b32 exec_lo, exec_lo, s15
	v_cmp_gt_i64_e64 s14, 0x1001, s[22:23]
	s_delay_alu instid0(VALU_DEP_1)
	s_and_b32 vcc_lo, exec_lo, s14
	s_cbranch_vccz .LBB89_13
.LBB89_97:
                                        ; implicit-def: $vgpr32
                                        ; implicit-def: $sgpr22_sgpr23
                                        ; implicit-def: $sgpr26
                                        ; implicit-def: $vgpr34_vgpr35
                                        ; implicit-def: $vgpr36_vgpr37
	s_branch .LBB89_112
.LBB89_98:                              ;   in Loop: Header=BB89_14 Depth=1
	ds_load_b64 v[109:110], v87
	s_waitcnt lgkmcnt(0)
	global_store_b64 v[22:23], v[109:110], off
	s_or_b32 exec_lo, exec_lo, s14
	s_delay_alu instid0(SALU_CYCLE_1)
	s_mov_b32 s14, exec_lo
	v_cmpx_gt_u32_e64 s22, v72
	s_cbranch_execz .LBB89_77
.LBB89_99:                              ;   in Loop: Header=BB89_14 Depth=1
	s_waitcnt lgkmcnt(14)
	global_store_b64 v[22:23], v[68:69], off offset:256
	s_or_b32 exec_lo, exec_lo, s14
	s_delay_alu instid0(SALU_CYCLE_1)
	s_mov_b32 s14, exec_lo
	v_cmpx_gt_u32_e64 s22, v73
	s_cbranch_execz .LBB89_78
.LBB89_100:                             ;   in Loop: Header=BB89_14 Depth=1
	s_waitcnt lgkmcnt(13)
	global_store_b64 v[22:23], v[66:67], off offset:512
	s_or_b32 exec_lo, exec_lo, s14
	s_delay_alu instid0(SALU_CYCLE_1)
	s_mov_b32 s14, exec_lo
	v_cmpx_gt_u32_e64 s22, v74
	s_cbranch_execz .LBB89_79
.LBB89_101:                             ;   in Loop: Header=BB89_14 Depth=1
	s_waitcnt lgkmcnt(12)
	global_store_b64 v[22:23], v[64:65], off offset:768
	s_or_b32 exec_lo, exec_lo, s14
	s_delay_alu instid0(SALU_CYCLE_1)
	s_mov_b32 s14, exec_lo
	v_cmpx_gt_u32_e64 s22, v75
	s_cbranch_execz .LBB89_80
.LBB89_102:                             ;   in Loop: Header=BB89_14 Depth=1
	s_waitcnt lgkmcnt(11)
	global_store_b64 v[22:23], v[62:63], off offset:1024
	s_or_b32 exec_lo, exec_lo, s14
	s_delay_alu instid0(SALU_CYCLE_1)
	s_mov_b32 s14, exec_lo
	v_cmpx_gt_u32_e64 s22, v76
	s_cbranch_execz .LBB89_81
.LBB89_103:                             ;   in Loop: Header=BB89_14 Depth=1
	s_waitcnt lgkmcnt(10)
	global_store_b64 v[22:23], v[60:61], off offset:1280
	s_or_b32 exec_lo, exec_lo, s14
	s_delay_alu instid0(SALU_CYCLE_1)
	s_mov_b32 s14, exec_lo
	v_cmpx_gt_u32_e64 s22, v77
	s_cbranch_execz .LBB89_82
.LBB89_104:                             ;   in Loop: Header=BB89_14 Depth=1
	s_waitcnt lgkmcnt(9)
	global_store_b64 v[22:23], v[58:59], off offset:1536
	s_or_b32 exec_lo, exec_lo, s14
	s_delay_alu instid0(SALU_CYCLE_1)
	s_mov_b32 s14, exec_lo
	v_cmpx_gt_u32_e64 s22, v78
	s_cbranch_execz .LBB89_83
.LBB89_105:                             ;   in Loop: Header=BB89_14 Depth=1
	s_waitcnt lgkmcnt(8)
	global_store_b64 v[22:23], v[56:57], off offset:1792
	s_or_b32 exec_lo, exec_lo, s14
	s_delay_alu instid0(SALU_CYCLE_1)
	s_mov_b32 s14, exec_lo
	v_cmpx_gt_u32_e64 s22, v79
	s_cbranch_execz .LBB89_84
.LBB89_106:                             ;   in Loop: Header=BB89_14 Depth=1
	s_waitcnt lgkmcnt(7)
	global_store_b64 v[22:23], v[54:55], off offset:2048
	s_or_b32 exec_lo, exec_lo, s14
	s_delay_alu instid0(SALU_CYCLE_1)
	s_mov_b32 s14, exec_lo
	v_cmpx_gt_u32_e64 s22, v80
	s_cbranch_execz .LBB89_85
.LBB89_107:                             ;   in Loop: Header=BB89_14 Depth=1
	s_waitcnt lgkmcnt(6)
	global_store_b64 v[22:23], v[52:53], off offset:2304
	s_or_b32 exec_lo, exec_lo, s14
	s_delay_alu instid0(SALU_CYCLE_1)
	s_mov_b32 s14, exec_lo
	v_cmpx_gt_u32_e64 s22, v81
	s_cbranch_execz .LBB89_86
.LBB89_108:                             ;   in Loop: Header=BB89_14 Depth=1
	s_waitcnt lgkmcnt(5)
	global_store_b64 v[22:23], v[50:51], off offset:2560
	s_or_b32 exec_lo, exec_lo, s14
	s_delay_alu instid0(SALU_CYCLE_1)
	s_mov_b32 s14, exec_lo
	v_cmpx_gt_u32_e64 s22, v82
	s_cbranch_execz .LBB89_87
.LBB89_109:                             ;   in Loop: Header=BB89_14 Depth=1
	s_waitcnt lgkmcnt(4)
	global_store_b64 v[22:23], v[48:49], off offset:2816
	s_or_b32 exec_lo, exec_lo, s14
	s_delay_alu instid0(SALU_CYCLE_1)
	s_mov_b32 s14, exec_lo
	v_cmpx_gt_u32_e64 s22, v83
	s_cbranch_execz .LBB89_88
.LBB89_110:                             ;   in Loop: Header=BB89_14 Depth=1
	s_waitcnt lgkmcnt(3)
	global_store_b64 v[22:23], v[26:27], off offset:3072
	s_or_b32 exec_lo, exec_lo, s14
	s_delay_alu instid0(SALU_CYCLE_1)
	s_mov_b32 s14, exec_lo
	v_cmpx_gt_u32_e64 s22, v84
	s_cbranch_execz .LBB89_89
.LBB89_111:                             ;   in Loop: Header=BB89_14 Depth=1
	s_waitcnt lgkmcnt(2)
	global_store_b64 v[22:23], v[24:25], off offset:3328
	s_or_b32 exec_lo, exec_lo, s14
	s_delay_alu instid0(SALU_CYCLE_1)
	s_mov_b32 s14, exec_lo
	v_cmpx_gt_u32_e64 s22, v85
	s_cbranch_execnz .LBB89_90
	s_branch .LBB89_91
.LBB89_112:
	s_nop 0
	s_sendmsg sendmsg(MSG_DEALLOC_VGPRS)
	s_endpgm
	.section	.rodata,"a",@progbits
	.p2align	6, 0x0
	.amdhsa_kernel _ZN2at4cuda3cub17final_scan_kernelILi256ELi16EN3c107complexIfEEEEvPKT1_PS6_S9_li
		.amdhsa_group_segment_fixed_size 33792
		.amdhsa_private_segment_fixed_size 0
		.amdhsa_kernarg_size 296
		.amdhsa_user_sgpr_count 15
		.amdhsa_user_sgpr_dispatch_ptr 0
		.amdhsa_user_sgpr_queue_ptr 0
		.amdhsa_user_sgpr_kernarg_segment_ptr 1
		.amdhsa_user_sgpr_dispatch_id 0
		.amdhsa_user_sgpr_private_segment_size 0
		.amdhsa_wavefront_size32 1
		.amdhsa_uses_dynamic_stack 0
		.amdhsa_enable_private_segment 0
		.amdhsa_system_sgpr_workgroup_id_x 1
		.amdhsa_system_sgpr_workgroup_id_y 0
		.amdhsa_system_sgpr_workgroup_id_z 0
		.amdhsa_system_sgpr_workgroup_info 0
		.amdhsa_system_vgpr_workitem_id 0
		.amdhsa_next_free_vgpr 111
		.amdhsa_next_free_sgpr 27
		.amdhsa_reserve_vcc 1
		.amdhsa_float_round_mode_32 0
		.amdhsa_float_round_mode_16_64 0
		.amdhsa_float_denorm_mode_32 3
		.amdhsa_float_denorm_mode_16_64 3
		.amdhsa_dx10_clamp 1
		.amdhsa_ieee_mode 1
		.amdhsa_fp16_overflow 0
		.amdhsa_workgroup_processor_mode 1
		.amdhsa_memory_ordered 1
		.amdhsa_forward_progress 0
		.amdhsa_shared_vgpr_count 0
		.amdhsa_exception_fp_ieee_invalid_op 0
		.amdhsa_exception_fp_denorm_src 0
		.amdhsa_exception_fp_ieee_div_zero 0
		.amdhsa_exception_fp_ieee_overflow 0
		.amdhsa_exception_fp_ieee_underflow 0
		.amdhsa_exception_fp_ieee_inexact 0
		.amdhsa_exception_int_div_zero 0
	.end_amdhsa_kernel
	.section	.text._ZN2at4cuda3cub17final_scan_kernelILi256ELi16EN3c107complexIfEEEEvPKT1_PS6_S9_li,"axG",@progbits,_ZN2at4cuda3cub17final_scan_kernelILi256ELi16EN3c107complexIfEEEEvPKT1_PS6_S9_li,comdat
.Lfunc_end89:
	.size	_ZN2at4cuda3cub17final_scan_kernelILi256ELi16EN3c107complexIfEEEEvPKT1_PS6_S9_li, .Lfunc_end89-_ZN2at4cuda3cub17final_scan_kernelILi256ELi16EN3c107complexIfEEEEvPKT1_PS6_S9_li
                                        ; -- End function
	.section	.AMDGPU.csdata,"",@progbits
; Kernel info:
; codeLenInByte = 5140
; NumSgprs: 29
; NumVgprs: 111
; ScratchSize: 0
; MemoryBound: 1
; FloatMode: 240
; IeeeMode: 1
; LDSByteSize: 33792 bytes/workgroup (compile time only)
; SGPRBlocks: 3
; VGPRBlocks: 13
; NumSGPRsForWavesPerEU: 29
; NumVGPRsForWavesPerEU: 111
; Occupancy: 12
; WaveLimiterHint : 1
; COMPUTE_PGM_RSRC2:SCRATCH_EN: 0
; COMPUTE_PGM_RSRC2:USER_SGPR: 15
; COMPUTE_PGM_RSRC2:TRAP_HANDLER: 0
; COMPUTE_PGM_RSRC2:TGID_X_EN: 1
; COMPUTE_PGM_RSRC2:TGID_Y_EN: 0
; COMPUTE_PGM_RSRC2:TGID_Z_EN: 0
; COMPUTE_PGM_RSRC2:TIDIG_COMP_CNT: 0
	.section	.text._ZN7rocprim17ROCPRIM_304000_NS6detail31init_lookback_scan_state_kernelINS1_19lookback_scan_stateIN3c107complexIfEELb1ELb1EEEEEvT_jjPNS8_10value_typeE,"axG",@progbits,_ZN7rocprim17ROCPRIM_304000_NS6detail31init_lookback_scan_state_kernelINS1_19lookback_scan_stateIN3c107complexIfEELb1ELb1EEEEEvT_jjPNS8_10value_typeE,comdat
	.protected	_ZN7rocprim17ROCPRIM_304000_NS6detail31init_lookback_scan_state_kernelINS1_19lookback_scan_stateIN3c107complexIfEELb1ELb1EEEEEvT_jjPNS8_10value_typeE ; -- Begin function _ZN7rocprim17ROCPRIM_304000_NS6detail31init_lookback_scan_state_kernelINS1_19lookback_scan_stateIN3c107complexIfEELb1ELb1EEEEEvT_jjPNS8_10value_typeE
	.globl	_ZN7rocprim17ROCPRIM_304000_NS6detail31init_lookback_scan_state_kernelINS1_19lookback_scan_stateIN3c107complexIfEELb1ELb1EEEEEvT_jjPNS8_10value_typeE
	.p2align	8
	.type	_ZN7rocprim17ROCPRIM_304000_NS6detail31init_lookback_scan_state_kernelINS1_19lookback_scan_stateIN3c107complexIfEELb1ELb1EEEEEvT_jjPNS8_10value_typeE,@function
_ZN7rocprim17ROCPRIM_304000_NS6detail31init_lookback_scan_state_kernelINS1_19lookback_scan_stateIN3c107complexIfEELb1ELb1EEEEEvT_jjPNS8_10value_typeE: ; @_ZN7rocprim17ROCPRIM_304000_NS6detail31init_lookback_scan_state_kernelINS1_19lookback_scan_stateIN3c107complexIfEELb1ELb1EEEEEvT_jjPNS8_10value_typeE
; %bb.0:
	s_clause 0x2
	s_load_b32 s6, s[0:1], 0x24
	s_load_b64 s[4:5], s[0:1], 0x10
	s_load_b128 s[0:3], s[0:1], 0x0
	s_waitcnt lgkmcnt(0)
	s_and_b32 s6, s6, 0xffff
	s_cmp_eq_u64 s[4:5], 0
	v_mad_u64_u32 v[1:2], null, s15, s6, v[0:1]
	s_cbranch_scc1 .LBB90_10
; %bb.1:
	s_cmp_lt_u32 s3, s2
	s_mov_b32 s7, 0
	s_cselect_b32 s6, s3, 0
	s_mov_b32 s8, exec_lo
	s_delay_alu instid0(VALU_DEP_1)
	v_cmpx_eq_u32_e64 s6, v1
	s_cbranch_execz .LBB90_9
; %bb.2:
	s_add_i32 s6, s3, 32
	s_mov_b32 s3, exec_lo
	s_lshl_b64 s[6:7], s[6:7], 4
	v_mov_b32_e32 v6, 0
	s_add_u32 s6, s0, s6
	s_addc_u32 s7, s1, s7
	s_delay_alu instid0(SALU_CYCLE_1) | instskip(SKIP_2) | instid1(VALU_DEP_1)
	v_dual_mov_b32 v2, s6 :: v_dual_mov_b32 v3, s7
	;;#ASMSTART
	global_load_dwordx4 v[2:5], v[2:3] off glc	
s_waitcnt vmcnt(0)
	;;#ASMEND
	v_and_b32_e32 v5, 0xff, v4
	v_cmpx_eq_u64_e32 0, v[5:6]
	s_cbranch_execz .LBB90_8
; %bb.3:
	v_dual_mov_b32 v8, s7 :: v_dual_mov_b32 v7, s6
	s_mov_b32 s7, 1
	s_mov_b32 s6, 0
	.p2align	6
.LBB90_4:                               ; =>This Loop Header: Depth=1
                                        ;     Child Loop BB90_5 Depth 2
	s_max_u32 s9, s7, 1
.LBB90_5:                               ;   Parent Loop BB90_4 Depth=1
                                        ; =>  This Inner Loop Header: Depth=2
	s_delay_alu instid0(SALU_CYCLE_1)
	s_add_i32 s9, s9, -1
	s_sleep 1
	s_cmp_eq_u32 s9, 0
	s_cbranch_scc0 .LBB90_5
; %bb.6:                                ;   in Loop: Header=BB90_4 Depth=1
	;;#ASMSTART
	global_load_dwordx4 v[2:5], v[7:8] off glc	
s_waitcnt vmcnt(0)
	;;#ASMEND
	v_and_b32_e32 v5, 0xff, v4
	s_cmp_lt_u32 s7, 32
	s_cselect_b32 s9, -1, 0
	s_delay_alu instid0(SALU_CYCLE_1) | instskip(NEXT) | instid1(VALU_DEP_1)
	s_cmp_lg_u32 s9, 0
	v_cmp_ne_u64_e32 vcc_lo, 0, v[5:6]
	s_addc_u32 s7, s7, 0
	s_or_b32 s6, vcc_lo, s6
	s_delay_alu instid0(SALU_CYCLE_1)
	s_and_not1_b32 exec_lo, exec_lo, s6
	s_cbranch_execnz .LBB90_4
; %bb.7:
	s_or_b32 exec_lo, exec_lo, s6
.LBB90_8:
	s_delay_alu instid0(SALU_CYCLE_1)
	s_or_b32 exec_lo, exec_lo, s3
	v_mov_b32_e32 v0, 0
	global_store_b64 v0, v[2:3], s[4:5]
.LBB90_9:
	s_or_b32 exec_lo, exec_lo, s8
.LBB90_10:
	s_delay_alu instid0(VALU_DEP_1)
	v_cmp_gt_u32_e32 vcc_lo, s2, v1
	s_and_saveexec_b32 s2, vcc_lo
	s_cbranch_execz .LBB90_12
; %bb.11:
	v_dual_mov_b32 v3, 0 :: v_dual_add_nc_u32 v2, 32, v1
	s_delay_alu instid0(VALU_DEP_1) | instskip(SKIP_2) | instid1(VALU_DEP_3)
	v_lshlrev_b64 v[5:6], 4, v[2:3]
	v_mov_b32_e32 v2, v3
	v_mov_b32_e32 v4, v3
	v_add_co_u32 v7, vcc_lo, s0, v5
	s_delay_alu instid0(VALU_DEP_4)
	v_add_co_ci_u32_e32 v8, vcc_lo, s1, v6, vcc_lo
	v_mov_b32_e32 v5, v3
	global_store_b128 v[7:8], v[2:5], off
.LBB90_12:
	s_or_b32 exec_lo, exec_lo, s2
	s_delay_alu instid0(SALU_CYCLE_1)
	s_mov_b32 s2, exec_lo
	v_cmpx_gt_u32_e32 32, v1
	s_cbranch_execz .LBB90_14
; %bb.13:
	v_dual_mov_b32 v2, 0 :: v_dual_mov_b32 v3, 0xff
	s_delay_alu instid0(VALU_DEP_1) | instskip(SKIP_1) | instid1(VALU_DEP_2)
	v_lshlrev_b64 v[4:5], 4, v[1:2]
	v_mov_b32_e32 v1, v2
	v_add_co_u32 v6, vcc_lo, s0, v4
	s_delay_alu instid0(VALU_DEP_3)
	v_add_co_ci_u32_e32 v7, vcc_lo, s1, v5, vcc_lo
	v_mov_b32_e32 v4, v2
	global_store_b128 v[6:7], v[1:4], off
.LBB90_14:
	s_nop 0
	s_sendmsg sendmsg(MSG_DEALLOC_VGPRS)
	s_endpgm
	.section	.rodata,"a",@progbits
	.p2align	6, 0x0
	.amdhsa_kernel _ZN7rocprim17ROCPRIM_304000_NS6detail31init_lookback_scan_state_kernelINS1_19lookback_scan_stateIN3c107complexIfEELb1ELb1EEEEEvT_jjPNS8_10value_typeE
		.amdhsa_group_segment_fixed_size 0
		.amdhsa_private_segment_fixed_size 0
		.amdhsa_kernarg_size 280
		.amdhsa_user_sgpr_count 15
		.amdhsa_user_sgpr_dispatch_ptr 0
		.amdhsa_user_sgpr_queue_ptr 0
		.amdhsa_user_sgpr_kernarg_segment_ptr 1
		.amdhsa_user_sgpr_dispatch_id 0
		.amdhsa_user_sgpr_private_segment_size 0
		.amdhsa_wavefront_size32 1
		.amdhsa_uses_dynamic_stack 0
		.amdhsa_enable_private_segment 0
		.amdhsa_system_sgpr_workgroup_id_x 1
		.amdhsa_system_sgpr_workgroup_id_y 0
		.amdhsa_system_sgpr_workgroup_id_z 0
		.amdhsa_system_sgpr_workgroup_info 0
		.amdhsa_system_vgpr_workitem_id 0
		.amdhsa_next_free_vgpr 9
		.amdhsa_next_free_sgpr 16
		.amdhsa_reserve_vcc 1
		.amdhsa_float_round_mode_32 0
		.amdhsa_float_round_mode_16_64 0
		.amdhsa_float_denorm_mode_32 3
		.amdhsa_float_denorm_mode_16_64 3
		.amdhsa_dx10_clamp 1
		.amdhsa_ieee_mode 1
		.amdhsa_fp16_overflow 0
		.amdhsa_workgroup_processor_mode 1
		.amdhsa_memory_ordered 1
		.amdhsa_forward_progress 0
		.amdhsa_shared_vgpr_count 0
		.amdhsa_exception_fp_ieee_invalid_op 0
		.amdhsa_exception_fp_denorm_src 0
		.amdhsa_exception_fp_ieee_div_zero 0
		.amdhsa_exception_fp_ieee_overflow 0
		.amdhsa_exception_fp_ieee_underflow 0
		.amdhsa_exception_fp_ieee_inexact 0
		.amdhsa_exception_int_div_zero 0
	.end_amdhsa_kernel
	.section	.text._ZN7rocprim17ROCPRIM_304000_NS6detail31init_lookback_scan_state_kernelINS1_19lookback_scan_stateIN3c107complexIfEELb1ELb1EEEEEvT_jjPNS8_10value_typeE,"axG",@progbits,_ZN7rocprim17ROCPRIM_304000_NS6detail31init_lookback_scan_state_kernelINS1_19lookback_scan_stateIN3c107complexIfEELb1ELb1EEEEEvT_jjPNS8_10value_typeE,comdat
.Lfunc_end90:
	.size	_ZN7rocprim17ROCPRIM_304000_NS6detail31init_lookback_scan_state_kernelINS1_19lookback_scan_stateIN3c107complexIfEELb1ELb1EEEEEvT_jjPNS8_10value_typeE, .Lfunc_end90-_ZN7rocprim17ROCPRIM_304000_NS6detail31init_lookback_scan_state_kernelINS1_19lookback_scan_stateIN3c107complexIfEELb1ELb1EEEEEvT_jjPNS8_10value_typeE
                                        ; -- End function
	.section	.AMDGPU.csdata,"",@progbits
; Kernel info:
; codeLenInByte = 496
; NumSgprs: 18
; NumVgprs: 9
; ScratchSize: 0
; MemoryBound: 0
; FloatMode: 240
; IeeeMode: 1
; LDSByteSize: 0 bytes/workgroup (compile time only)
; SGPRBlocks: 2
; VGPRBlocks: 1
; NumSGPRsForWavesPerEU: 18
; NumVGPRsForWavesPerEU: 9
; Occupancy: 16
; WaveLimiterHint : 0
; COMPUTE_PGM_RSRC2:SCRATCH_EN: 0
; COMPUTE_PGM_RSRC2:USER_SGPR: 15
; COMPUTE_PGM_RSRC2:TRAP_HANDLER: 0
; COMPUTE_PGM_RSRC2:TGID_X_EN: 1
; COMPUTE_PGM_RSRC2:TGID_Y_EN: 0
; COMPUTE_PGM_RSRC2:TGID_Z_EN: 0
; COMPUTE_PGM_RSRC2:TIDIG_COMP_CNT: 0
	.section	.text._ZN7rocprim17ROCPRIM_304000_NS6detail31init_lookback_scan_state_kernelINS1_19lookback_scan_stateIN3c107complexIfEELb0ELb1EEEEEvT_jjPNS8_10value_typeE,"axG",@progbits,_ZN7rocprim17ROCPRIM_304000_NS6detail31init_lookback_scan_state_kernelINS1_19lookback_scan_stateIN3c107complexIfEELb0ELb1EEEEEvT_jjPNS8_10value_typeE,comdat
	.protected	_ZN7rocprim17ROCPRIM_304000_NS6detail31init_lookback_scan_state_kernelINS1_19lookback_scan_stateIN3c107complexIfEELb0ELb1EEEEEvT_jjPNS8_10value_typeE ; -- Begin function _ZN7rocprim17ROCPRIM_304000_NS6detail31init_lookback_scan_state_kernelINS1_19lookback_scan_stateIN3c107complexIfEELb0ELb1EEEEEvT_jjPNS8_10value_typeE
	.globl	_ZN7rocprim17ROCPRIM_304000_NS6detail31init_lookback_scan_state_kernelINS1_19lookback_scan_stateIN3c107complexIfEELb0ELb1EEEEEvT_jjPNS8_10value_typeE
	.p2align	8
	.type	_ZN7rocprim17ROCPRIM_304000_NS6detail31init_lookback_scan_state_kernelINS1_19lookback_scan_stateIN3c107complexIfEELb0ELb1EEEEEvT_jjPNS8_10value_typeE,@function
_ZN7rocprim17ROCPRIM_304000_NS6detail31init_lookback_scan_state_kernelINS1_19lookback_scan_stateIN3c107complexIfEELb0ELb1EEEEEvT_jjPNS8_10value_typeE: ; @_ZN7rocprim17ROCPRIM_304000_NS6detail31init_lookback_scan_state_kernelINS1_19lookback_scan_stateIN3c107complexIfEELb0ELb1EEEEEvT_jjPNS8_10value_typeE
; %bb.0:
	s_clause 0x2
	s_load_b32 s6, s[0:1], 0x24
	s_load_b64 s[4:5], s[0:1], 0x10
	s_load_b128 s[0:3], s[0:1], 0x0
	s_waitcnt lgkmcnt(0)
	s_and_b32 s6, s6, 0xffff
	s_cmp_eq_u64 s[4:5], 0
	v_mad_u64_u32 v[1:2], null, s15, s6, v[0:1]
	s_cbranch_scc1 .LBB91_8
; %bb.1:
	s_cmp_lt_u32 s3, s2
	s_mov_b32 s7, 0
	s_cselect_b32 s6, s3, 0
	s_mov_b32 s8, exec_lo
	s_delay_alu instid0(VALU_DEP_1)
	v_cmpx_eq_u32_e64 s6, v1
	s_cbranch_execz .LBB91_7
; %bb.2:
	s_add_i32 s6, s3, 32
	s_mov_b32 s3, exec_lo
	s_lshl_b64 s[6:7], s[6:7], 4
	v_mov_b32_e32 v6, 0
	s_add_u32 s6, s0, s6
	s_addc_u32 s7, s1, s7
	s_delay_alu instid0(SALU_CYCLE_1) | instskip(SKIP_2) | instid1(VALU_DEP_1)
	v_dual_mov_b32 v2, s6 :: v_dual_mov_b32 v3, s7
	;;#ASMSTART
	global_load_dwordx4 v[2:5], v[2:3] off glc	
s_waitcnt vmcnt(0)
	;;#ASMEND
	v_and_b32_e32 v5, 0xff, v4
	v_cmpx_eq_u64_e32 0, v[5:6]
	s_cbranch_execz .LBB91_6
; %bb.3:
	v_dual_mov_b32 v8, s7 :: v_dual_mov_b32 v7, s6
	s_mov_b32 s6, 0
.LBB91_4:                               ; =>This Inner Loop Header: Depth=1
	;;#ASMSTART
	global_load_dwordx4 v[2:5], v[7:8] off glc	
s_waitcnt vmcnt(0)
	;;#ASMEND
	v_and_b32_e32 v5, 0xff, v4
	s_delay_alu instid0(VALU_DEP_1) | instskip(SKIP_1) | instid1(SALU_CYCLE_1)
	v_cmp_ne_u64_e32 vcc_lo, 0, v[5:6]
	s_or_b32 s6, vcc_lo, s6
	s_and_not1_b32 exec_lo, exec_lo, s6
	s_cbranch_execnz .LBB91_4
; %bb.5:
	s_or_b32 exec_lo, exec_lo, s6
.LBB91_6:
	s_delay_alu instid0(SALU_CYCLE_1)
	s_or_b32 exec_lo, exec_lo, s3
	v_mov_b32_e32 v0, 0
	global_store_b64 v0, v[2:3], s[4:5]
.LBB91_7:
	s_or_b32 exec_lo, exec_lo, s8
.LBB91_8:
	s_delay_alu instid0(VALU_DEP_1)
	v_cmp_gt_u32_e32 vcc_lo, s2, v1
	s_and_saveexec_b32 s2, vcc_lo
	s_cbranch_execz .LBB91_10
; %bb.9:
	v_dual_mov_b32 v3, 0 :: v_dual_add_nc_u32 v2, 32, v1
	s_delay_alu instid0(VALU_DEP_1) | instskip(SKIP_2) | instid1(VALU_DEP_3)
	v_lshlrev_b64 v[5:6], 4, v[2:3]
	v_mov_b32_e32 v2, v3
	v_mov_b32_e32 v4, v3
	v_add_co_u32 v7, vcc_lo, s0, v5
	s_delay_alu instid0(VALU_DEP_4)
	v_add_co_ci_u32_e32 v8, vcc_lo, s1, v6, vcc_lo
	v_mov_b32_e32 v5, v3
	global_store_b128 v[7:8], v[2:5], off
.LBB91_10:
	s_or_b32 exec_lo, exec_lo, s2
	s_delay_alu instid0(SALU_CYCLE_1)
	s_mov_b32 s2, exec_lo
	v_cmpx_gt_u32_e32 32, v1
	s_cbranch_execz .LBB91_12
; %bb.11:
	v_dual_mov_b32 v2, 0 :: v_dual_mov_b32 v3, 0xff
	s_delay_alu instid0(VALU_DEP_1) | instskip(SKIP_1) | instid1(VALU_DEP_2)
	v_lshlrev_b64 v[4:5], 4, v[1:2]
	v_mov_b32_e32 v1, v2
	v_add_co_u32 v6, vcc_lo, s0, v4
	s_delay_alu instid0(VALU_DEP_3)
	v_add_co_ci_u32_e32 v7, vcc_lo, s1, v5, vcc_lo
	v_mov_b32_e32 v4, v2
	global_store_b128 v[6:7], v[1:4], off
.LBB91_12:
	s_nop 0
	s_sendmsg sendmsg(MSG_DEALLOC_VGPRS)
	s_endpgm
	.section	.rodata,"a",@progbits
	.p2align	6, 0x0
	.amdhsa_kernel _ZN7rocprim17ROCPRIM_304000_NS6detail31init_lookback_scan_state_kernelINS1_19lookback_scan_stateIN3c107complexIfEELb0ELb1EEEEEvT_jjPNS8_10value_typeE
		.amdhsa_group_segment_fixed_size 0
		.amdhsa_private_segment_fixed_size 0
		.amdhsa_kernarg_size 280
		.amdhsa_user_sgpr_count 15
		.amdhsa_user_sgpr_dispatch_ptr 0
		.amdhsa_user_sgpr_queue_ptr 0
		.amdhsa_user_sgpr_kernarg_segment_ptr 1
		.amdhsa_user_sgpr_dispatch_id 0
		.amdhsa_user_sgpr_private_segment_size 0
		.amdhsa_wavefront_size32 1
		.amdhsa_uses_dynamic_stack 0
		.amdhsa_enable_private_segment 0
		.amdhsa_system_sgpr_workgroup_id_x 1
		.amdhsa_system_sgpr_workgroup_id_y 0
		.amdhsa_system_sgpr_workgroup_id_z 0
		.amdhsa_system_sgpr_workgroup_info 0
		.amdhsa_system_vgpr_workitem_id 0
		.amdhsa_next_free_vgpr 9
		.amdhsa_next_free_sgpr 16
		.amdhsa_reserve_vcc 1
		.amdhsa_float_round_mode_32 0
		.amdhsa_float_round_mode_16_64 0
		.amdhsa_float_denorm_mode_32 3
		.amdhsa_float_denorm_mode_16_64 3
		.amdhsa_dx10_clamp 1
		.amdhsa_ieee_mode 1
		.amdhsa_fp16_overflow 0
		.amdhsa_workgroup_processor_mode 1
		.amdhsa_memory_ordered 1
		.amdhsa_forward_progress 0
		.amdhsa_shared_vgpr_count 0
		.amdhsa_exception_fp_ieee_invalid_op 0
		.amdhsa_exception_fp_denorm_src 0
		.amdhsa_exception_fp_ieee_div_zero 0
		.amdhsa_exception_fp_ieee_overflow 0
		.amdhsa_exception_fp_ieee_underflow 0
		.amdhsa_exception_fp_ieee_inexact 0
		.amdhsa_exception_int_div_zero 0
	.end_amdhsa_kernel
	.section	.text._ZN7rocprim17ROCPRIM_304000_NS6detail31init_lookback_scan_state_kernelINS1_19lookback_scan_stateIN3c107complexIfEELb0ELb1EEEEEvT_jjPNS8_10value_typeE,"axG",@progbits,_ZN7rocprim17ROCPRIM_304000_NS6detail31init_lookback_scan_state_kernelINS1_19lookback_scan_stateIN3c107complexIfEELb0ELb1EEEEEvT_jjPNS8_10value_typeE,comdat
.Lfunc_end91:
	.size	_ZN7rocprim17ROCPRIM_304000_NS6detail31init_lookback_scan_state_kernelINS1_19lookback_scan_stateIN3c107complexIfEELb0ELb1EEEEEvT_jjPNS8_10value_typeE, .Lfunc_end91-_ZN7rocprim17ROCPRIM_304000_NS6detail31init_lookback_scan_state_kernelINS1_19lookback_scan_stateIN3c107complexIfEELb0ELb1EEEEEvT_jjPNS8_10value_typeE
                                        ; -- End function
	.section	.AMDGPU.csdata,"",@progbits
; Kernel info:
; codeLenInByte = 448
; NumSgprs: 18
; NumVgprs: 9
; ScratchSize: 0
; MemoryBound: 0
; FloatMode: 240
; IeeeMode: 1
; LDSByteSize: 0 bytes/workgroup (compile time only)
; SGPRBlocks: 2
; VGPRBlocks: 1
; NumSGPRsForWavesPerEU: 18
; NumVGPRsForWavesPerEU: 9
; Occupancy: 16
; WaveLimiterHint : 0
; COMPUTE_PGM_RSRC2:SCRATCH_EN: 0
; COMPUTE_PGM_RSRC2:USER_SGPR: 15
; COMPUTE_PGM_RSRC2:TRAP_HANDLER: 0
; COMPUTE_PGM_RSRC2:TGID_X_EN: 1
; COMPUTE_PGM_RSRC2:TGID_Y_EN: 0
; COMPUTE_PGM_RSRC2:TGID_Z_EN: 0
; COMPUTE_PGM_RSRC2:TIDIG_COMP_CNT: 0
	.section	.text._ZN7rocprim17ROCPRIM_304000_NS6detail20lookback_scan_kernelILNS1_25lookback_scan_determinismE0ELb0ENS1_19wrapped_scan_configINS0_14default_configEN3c107complexIfEEEEPKS8_PS8_St4plusIS8_ES8_S8_NS1_19lookback_scan_stateIS8_Lb1ELb1EEEEEvT2_T3_mT5_T4_T7_jPT6_SN_bb,"axG",@progbits,_ZN7rocprim17ROCPRIM_304000_NS6detail20lookback_scan_kernelILNS1_25lookback_scan_determinismE0ELb0ENS1_19wrapped_scan_configINS0_14default_configEN3c107complexIfEEEEPKS8_PS8_St4plusIS8_ES8_S8_NS1_19lookback_scan_stateIS8_Lb1ELb1EEEEEvT2_T3_mT5_T4_T7_jPT6_SN_bb,comdat
	.protected	_ZN7rocprim17ROCPRIM_304000_NS6detail20lookback_scan_kernelILNS1_25lookback_scan_determinismE0ELb0ENS1_19wrapped_scan_configINS0_14default_configEN3c107complexIfEEEEPKS8_PS8_St4plusIS8_ES8_S8_NS1_19lookback_scan_stateIS8_Lb1ELb1EEEEEvT2_T3_mT5_T4_T7_jPT6_SN_bb ; -- Begin function _ZN7rocprim17ROCPRIM_304000_NS6detail20lookback_scan_kernelILNS1_25lookback_scan_determinismE0ELb0ENS1_19wrapped_scan_configINS0_14default_configEN3c107complexIfEEEEPKS8_PS8_St4plusIS8_ES8_S8_NS1_19lookback_scan_stateIS8_Lb1ELb1EEEEEvT2_T3_mT5_T4_T7_jPT6_SN_bb
	.globl	_ZN7rocprim17ROCPRIM_304000_NS6detail20lookback_scan_kernelILNS1_25lookback_scan_determinismE0ELb0ENS1_19wrapped_scan_configINS0_14default_configEN3c107complexIfEEEEPKS8_PS8_St4plusIS8_ES8_S8_NS1_19lookback_scan_stateIS8_Lb1ELb1EEEEEvT2_T3_mT5_T4_T7_jPT6_SN_bb
	.p2align	8
	.type	_ZN7rocprim17ROCPRIM_304000_NS6detail20lookback_scan_kernelILNS1_25lookback_scan_determinismE0ELb0ENS1_19wrapped_scan_configINS0_14default_configEN3c107complexIfEEEEPKS8_PS8_St4plusIS8_ES8_S8_NS1_19lookback_scan_stateIS8_Lb1ELb1EEEEEvT2_T3_mT5_T4_T7_jPT6_SN_bb,@function
_ZN7rocprim17ROCPRIM_304000_NS6detail20lookback_scan_kernelILNS1_25lookback_scan_determinismE0ELb0ENS1_19wrapped_scan_configINS0_14default_configEN3c107complexIfEEEEPKS8_PS8_St4plusIS8_ES8_S8_NS1_19lookback_scan_stateIS8_Lb1ELb1EEEEEvT2_T3_mT5_T4_T7_jPT6_SN_bb: ; @_ZN7rocprim17ROCPRIM_304000_NS6detail20lookback_scan_kernelILNS1_25lookback_scan_determinismE0ELb0ENS1_19wrapped_scan_configINS0_14default_configEN3c107complexIfEEEEPKS8_PS8_St4plusIS8_ES8_S8_NS1_19lookback_scan_stateIS8_Lb1ELb1EEEEEvT2_T3_mT5_T4_T7_jPT6_SN_bb
; %bb.0:
	s_endpgm
	.section	.rodata,"a",@progbits
	.p2align	6, 0x0
	.amdhsa_kernel _ZN7rocprim17ROCPRIM_304000_NS6detail20lookback_scan_kernelILNS1_25lookback_scan_determinismE0ELb0ENS1_19wrapped_scan_configINS0_14default_configEN3c107complexIfEEEEPKS8_PS8_St4plusIS8_ES8_S8_NS1_19lookback_scan_stateIS8_Lb1ELb1EEEEEvT2_T3_mT5_T4_T7_jPT6_SN_bb
		.amdhsa_group_segment_fixed_size 0
		.amdhsa_private_segment_fixed_size 0
		.amdhsa_kernarg_size 76
		.amdhsa_user_sgpr_count 15
		.amdhsa_user_sgpr_dispatch_ptr 0
		.amdhsa_user_sgpr_queue_ptr 0
		.amdhsa_user_sgpr_kernarg_segment_ptr 1
		.amdhsa_user_sgpr_dispatch_id 0
		.amdhsa_user_sgpr_private_segment_size 0
		.amdhsa_wavefront_size32 1
		.amdhsa_uses_dynamic_stack 0
		.amdhsa_enable_private_segment 0
		.amdhsa_system_sgpr_workgroup_id_x 1
		.amdhsa_system_sgpr_workgroup_id_y 0
		.amdhsa_system_sgpr_workgroup_id_z 0
		.amdhsa_system_sgpr_workgroup_info 0
		.amdhsa_system_vgpr_workitem_id 0
		.amdhsa_next_free_vgpr 1
		.amdhsa_next_free_sgpr 1
		.amdhsa_reserve_vcc 0
		.amdhsa_float_round_mode_32 0
		.amdhsa_float_round_mode_16_64 0
		.amdhsa_float_denorm_mode_32 3
		.amdhsa_float_denorm_mode_16_64 3
		.amdhsa_dx10_clamp 1
		.amdhsa_ieee_mode 1
		.amdhsa_fp16_overflow 0
		.amdhsa_workgroup_processor_mode 1
		.amdhsa_memory_ordered 1
		.amdhsa_forward_progress 0
		.amdhsa_shared_vgpr_count 0
		.amdhsa_exception_fp_ieee_invalid_op 0
		.amdhsa_exception_fp_denorm_src 0
		.amdhsa_exception_fp_ieee_div_zero 0
		.amdhsa_exception_fp_ieee_overflow 0
		.amdhsa_exception_fp_ieee_underflow 0
		.amdhsa_exception_fp_ieee_inexact 0
		.amdhsa_exception_int_div_zero 0
	.end_amdhsa_kernel
	.section	.text._ZN7rocprim17ROCPRIM_304000_NS6detail20lookback_scan_kernelILNS1_25lookback_scan_determinismE0ELb0ENS1_19wrapped_scan_configINS0_14default_configEN3c107complexIfEEEEPKS8_PS8_St4plusIS8_ES8_S8_NS1_19lookback_scan_stateIS8_Lb1ELb1EEEEEvT2_T3_mT5_T4_T7_jPT6_SN_bb,"axG",@progbits,_ZN7rocprim17ROCPRIM_304000_NS6detail20lookback_scan_kernelILNS1_25lookback_scan_determinismE0ELb0ENS1_19wrapped_scan_configINS0_14default_configEN3c107complexIfEEEEPKS8_PS8_St4plusIS8_ES8_S8_NS1_19lookback_scan_stateIS8_Lb1ELb1EEEEEvT2_T3_mT5_T4_T7_jPT6_SN_bb,comdat
.Lfunc_end92:
	.size	_ZN7rocprim17ROCPRIM_304000_NS6detail20lookback_scan_kernelILNS1_25lookback_scan_determinismE0ELb0ENS1_19wrapped_scan_configINS0_14default_configEN3c107complexIfEEEEPKS8_PS8_St4plusIS8_ES8_S8_NS1_19lookback_scan_stateIS8_Lb1ELb1EEEEEvT2_T3_mT5_T4_T7_jPT6_SN_bb, .Lfunc_end92-_ZN7rocprim17ROCPRIM_304000_NS6detail20lookback_scan_kernelILNS1_25lookback_scan_determinismE0ELb0ENS1_19wrapped_scan_configINS0_14default_configEN3c107complexIfEEEEPKS8_PS8_St4plusIS8_ES8_S8_NS1_19lookback_scan_stateIS8_Lb1ELb1EEEEEvT2_T3_mT5_T4_T7_jPT6_SN_bb
                                        ; -- End function
	.section	.AMDGPU.csdata,"",@progbits
; Kernel info:
; codeLenInByte = 4
; NumSgprs: 0
; NumVgprs: 0
; ScratchSize: 0
; MemoryBound: 0
; FloatMode: 240
; IeeeMode: 1
; LDSByteSize: 0 bytes/workgroup (compile time only)
; SGPRBlocks: 0
; VGPRBlocks: 0
; NumSGPRsForWavesPerEU: 1
; NumVGPRsForWavesPerEU: 1
; Occupancy: 16
; WaveLimiterHint : 0
; COMPUTE_PGM_RSRC2:SCRATCH_EN: 0
; COMPUTE_PGM_RSRC2:USER_SGPR: 15
; COMPUTE_PGM_RSRC2:TRAP_HANDLER: 0
; COMPUTE_PGM_RSRC2:TGID_X_EN: 1
; COMPUTE_PGM_RSRC2:TGID_Y_EN: 0
; COMPUTE_PGM_RSRC2:TGID_Z_EN: 0
; COMPUTE_PGM_RSRC2:TIDIG_COMP_CNT: 0
	.section	.text._ZN7rocprim17ROCPRIM_304000_NS6detail20lookback_scan_kernelILNS1_25lookback_scan_determinismE0ELb0ENS1_19wrapped_scan_configINS0_14default_configEN3c107complexIfEEEEPKS8_PS8_St4plusIS8_ES8_S8_NS1_19lookback_scan_stateIS8_Lb0ELb1EEEEEvT2_T3_mT5_T4_T7_jPT6_SN_bb,"axG",@progbits,_ZN7rocprim17ROCPRIM_304000_NS6detail20lookback_scan_kernelILNS1_25lookback_scan_determinismE0ELb0ENS1_19wrapped_scan_configINS0_14default_configEN3c107complexIfEEEEPKS8_PS8_St4plusIS8_ES8_S8_NS1_19lookback_scan_stateIS8_Lb0ELb1EEEEEvT2_T3_mT5_T4_T7_jPT6_SN_bb,comdat
	.protected	_ZN7rocprim17ROCPRIM_304000_NS6detail20lookback_scan_kernelILNS1_25lookback_scan_determinismE0ELb0ENS1_19wrapped_scan_configINS0_14default_configEN3c107complexIfEEEEPKS8_PS8_St4plusIS8_ES8_S8_NS1_19lookback_scan_stateIS8_Lb0ELb1EEEEEvT2_T3_mT5_T4_T7_jPT6_SN_bb ; -- Begin function _ZN7rocprim17ROCPRIM_304000_NS6detail20lookback_scan_kernelILNS1_25lookback_scan_determinismE0ELb0ENS1_19wrapped_scan_configINS0_14default_configEN3c107complexIfEEEEPKS8_PS8_St4plusIS8_ES8_S8_NS1_19lookback_scan_stateIS8_Lb0ELb1EEEEEvT2_T3_mT5_T4_T7_jPT6_SN_bb
	.globl	_ZN7rocprim17ROCPRIM_304000_NS6detail20lookback_scan_kernelILNS1_25lookback_scan_determinismE0ELb0ENS1_19wrapped_scan_configINS0_14default_configEN3c107complexIfEEEEPKS8_PS8_St4plusIS8_ES8_S8_NS1_19lookback_scan_stateIS8_Lb0ELb1EEEEEvT2_T3_mT5_T4_T7_jPT6_SN_bb
	.p2align	8
	.type	_ZN7rocprim17ROCPRIM_304000_NS6detail20lookback_scan_kernelILNS1_25lookback_scan_determinismE0ELb0ENS1_19wrapped_scan_configINS0_14default_configEN3c107complexIfEEEEPKS8_PS8_St4plusIS8_ES8_S8_NS1_19lookback_scan_stateIS8_Lb0ELb1EEEEEvT2_T3_mT5_T4_T7_jPT6_SN_bb,@function
_ZN7rocprim17ROCPRIM_304000_NS6detail20lookback_scan_kernelILNS1_25lookback_scan_determinismE0ELb0ENS1_19wrapped_scan_configINS0_14default_configEN3c107complexIfEEEEPKS8_PS8_St4plusIS8_ES8_S8_NS1_19lookback_scan_stateIS8_Lb0ELb1EEEEEvT2_T3_mT5_T4_T7_jPT6_SN_bb: ; @_ZN7rocprim17ROCPRIM_304000_NS6detail20lookback_scan_kernelILNS1_25lookback_scan_determinismE0ELb0ENS1_19wrapped_scan_configINS0_14default_configEN3c107complexIfEEEEPKS8_PS8_St4plusIS8_ES8_S8_NS1_19lookback_scan_stateIS8_Lb0ELb1EEEEEvT2_T3_mT5_T4_T7_jPT6_SN_bb
; %bb.0:
	s_clause 0x2
	s_load_b32 s10, s[0:1], 0x30
	s_load_b64 s[2:3], s[0:1], 0x10
	s_load_b128 s[4:7], s[0:1], 0x0
	s_lshl_b32 s8, s15, 12
	s_mov_b32 s9, 0
	v_lshlrev_b32_e32 v102, 3, v0
	v_lshrrev_b32_e32 v35, 2, v0
	v_or_b32_e32 v101, 0x100, v0
	v_or_b32_e32 v100, 0x200, v0
	;; [unrolled: 1-line block ×13, first 2 shown]
	s_waitcnt lgkmcnt(0)
	s_add_i32 s10, s10, -1
	v_or_b32_e32 v88, 0xe00, v0
	s_lshl_b32 s11, s10, 12
	v_or_b32_e32 v87, 0xf00, v0
	s_sub_u32 s14, s2, s11
	s_subb_u32 s16, s3, 0
	s_cmp_lg_u32 s15, s10
	s_mov_b32 s3, -1
	s_cselect_b32 s17, -1, 0
	s_lshl_b64 s[12:13], s[8:9], 3
	s_delay_alu instid0(SALU_CYCLE_1)
	s_add_u32 s8, s4, s12
	s_addc_u32 s9, s5, s13
	s_and_b32 vcc_lo, exec_lo, s17
	s_cbranch_vccz .LBB93_2
; %bb.1:
	v_add_co_u32 v27, s2, s8, v102
	s_delay_alu instid0(VALU_DEP_1)
	v_add_co_ci_u32_e64 v28, null, s9, 0, s2
	s_clause 0x1
	global_load_b64 v[1:2], v102, s[8:9]
	global_load_b64 v[3:4], v102, s[8:9] offset:2048
	v_add_co_u32 v5, vcc_lo, 0x1000, v27
	v_add_co_ci_u32_e32 v6, vcc_lo, 0, v28, vcc_lo
	v_add_co_u32 v7, vcc_lo, v27, 0x2000
	v_add_co_ci_u32_e32 v8, vcc_lo, 0, v28, vcc_lo
	;; [unrolled: 2-line block ×10, first 2 shown]
	s_clause 0xd
	global_load_b64 v[17:18], v[7:8], off offset:-4096
	global_load_b64 v[7:8], v[7:8], off
	global_load_b64 v[19:20], v[13:14], off offset:-4096
	global_load_b64 v[13:14], v[13:14], off
	global_load_b64 v[5:6], v[5:6], off offset:2048
	global_load_b64 v[9:10], v[9:10], off offset:2048
	global_load_b64 v[11:12], v[11:12], off offset:2048
	global_load_b64 v[15:16], v[15:16], off offset:2048
	global_load_b64 v[29:30], v[23:24], off offset:-4096
	global_load_b64 v[21:22], v[21:22], off offset:2048
	global_load_b64 v[23:24], v[23:24], off
	global_load_b64 v[25:26], v[25:26], off offset:2048
	global_load_b64 v[31:32], v[27:28], off
	global_load_b64 v[27:28], v[27:28], off offset:2048
	v_lshrrev_b32_e32 v34, 2, v101
	v_lshrrev_b32_e32 v36, 2, v100
	;; [unrolled: 1-line block ×4, first 2 shown]
	v_and_b32_e32 v33, 56, v35
	v_lshrrev_b32_e32 v39, 2, v97
	v_lshrrev_b32_e32 v40, 2, v96
	v_lshrrev_b32_e32 v41, 2, v95
	v_lshrrev_b32_e32 v42, 2, v94
	v_lshrrev_b32_e32 v43, 2, v93
	v_lshrrev_b32_e32 v44, 2, v92
	v_lshrrev_b32_e32 v45, 2, v91
	v_lshrrev_b32_e32 v46, 2, v90
	v_lshrrev_b32_e32 v47, 2, v89
	v_lshrrev_b32_e32 v48, 2, v88
	v_lshrrev_b32_e32 v49, 2, v87
	v_and_b32_e32 v34, 0x78, v34
	v_and_b32_e32 v36, 0xb8, v36
	;; [unrolled: 1-line block ×4, first 2 shown]
	v_add_nc_u32_e32 v33, v33, v102
	v_and_b32_e32 v39, 0x178, v39
	v_and_b32_e32 v40, 0x1b8, v40
	;; [unrolled: 1-line block ×11, first 2 shown]
	v_add_nc_u32_e32 v34, v34, v102
	v_add_nc_u32_e32 v36, v36, v102
	;; [unrolled: 1-line block ×4, first 2 shown]
	s_mov_b32 s3, 0
	v_add_nc_u32_e32 v39, v39, v102
	v_add_nc_u32_e32 v40, v40, v102
	;; [unrolled: 1-line block ×11, first 2 shown]
	s_waitcnt vmcnt(15)
	ds_store_b64 v33, v[1:2]
	s_waitcnt vmcnt(14)
	ds_store_b64 v34, v[3:4] offset:2048
	s_waitcnt vmcnt(13)
	ds_store_b64 v36, v[17:18] offset:4096
	;; [unrolled: 2-line block ×3, first 2 shown]
	ds_store_b64 v38, v[7:8] offset:8192
	s_waitcnt vmcnt(8)
	ds_store_b64 v39, v[9:10] offset:10240
	ds_store_b64 v40, v[19:20] offset:12288
	s_waitcnt vmcnt(7)
	ds_store_b64 v41, v[11:12] offset:14336
	ds_store_b64 v42, v[13:14] offset:16384
	s_waitcnt vmcnt(6)
	ds_store_b64 v43, v[15:16] offset:18432
	s_waitcnt vmcnt(5)
	ds_store_b64 v44, v[29:30] offset:20480
	s_waitcnt vmcnt(4)
	ds_store_b64 v45, v[21:22] offset:22528
	;; [unrolled: 2-line block ×6, first 2 shown]
	s_waitcnt lgkmcnt(0)
	s_barrier
.LBB93_2:
	v_cmp_gt_u32_e64 s2, s14, v0
	s_and_not1_b32 vcc_lo, exec_lo, s3
	s_cbranch_vccnz .LBB93_36
; %bb.3:
	s_load_b64 s[4:5], s[8:9], 0x0
	v_add_co_u32 v7, s3, s8, v102
	s_delay_alu instid0(VALU_DEP_1)
	v_add_co_ci_u32_e64 v8, null, s9, 0, s3
	s_waitcnt lgkmcnt(0)
	v_dual_mov_b32 v2, s5 :: v_dual_mov_b32 v1, s4
	s_and_saveexec_b32 s3, s2
	s_cbranch_execz .LBB93_5
; %bb.4:
	global_load_b64 v[1:2], v[7:8], off
.LBB93_5:
	s_or_b32 exec_lo, exec_lo, s3
	v_dual_mov_b32 v4, s5 :: v_dual_mov_b32 v3, s4
	s_mov_b32 s2, exec_lo
	v_cmpx_gt_u32_e64 s14, v101
	s_cbranch_execz .LBB93_7
; %bb.6:
	global_load_b64 v[3:4], v[7:8], off offset:2048
.LBB93_7:
	s_or_b32 exec_lo, exec_lo, s2
	v_dual_mov_b32 v6, s5 :: v_dual_mov_b32 v5, s4
	s_mov_b32 s2, exec_lo
	v_cmpx_gt_u32_e64 s14, v100
	s_cbranch_execz .LBB93_9
; %bb.8:
	v_add_co_u32 v5, vcc_lo, 0x1000, v7
	v_add_co_ci_u32_e32 v6, vcc_lo, 0, v8, vcc_lo
	global_load_b64 v[5:6], v[5:6], off
.LBB93_9:
	s_or_b32 exec_lo, exec_lo, s2
	v_dual_mov_b32 v12, s5 :: v_dual_mov_b32 v11, s4
	s_mov_b32 s2, exec_lo
	v_cmpx_gt_u32_e64 s14, v99
	s_cbranch_execz .LBB93_11
; %bb.10:
	v_add_co_u32 v9, vcc_lo, 0x1000, v7
	v_add_co_ci_u32_e32 v10, vcc_lo, 0, v8, vcc_lo
	global_load_b64 v[11:12], v[9:10], off offset:2048
.LBB93_11:
	s_or_b32 exec_lo, exec_lo, s2
	v_dual_mov_b32 v10, s5 :: v_dual_mov_b32 v9, s4
	s_mov_b32 s2, exec_lo
	v_cmpx_gt_u32_e64 s14, v98
	s_cbranch_execz .LBB93_13
; %bb.12:
	v_add_co_u32 v9, vcc_lo, 0x2000, v7
	v_add_co_ci_u32_e32 v10, vcc_lo, 0, v8, vcc_lo
	global_load_b64 v[9:10], v[9:10], off
.LBB93_13:
	s_or_b32 exec_lo, exec_lo, s2
	v_dual_mov_b32 v14, s5 :: v_dual_mov_b32 v13, s4
	s_mov_b32 s2, exec_lo
	v_cmpx_gt_u32_e64 s14, v97
	s_cbranch_execz .LBB93_15
; %bb.14:
	v_add_co_u32 v13, vcc_lo, 0x2000, v7
	v_add_co_ci_u32_e32 v14, vcc_lo, 0, v8, vcc_lo
	global_load_b64 v[13:14], v[13:14], off offset:2048
.LBB93_15:
	;; [unrolled: 20-line block ×7, first 2 shown]
	s_or_b32 exec_lo, exec_lo, s2
	v_lshrrev_b32_e32 v7, 2, v101
	v_lshrrev_b32_e32 v8, 2, v100
	;; [unrolled: 1-line block ×3, first 2 shown]
	v_and_b32_e32 v35, 56, v35
	v_lshrrev_b32_e32 v37, 2, v98
	v_and_b32_e32 v7, 0x78, v7
	v_and_b32_e32 v8, 0xf8, v8
	;; [unrolled: 1-line block ×3, first 2 shown]
	v_lshrrev_b32_e32 v38, 2, v97
	v_add_nc_u32_e32 v35, v35, v102
	v_add_nc_u32_e32 v7, v7, v102
	v_lshrrev_b32_e32 v39, 2, v96
	v_add_nc_u32_e32 v8, v8, v102
	v_lshrrev_b32_e32 v40, 2, v95
	v_add_nc_u32_e32 v36, v36, v102
	v_and_b32_e32 v37, 0x1f8, v37
	v_and_b32_e32 v38, 0x1f8, v38
	s_waitcnt vmcnt(0)
	ds_store_b64 v35, v[1:2]
	ds_store_b64 v7, v[3:4] offset:2048
	ds_store_b64 v8, v[5:6] offset:4096
	;; [unrolled: 1-line block ×3, first 2 shown]
	v_lshrrev_b32_e32 v5, 2, v94
	v_and_b32_e32 v3, 0x1f8, v39
	v_lshrrev_b32_e32 v6, 2, v93
	v_lshrrev_b32_e32 v7, 2, v92
	v_and_b32_e32 v4, 0x1f8, v40
	v_add_nc_u32_e32 v1, v37, v102
	v_add_nc_u32_e32 v2, v38, v102
	v_and_b32_e32 v5, 0x3f8, v5
	v_add_nc_u32_e32 v3, v3, v102
	v_and_b32_e32 v6, 0x3f8, v6
	v_and_b32_e32 v7, 0x3f8, v7
	v_add_nc_u32_e32 v4, v4, v102
	ds_store_b64 v1, v[9:10] offset:8192
	ds_store_b64 v2, v[13:14] offset:10240
	;; [unrolled: 1-line block ×4, first 2 shown]
	v_lshrrev_b32_e32 v4, 2, v91
	v_add_nc_u32_e32 v1, v5, v102
	v_lshrrev_b32_e32 v5, 2, v90
	v_add_nc_u32_e32 v2, v6, v102
	v_add_nc_u32_e32 v3, v7, v102
	v_lshrrev_b32_e32 v6, 2, v89
	v_lshrrev_b32_e32 v7, 2, v88
	;; [unrolled: 1-line block ×3, first 2 shown]
	v_and_b32_e32 v4, 0x3f8, v4
	v_and_b32_e32 v5, 0x3f8, v5
	;; [unrolled: 1-line block ×5, first 2 shown]
	v_add_nc_u32_e32 v4, v4, v102
	v_add_nc_u32_e32 v5, v5, v102
	v_add_nc_u32_e32 v6, v6, v102
	v_add_nc_u32_e32 v7, v7, v102
	v_add_nc_u32_e32 v8, v8, v102
	ds_store_b64 v1, v[17:18] offset:16384
	ds_store_b64 v2, v[21:22] offset:18432
	ds_store_b64 v3, v[23:24] offset:20480
	ds_store_b64 v4, v[25:26] offset:22528
	ds_store_b64 v5, v[27:28] offset:24576
	ds_store_b64 v6, v[29:30] offset:26624
	ds_store_b64 v7, v[31:32] offset:28672
	ds_store_b64 v8, v[33:34] offset:30720
	s_waitcnt lgkmcnt(0)
	s_barrier
.LBB93_36:
	v_lshlrev_b32_e32 v1, 4, v0
	v_lshrrev_b32_e32 v104, 1, v0
	buffer_gl0_inv
	s_load_b64 s[4:5], s[0:1], 0x28
	v_lshrrev_b32_e32 v103, 5, v0
	v_cmp_gt_u32_e32 vcc_lo, 32, v0
	v_add_lshl_u32 v5, v104, v1, 3
	s_cmp_lg_u32 s15, 0
	ds_load_2addr_b64 v[1:4], v5 offset0:14 offset1:15
	ds_load_2addr_b64 v[9:12], v5 offset0:12 offset1:13
	;; [unrolled: 1-line block ×7, first 2 shown]
	ds_load_2addr_b64 v[5:8], v5 offset1:1
	s_waitcnt lgkmcnt(0)
	s_barrier
	buffer_gl0_inv
	s_cbranch_scc0 .LBB93_85
; %bb.37:
	v_dual_add_f32 v33, v7, v5 :: v_dual_add_f32 v34, v8, v6
	v_add_lshl_u32 v35, v103, v0, 3
	s_delay_alu instid0(VALU_DEP_2) | instskip(NEXT) | instid1(VALU_DEP_1)
	v_dual_add_f32 v33, v33, v29 :: v_dual_add_f32 v34, v34, v30
	v_dual_add_f32 v33, v33, v31 :: v_dual_add_f32 v34, v34, v32
	s_delay_alu instid0(VALU_DEP_1) | instskip(NEXT) | instid1(VALU_DEP_1)
	v_dual_add_f32 v33, v33, v25 :: v_dual_add_f32 v34, v34, v26
	v_dual_add_f32 v33, v33, v27 :: v_dual_add_f32 v34, v34, v28
	s_delay_alu instid0(VALU_DEP_1) | instskip(NEXT) | instid1(VALU_DEP_1)
	;; [unrolled: 3-line block ×6, first 2 shown]
	v_dual_add_f32 v33, v33, v1 :: v_dual_add_f32 v34, v34, v2
	v_dual_add_f32 v49, v3, v33 :: v_dual_add_f32 v50, v4, v34
	ds_store_b64 v35, v[49:50]
	s_waitcnt lgkmcnt(0)
	s_barrier
	buffer_gl0_inv
	s_and_saveexec_b32 s3, vcc_lo
	s_cbranch_execz .LBB93_47
; %bb.38:
	v_lshlrev_b32_e32 v33, 1, v0
	v_mbcnt_lo_u32_b32 v54, -1, 0
	s_mov_b32 s8, exec_lo
	s_delay_alu instid0(VALU_DEP_2) | instskip(NEXT) | instid1(VALU_DEP_2)
	v_and_b32_e32 v33, 0x1f8, v33
	v_and_b32_e32 v55, 15, v54
	s_delay_alu instid0(VALU_DEP_2)
	v_lshl_or_b32 v51, v0, 6, v33
	ds_load_2addr_b64 v[45:48], v51 offset1:1
	ds_load_2addr_b64 v[41:44], v51 offset0:2 offset1:3
	ds_load_2addr_b64 v[37:40], v51 offset0:4 offset1:5
	;; [unrolled: 1-line block ×3, first 2 shown]
	s_waitcnt lgkmcnt(3)
	v_dual_add_f32 v52, v45, v47 :: v_dual_add_f32 v53, v46, v48
	s_waitcnt lgkmcnt(2)
	s_delay_alu instid0(VALU_DEP_1) | instskip(NEXT) | instid1(VALU_DEP_1)
	v_add_f32_e32 v52, v52, v41
	v_dual_add_f32 v52, v52, v43 :: v_dual_add_f32 v53, v53, v42
	s_waitcnt lgkmcnt(1)
	s_delay_alu instid0(VALU_DEP_1) | instskip(NEXT) | instid1(VALU_DEP_1)
	v_dual_add_f32 v52, v52, v37 :: v_dual_add_f32 v53, v53, v44
	v_dual_add_f32 v52, v52, v39 :: v_dual_add_f32 v53, v53, v38
	s_waitcnt lgkmcnt(0)
	s_delay_alu instid0(VALU_DEP_1) | instskip(NEXT) | instid1(VALU_DEP_1)
	v_dual_add_f32 v52, v52, v33 :: v_dual_add_f32 v53, v53, v40
	v_dual_add_f32 v52, v52, v35 :: v_dual_add_f32 v53, v53, v34
	s_delay_alu instid0(VALU_DEP_1) | instskip(NEXT) | instid1(VALU_DEP_2)
	v_mov_b32_dpp v56, v52 row_shr:1 row_mask:0xf bank_mask:0xf
	v_add_f32_e32 v53, v53, v36
	s_delay_alu instid0(VALU_DEP_1)
	v_mov_b32_dpp v57, v53 row_shr:1 row_mask:0xf bank_mask:0xf
	v_cmpx_ne_u32_e32 0, v55
; %bb.39:
	s_delay_alu instid0(VALU_DEP_2)
	v_dual_add_f32 v53, v53, v57 :: v_dual_add_f32 v52, v52, v56
; %bb.40:
	s_or_b32 exec_lo, exec_lo, s8
	s_delay_alu instid0(VALU_DEP_1) | instskip(NEXT) | instid1(VALU_DEP_2)
	v_mov_b32_dpp v56, v52 row_shr:2 row_mask:0xf bank_mask:0xf
	v_mov_b32_dpp v57, v53 row_shr:2 row_mask:0xf bank_mask:0xf
	s_mov_b32 s8, exec_lo
	v_cmpx_lt_u32_e32 1, v55
; %bb.41:
	s_delay_alu instid0(VALU_DEP_2)
	v_dual_add_f32 v53, v53, v57 :: v_dual_add_f32 v52, v52, v56
; %bb.42:
	s_or_b32 exec_lo, exec_lo, s8
	s_delay_alu instid0(VALU_DEP_1) | instskip(NEXT) | instid1(VALU_DEP_2)
	v_mov_b32_dpp v56, v52 row_shr:4 row_mask:0xf bank_mask:0xf
	v_mov_b32_dpp v57, v53 row_shr:4 row_mask:0xf bank_mask:0xf
	s_mov_b32 s8, exec_lo
	v_cmpx_lt_u32_e32 3, v55
	;; [unrolled: 10-line block ×3, first 2 shown]
; %bb.45:
	s_delay_alu instid0(VALU_DEP_2)
	v_dual_add_f32 v53, v53, v57 :: v_dual_add_f32 v52, v52, v56
; %bb.46:
	s_or_b32 exec_lo, exec_lo, s8
	ds_swizzle_b32 v56, v52 offset:swizzle(BROADCAST,32,15)
	ds_swizzle_b32 v55, v53 offset:swizzle(BROADCAST,32,15)
	v_add_nc_u32_e32 v57, -1, v54
	v_and_b32_e32 v58, 16, v54
	s_waitcnt lgkmcnt(0)
	v_dual_add_f32 v56, v52, v56 :: v_dual_add_f32 v55, v53, v55
	s_delay_alu instid0(VALU_DEP_3) | instskip(NEXT) | instid1(VALU_DEP_1)
	v_cmp_gt_i32_e64 s2, 0, v57
	v_cndmask_b32_e64 v54, v57, v54, s2
	v_cmp_eq_u32_e64 s2, 0, v58
	s_delay_alu instid0(VALU_DEP_2) | instskip(NEXT) | instid1(VALU_DEP_2)
	v_lshlrev_b32_e32 v54, 2, v54
	v_cndmask_b32_e64 v52, v56, v52, s2
	v_cndmask_b32_e64 v53, v55, v53, s2
	v_cmp_eq_u32_e64 s2, 0, v0
	ds_bpermute_b32 v52, v54, v52
	s_waitcnt lgkmcnt(0)
	v_add_f32_e32 v45, v45, v52
	ds_bpermute_b32 v53, v54, v53
	v_cndmask_b32_e64 v45, v45, v49, s2
	s_delay_alu instid0(VALU_DEP_1) | instskip(NEXT) | instid1(VALU_DEP_1)
	v_add_f32_e32 v47, v47, v45
	v_add_f32_e32 v41, v41, v47
	s_delay_alu instid0(VALU_DEP_1) | instskip(SKIP_1) | instid1(VALU_DEP_1)
	v_add_f32_e32 v43, v43, v41
	s_waitcnt lgkmcnt(0)
	v_dual_add_f32 v46, v46, v53 :: v_dual_add_f32 v37, v37, v43
	s_delay_alu instid0(VALU_DEP_1) | instskip(NEXT) | instid1(VALU_DEP_1)
	v_cndmask_b32_e64 v46, v46, v50, s2
	v_dual_add_f32 v39, v39, v37 :: v_dual_add_f32 v48, v48, v46
	s_delay_alu instid0(VALU_DEP_1) | instskip(NEXT) | instid1(VALU_DEP_1)
	v_dual_add_f32 v33, v33, v39 :: v_dual_add_f32 v42, v42, v48
	v_dual_add_f32 v35, v35, v33 :: v_dual_add_f32 v44, v44, v42
	s_delay_alu instid0(VALU_DEP_1) | instskip(NEXT) | instid1(VALU_DEP_1)
	v_add_f32_e32 v38, v38, v44
	v_add_f32_e32 v40, v40, v38
	s_delay_alu instid0(VALU_DEP_1) | instskip(NEXT) | instid1(VALU_DEP_1)
	v_add_f32_e32 v34, v34, v40
	v_add_f32_e32 v36, v36, v34
	ds_store_2addr_b64 v51, v[45:46], v[47:48] offset1:1
	ds_store_2addr_b64 v51, v[41:42], v[43:44] offset0:2 offset1:3
	ds_store_2addr_b64 v51, v[37:38], v[39:40] offset0:4 offset1:5
	;; [unrolled: 1-line block ×3, first 2 shown]
.LBB93_47:
	s_or_b32 exec_lo, exec_lo, s3
	v_cmp_eq_u32_e64 s2, 0, v0
	s_mov_b32 s8, exec_lo
	s_waitcnt lgkmcnt(0)
	s_barrier
	buffer_gl0_inv
	v_cmpx_ne_u32_e32 0, v0
	s_cbranch_execz .LBB93_49
; %bb.48:
	v_add_nc_u32_e32 v33, -1, v0
	s_delay_alu instid0(VALU_DEP_1) | instskip(NEXT) | instid1(VALU_DEP_1)
	v_lshrrev_b32_e32 v34, 5, v33
	v_add_lshl_u32 v33, v34, v33, 3
	ds_load_b64 v[49:50], v33
.LBB93_49:
	s_or_b32 exec_lo, exec_lo, s8
	s_and_saveexec_b32 s10, vcc_lo
	s_cbranch_execz .LBB93_84
; %bb.50:
	v_mov_b32_e32 v36, 0
	v_mbcnt_lo_u32_b32 v41, -1, 0
	s_mov_b32 s9, 0
	ds_load_b64 v[33:34], v36 offset:2096
	v_cmp_eq_u32_e64 s3, 0, v41
	s_waitcnt lgkmcnt(0)
	v_readfirstlane_b32 s11, v34
	s_delay_alu instid0(VALU_DEP_2)
	s_and_saveexec_b32 s18, s3
	s_cbranch_execz .LBB93_52
; %bb.51:
	s_add_i32 s8, s15, 32
	s_mov_b32 s22, s9
	s_lshl_b64 s[20:21], s[8:9], 4
	s_mov_b32 s24, s9
	s_add_u32 s20, s4, s20
	s_addc_u32 s21, s5, s21
	s_and_b32 s23, s11, 0xff000000
	s_and_b32 s25, s11, 0xff0000
	v_dual_mov_b32 v38, s21 :: v_dual_mov_b32 v37, s20
	s_or_b64 s[22:23], s[24:25], s[22:23]
	s_and_b32 s25, s11, 0xff00
	v_mov_b32_e32 v35, 1
	s_or_b64 s[22:23], s[22:23], s[24:25]
	s_and_b32 s25, s11, 0xff
	s_delay_alu instid0(SALU_CYCLE_1) | instskip(NEXT) | instid1(SALU_CYCLE_1)
	s_or_b64 s[8:9], s[22:23], s[24:25]
	v_mov_b32_e32 v34, s9
	;;#ASMSTART
	global_store_dwordx4 v[37:38], v[33:36] off	
s_waitcnt vmcnt(0)
	;;#ASMEND
.LBB93_52:
	s_or_b32 exec_lo, exec_lo, s18
	v_xad_u32 v38, v41, -1, s15
	s_mov_b32 s8, exec_lo
	s_delay_alu instid0(VALU_DEP_1) | instskip(NEXT) | instid1(VALU_DEP_1)
	v_add_nc_u32_e32 v35, 32, v38
	v_lshlrev_b64 v[34:35], 4, v[35:36]
	s_delay_alu instid0(VALU_DEP_1) | instskip(NEXT) | instid1(VALU_DEP_2)
	v_add_co_u32 v39, vcc_lo, s4, v34
	v_add_co_ci_u32_e32 v40, vcc_lo, s5, v35, vcc_lo
	;;#ASMSTART
	global_load_dwordx4 v[34:37], v[39:40] off glc	
s_waitcnt vmcnt(0)
	;;#ASMEND
	v_and_b32_e32 v37, 0xff, v36
	s_delay_alu instid0(VALU_DEP_1)
	v_cmpx_eq_u16_e32 0, v37
	s_cbranch_execz .LBB93_56
; %bb.53:
	s_mov_b32 s9, 0
.LBB93_54:                              ; =>This Inner Loop Header: Depth=1
	;;#ASMSTART
	global_load_dwordx4 v[34:37], v[39:40] off glc	
s_waitcnt vmcnt(0)
	;;#ASMEND
	v_and_b32_e32 v37, 0xff, v36
	s_delay_alu instid0(VALU_DEP_1) | instskip(SKIP_1) | instid1(SALU_CYCLE_1)
	v_cmp_ne_u16_e32 vcc_lo, 0, v37
	s_or_b32 s9, vcc_lo, s9
	s_and_not1_b32 exec_lo, exec_lo, s9
	s_cbranch_execnz .LBB93_54
; %bb.55:
	s_or_b32 exec_lo, exec_lo, s9
.LBB93_56:
	s_delay_alu instid0(SALU_CYCLE_1)
	s_or_b32 exec_lo, exec_lo, s8
	v_cmp_ne_u32_e32 vcc_lo, 31, v41
	v_and_b32_e32 v39, 0xff, v36
	v_lshlrev_b32_e64 v45, v41, -1
	v_add_nc_u32_e32 v46, 1, v41
	s_mov_b32 s8, exec_lo
	v_add_co_ci_u32_e32 v37, vcc_lo, 0, v41, vcc_lo
	v_cmp_eq_u16_e32 vcc_lo, 2, v39
	s_delay_alu instid0(VALU_DEP_2) | instskip(SKIP_4) | instid1(VALU_DEP_1)
	v_lshlrev_b32_e32 v44, 2, v37
	v_and_or_b32 v37, vcc_lo, v45, 0x80000000
	ds_bpermute_b32 v40, v44, v34
	ds_bpermute_b32 v39, v44, v35
	v_ctz_i32_b32_e32 v37, v37
	v_cmpx_le_u32_e64 v46, v37
	s_cbranch_execz .LBB93_58
; %bb.57:
	s_waitcnt lgkmcnt(0)
	v_dual_add_f32 v34, v34, v40 :: v_dual_add_f32 v35, v35, v39
.LBB93_58:
	s_or_b32 exec_lo, exec_lo, s8
	v_cmp_gt_u32_e32 vcc_lo, 30, v41
	v_add_nc_u32_e32 v48, 2, v41
	s_mov_b32 s8, exec_lo
	s_waitcnt lgkmcnt(0)
	v_cndmask_b32_e64 v39, 0, 1, vcc_lo
	s_delay_alu instid0(VALU_DEP_1) | instskip(NEXT) | instid1(VALU_DEP_1)
	v_lshlrev_b32_e32 v39, 1, v39
	v_add_lshl_u32 v47, v39, v41, 2
	ds_bpermute_b32 v40, v47, v34
	ds_bpermute_b32 v39, v47, v35
	v_cmpx_le_u32_e64 v48, v37
	s_cbranch_execz .LBB93_60
; %bb.59:
	s_waitcnt lgkmcnt(0)
	v_dual_add_f32 v34, v34, v40 :: v_dual_add_f32 v35, v35, v39
.LBB93_60:
	s_or_b32 exec_lo, exec_lo, s8
	v_cmp_gt_u32_e32 vcc_lo, 28, v41
	v_add_nc_u32_e32 v52, 4, v41
	s_mov_b32 s8, exec_lo
	s_waitcnt lgkmcnt(0)
	v_cndmask_b32_e64 v39, 0, 1, vcc_lo
	s_delay_alu instid0(VALU_DEP_1) | instskip(NEXT) | instid1(VALU_DEP_1)
	v_lshlrev_b32_e32 v39, 2, v39
	v_add_lshl_u32 v51, v39, v41, 2
	ds_bpermute_b32 v40, v51, v34
	ds_bpermute_b32 v39, v51, v35
	;; [unrolled: 17-line block ×3, first 2 shown]
	v_cmpx_le_u32_e64 v54, v37
	s_cbranch_execz .LBB93_64
; %bb.63:
	s_waitcnt lgkmcnt(0)
	v_dual_add_f32 v34, v34, v40 :: v_dual_add_f32 v35, v35, v39
.LBB93_64:
	s_or_b32 exec_lo, exec_lo, s8
	v_cmp_gt_u32_e32 vcc_lo, 16, v41
	s_waitcnt lgkmcnt(0)
	v_cndmask_b32_e64 v39, 0, 1, vcc_lo
	s_delay_alu instid0(VALU_DEP_1) | instskip(NEXT) | instid1(VALU_DEP_1)
	v_lshlrev_b32_e32 v39, 4, v39
	v_add_lshl_u32 v55, v39, v41, 2
	ds_bpermute_b32 v39, v55, v34
	ds_bpermute_b32 v40, v55, v35
	s_waitcnt lgkmcnt(1)
	v_dual_add_f32 v39, v34, v39 :: v_dual_add_nc_u32 v56, 16, v41
	s_waitcnt lgkmcnt(0)
	v_add_f32_e32 v40, v35, v40
	s_delay_alu instid0(VALU_DEP_2) | instskip(NEXT) | instid1(VALU_DEP_2)
	v_cmp_gt_u32_e32 vcc_lo, v56, v37
	v_dual_cndmask_b32 v35, v40, v35 :: v_dual_cndmask_b32 v34, v39, v34
	v_mov_b32_e32 v39, 0
	s_branch .LBB93_66
.LBB93_65:                              ;   in Loop: Header=BB93_66 Depth=1
	s_or_b32 exec_lo, exec_lo, s8
	s_waitcnt lgkmcnt(0)
	ds_bpermute_b32 v42, v55, v34
	ds_bpermute_b32 v43, v55, v35
	v_cmp_gt_u32_e32 vcc_lo, v56, v37
	v_subrev_nc_u32_e32 v38, 32, v38
	s_waitcnt lgkmcnt(0)
	v_dual_add_f32 v42, v34, v42 :: v_dual_add_f32 v43, v35, v43
	s_delay_alu instid0(VALU_DEP_1) | instskip(NEXT) | instid1(VALU_DEP_1)
	v_dual_cndmask_b32 v34, v42, v34 :: v_dual_cndmask_b32 v35, v43, v35
	v_dual_add_f32 v34, v40, v34 :: v_dual_add_f32 v35, v41, v35
.LBB93_66:                              ; =>This Loop Header: Depth=1
                                        ;     Child Loop BB93_69 Depth 2
	s_delay_alu instid0(VALU_DEP_1) | instskip(NEXT) | instid1(VALU_DEP_2)
	v_dual_mov_b32 v41, v35 :: v_dual_and_b32 v36, 0xff, v36
	v_mov_b32_e32 v40, v34
	s_delay_alu instid0(VALU_DEP_2) | instskip(SKIP_2) | instid1(VALU_DEP_1)
	v_cmp_ne_u16_e32 vcc_lo, 2, v36
	v_cndmask_b32_e64 v36, 0, 1, vcc_lo
	;;#ASMSTART
	;;#ASMEND
	v_cmp_ne_u32_e32 vcc_lo, 0, v36
	s_cmp_lg_u32 vcc_lo, exec_lo
	s_cbranch_scc1 .LBB93_79
; %bb.67:                               ;   in Loop: Header=BB93_66 Depth=1
	v_lshlrev_b64 v[34:35], 4, v[38:39]
	s_mov_b32 s8, exec_lo
	s_delay_alu instid0(VALU_DEP_1) | instskip(NEXT) | instid1(VALU_DEP_2)
	v_add_co_u32 v42, vcc_lo, s4, v34
	v_add_co_ci_u32_e32 v43, vcc_lo, s5, v35, vcc_lo
	;;#ASMSTART
	global_load_dwordx4 v[34:37], v[42:43] off glc	
s_waitcnt vmcnt(0)
	;;#ASMEND
	v_and_b32_e32 v37, 0xff, v36
	s_delay_alu instid0(VALU_DEP_1)
	v_cmpx_eq_u16_e32 0, v37
	s_cbranch_execz .LBB93_71
; %bb.68:                               ;   in Loop: Header=BB93_66 Depth=1
	s_mov_b32 s9, 0
.LBB93_69:                              ;   Parent Loop BB93_66 Depth=1
                                        ; =>  This Inner Loop Header: Depth=2
	;;#ASMSTART
	global_load_dwordx4 v[34:37], v[42:43] off glc	
s_waitcnt vmcnt(0)
	;;#ASMEND
	v_and_b32_e32 v37, 0xff, v36
	s_delay_alu instid0(VALU_DEP_1) | instskip(SKIP_1) | instid1(SALU_CYCLE_1)
	v_cmp_ne_u16_e32 vcc_lo, 0, v37
	s_or_b32 s9, vcc_lo, s9
	s_and_not1_b32 exec_lo, exec_lo, s9
	s_cbranch_execnz .LBB93_69
; %bb.70:                               ;   in Loop: Header=BB93_66 Depth=1
	s_or_b32 exec_lo, exec_lo, s9
.LBB93_71:                              ;   in Loop: Header=BB93_66 Depth=1
	s_delay_alu instid0(SALU_CYCLE_1)
	s_or_b32 exec_lo, exec_lo, s8
	v_and_b32_e32 v37, 0xff, v36
	ds_bpermute_b32 v42, v44, v34
	ds_bpermute_b32 v43, v44, v35
	s_mov_b32 s8, exec_lo
	v_cmp_eq_u16_e32 vcc_lo, 2, v37
	v_and_or_b32 v37, vcc_lo, v45, 0x80000000
	s_delay_alu instid0(VALU_DEP_1) | instskip(NEXT) | instid1(VALU_DEP_1)
	v_ctz_i32_b32_e32 v37, v37
	v_cmpx_le_u32_e64 v46, v37
	s_cbranch_execz .LBB93_73
; %bb.72:                               ;   in Loop: Header=BB93_66 Depth=1
	s_waitcnt lgkmcnt(0)
	v_dual_add_f32 v34, v34, v42 :: v_dual_add_f32 v35, v35, v43
.LBB93_73:                              ;   in Loop: Header=BB93_66 Depth=1
	s_or_b32 exec_lo, exec_lo, s8
	s_waitcnt lgkmcnt(0)
	ds_bpermute_b32 v43, v47, v34
	ds_bpermute_b32 v42, v47, v35
	s_mov_b32 s8, exec_lo
	v_cmpx_le_u32_e64 v48, v37
	s_cbranch_execz .LBB93_75
; %bb.74:                               ;   in Loop: Header=BB93_66 Depth=1
	s_waitcnt lgkmcnt(0)
	v_dual_add_f32 v34, v34, v43 :: v_dual_add_f32 v35, v35, v42
.LBB93_75:                              ;   in Loop: Header=BB93_66 Depth=1
	s_or_b32 exec_lo, exec_lo, s8
	s_waitcnt lgkmcnt(1)
	ds_bpermute_b32 v43, v51, v34
	s_waitcnt lgkmcnt(1)
	ds_bpermute_b32 v42, v51, v35
	s_mov_b32 s8, exec_lo
	v_cmpx_le_u32_e64 v52, v37
	s_cbranch_execz .LBB93_77
; %bb.76:                               ;   in Loop: Header=BB93_66 Depth=1
	s_waitcnt lgkmcnt(0)
	v_dual_add_f32 v34, v34, v43 :: v_dual_add_f32 v35, v35, v42
.LBB93_77:                              ;   in Loop: Header=BB93_66 Depth=1
	s_or_b32 exec_lo, exec_lo, s8
	s_waitcnt lgkmcnt(1)
	ds_bpermute_b32 v43, v53, v34
	s_waitcnt lgkmcnt(1)
	ds_bpermute_b32 v42, v53, v35
	s_mov_b32 s8, exec_lo
	v_cmpx_le_u32_e64 v54, v37
	s_cbranch_execz .LBB93_65
; %bb.78:                               ;   in Loop: Header=BB93_66 Depth=1
	s_waitcnt lgkmcnt(0)
	v_dual_add_f32 v34, v34, v43 :: v_dual_add_f32 v35, v35, v42
	s_branch .LBB93_65
.LBB93_79:                              ;   in Loop: Header=BB93_66 Depth=1
                                        ; implicit-def: $vgpr36
                                        ; implicit-def: $vgpr34
                                        ; implicit-def: $vgpr35
	s_cbranch_execz .LBB93_66
; %bb.80:
	s_and_saveexec_b32 s8, s3
	s_cbranch_execz .LBB93_82
; %bb.81:
	v_add_f32_e32 v34, s11, v41
	s_add_i32 s18, s15, 32
	s_mov_b32 s19, 0
	v_dual_add_f32 v33, v40, v33 :: v_dual_mov_b32 v36, 0
	s_lshl_b64 s[18:19], s[18:19], 4
	v_and_b32_e32 v37, 0xff0000, v34
	s_add_u32 s18, s4, s18
	s_addc_u32 s19, s5, s19
	v_and_b32_e32 v35, 0xff000000, v34
	s_delay_alu instid0(VALU_DEP_1) | instskip(SKIP_2) | instid1(VALU_DEP_1)
	v_or_b32_e32 v37, v37, v35
	v_dual_mov_b32 v35, 2 :: v_dual_and_b32 v38, 0xff00, v34
	v_and_b32_e32 v34, 0xff, v34
	v_or3_b32 v34, v37, v38, v34
	v_dual_mov_b32 v38, s19 :: v_dual_mov_b32 v37, s18
	;;#ASMSTART
	global_store_dwordx4 v[37:38], v[33:36] off	
s_waitcnt vmcnt(0)
	;;#ASMEND
.LBB93_82:
	s_or_b32 exec_lo, exec_lo, s8
	s_delay_alu instid0(SALU_CYCLE_1)
	s_and_b32 exec_lo, exec_lo, s2
	s_cbranch_execz .LBB93_84
; %bb.83:
	v_mov_b32_e32 v33, 0
	ds_store_b64 v33, v[40:41]
.LBB93_84:
	s_or_b32 exec_lo, exec_lo, s10
	s_waitcnt lgkmcnt(0)
	v_dual_mov_b32 v33, 0 :: v_dual_add_f32 v36, v6, v50
	s_barrier
	buffer_gl0_inv
	ds_load_b64 v[33:34], v33
	v_cndmask_b32_e64 v36, v36, v6, s2
	s_waitcnt lgkmcnt(0)
	s_delay_alu instid0(VALU_DEP_1) | instskip(NEXT) | instid1(VALU_DEP_1)
	v_dual_add_f32 v35, v5, v49 :: v_dual_add_f32 v56, v36, v34
	v_cndmask_b32_e64 v35, v35, v5, s2
	s_delay_alu instid0(VALU_DEP_1) | instskip(NEXT) | instid1(VALU_DEP_1)
	v_dual_add_f32 v72, v56, v8 :: v_dual_add_f32 v55, v35, v33
	v_dual_add_f32 v34, v72, v30 :: v_dual_add_f32 v71, v55, v7
	s_delay_alu instid0(VALU_DEP_1) | instskip(NEXT) | instid1(VALU_DEP_1)
	v_dual_add_f32 v74, v34, v32 :: v_dual_add_f32 v33, v71, v29
	v_dual_add_f32 v38, v74, v26 :: v_dual_add_f32 v73, v33, v31
	;; [unrolled: 3-line block ×7, first 2 shown]
	s_delay_alu instid0(VALU_DEP_1)
	v_add_f32_e32 v83, v85, v1
	s_load_b128 s[8:11], s[0:1], 0x38
	s_branch .LBB93_103
.LBB93_85:
                                        ; implicit-def: $vgpr53_vgpr54_vgpr55_vgpr56
                                        ; implicit-def: $vgpr83
                                        ; implicit-def: $vgpr85
                                        ; implicit-def: $vgpr81
                                        ; implicit-def: $vgpr79
                                        ; implicit-def: $vgpr77
                                        ; implicit-def: $vgpr75
                                        ; implicit-def: $vgpr73
                                        ; implicit-def: $vgpr71
                                        ; implicit-def: $vgpr49_vgpr50_vgpr51_vgpr52
                                        ; implicit-def: $vgpr45_vgpr46_vgpr47_vgpr48
                                        ; implicit-def: $vgpr41_vgpr42_vgpr43_vgpr44
                                        ; implicit-def: $vgpr37_vgpr38_vgpr39_vgpr40
                                        ; implicit-def: $vgpr33_vgpr34_vgpr35_vgpr36
                                        ; implicit-def: $vgpr55_vgpr56_vgpr57_vgpr58
	s_load_b128 s[8:11], s[0:1], 0x38
	s_cbranch_execz .LBB93_103
; %bb.86:
	s_load_b32 s2, s[0:1], 0x48
	v_cmp_eq_u32_e32 vcc_lo, 0, v0
	s_waitcnt lgkmcnt(0)
	s_bitcmp1_b32 s2, 0
	v_cmp_ne_u32_e64 s2, 0, v0
	s_cselect_b32 s3, -1, 0
	s_delay_alu instid0(SALU_CYCLE_1) | instskip(NEXT) | instid1(SALU_CYCLE_1)
	s_and_b32 s15, vcc_lo, s3
	s_and_saveexec_b32 s3, s15
	s_cbranch_execz .LBB93_88
; %bb.87:
	s_load_b64 s[8:9], s[8:9], 0x0
	s_waitcnt lgkmcnt(0)
	v_dual_add_f32 v5, s8, v5 :: v_dual_add_f32 v6, s9, v6
.LBB93_88:
	s_or_b32 exec_lo, exec_lo, s3
	s_delay_alu instid0(VALU_DEP_1) | instskip(SKIP_2) | instid1(VALU_DEP_2)
	v_dual_add_f32 v71, v7, v5 :: v_dual_add_f32 v72, v8, v6
	v_add_lshl_u32 v39, v103, v0, 3
	s_mov_b32 s8, exec_lo
	v_dual_add_f32 v33, v71, v29 :: v_dual_add_f32 v34, v72, v30
	s_delay_alu instid0(VALU_DEP_1) | instskip(NEXT) | instid1(VALU_DEP_1)
	v_dual_add_f32 v73, v33, v31 :: v_dual_add_f32 v74, v34, v32
	v_dual_add_f32 v37, v73, v25 :: v_dual_add_f32 v38, v74, v26
	s_delay_alu instid0(VALU_DEP_1) | instskip(NEXT) | instid1(VALU_DEP_1)
	v_dual_add_f32 v75, v37, v27 :: v_dual_add_f32 v76, v38, v28
	;; [unrolled: 3-line block ×6, first 2 shown]
	v_dual_add_f32 v83, v85, v1 :: v_dual_add_f32 v84, v86, v2
	s_delay_alu instid0(VALU_DEP_1)
	v_dual_add_f32 v35, v3, v83 :: v_dual_add_f32 v36, v4, v84
	ds_store_b64 v39, v[35:36]
	s_waitcnt lgkmcnt(0)
	s_barrier
	buffer_gl0_inv
	v_cmpx_gt_u32_e32 32, v0
	s_cbranch_execz .LBB93_98
; %bb.89:
	v_lshlrev_b32_e32 v39, 1, v0
	v_mbcnt_lo_u32_b32 v44, -1, 0
	s_mov_b32 s9, exec_lo
	s_delay_alu instid0(VALU_DEP_2) | instskip(NEXT) | instid1(VALU_DEP_2)
	v_and_b32_e32 v39, 0x1f8, v39
	v_and_b32_e32 v47, 15, v44
	s_delay_alu instid0(VALU_DEP_2)
	v_lshl_or_b32 v39, v0, 6, v39
	ds_load_2addr_b64 v[67:70], v39 offset1:1
	ds_load_2addr_b64 v[63:66], v39 offset0:2 offset1:3
	ds_load_2addr_b64 v[59:62], v39 offset0:4 offset1:5
	;; [unrolled: 1-line block ×3, first 2 shown]
	s_waitcnt lgkmcnt(3)
	v_dual_add_f32 v40, v67, v69 :: v_dual_add_f32 v43, v68, v70
	s_waitcnt lgkmcnt(2)
	s_delay_alu instid0(VALU_DEP_1) | instskip(NEXT) | instid1(VALU_DEP_1)
	v_dual_add_f32 v40, v40, v63 :: v_dual_add_f32 v43, v43, v64
	v_dual_add_f32 v40, v40, v65 :: v_dual_add_f32 v43, v43, v66
	s_waitcnt lgkmcnt(1)
	s_delay_alu instid0(VALU_DEP_1) | instskip(NEXT) | instid1(VALU_DEP_1)
	v_dual_add_f32 v40, v40, v59 :: v_dual_add_f32 v43, v43, v60
	;; [unrolled: 4-line block ×3, first 2 shown]
	v_dual_add_f32 v40, v40, v57 :: v_dual_add_f32 v43, v43, v58
	s_delay_alu instid0(VALU_DEP_1) | instskip(NEXT) | instid1(VALU_DEP_2)
	v_mov_b32_dpp v51, v40 row_shr:1 row_mask:0xf bank_mask:0xf
	v_mov_b32_dpp v48, v43 row_shr:1 row_mask:0xf bank_mask:0xf
	v_cmpx_ne_u32_e32 0, v47
; %bb.90:
	s_delay_alu instid0(VALU_DEP_2)
	v_dual_add_f32 v40, v40, v51 :: v_dual_add_f32 v43, v43, v48
; %bb.91:
	s_or_b32 exec_lo, exec_lo, s9
	s_delay_alu instid0(VALU_DEP_1) | instskip(NEXT) | instid1(VALU_DEP_2)
	v_mov_b32_dpp v51, v40 row_shr:2 row_mask:0xf bank_mask:0xf
	v_mov_b32_dpp v48, v43 row_shr:2 row_mask:0xf bank_mask:0xf
	s_mov_b32 s9, exec_lo
	v_cmpx_lt_u32_e32 1, v47
; %bb.92:
	s_delay_alu instid0(VALU_DEP_2)
	v_dual_add_f32 v40, v40, v51 :: v_dual_add_f32 v43, v43, v48
; %bb.93:
	s_or_b32 exec_lo, exec_lo, s9
	s_delay_alu instid0(VALU_DEP_1) | instskip(NEXT) | instid1(VALU_DEP_2)
	v_mov_b32_dpp v51, v40 row_shr:4 row_mask:0xf bank_mask:0xf
	v_mov_b32_dpp v48, v43 row_shr:4 row_mask:0xf bank_mask:0xf
	s_mov_b32 s9, exec_lo
	v_cmpx_lt_u32_e32 3, v47
; %bb.94:
	s_delay_alu instid0(VALU_DEP_2)
	v_dual_add_f32 v40, v40, v51 :: v_dual_add_f32 v43, v43, v48
; %bb.95:
	s_or_b32 exec_lo, exec_lo, s9
	s_delay_alu instid0(VALU_DEP_1) | instskip(NEXT) | instid1(VALU_DEP_2)
	v_mov_b32_dpp v51, v40 row_shr:8 row_mask:0xf bank_mask:0xf
	v_mov_b32_dpp v48, v43 row_shr:8 row_mask:0xf bank_mask:0xf
	s_mov_b32 s9, exec_lo
	v_cmpx_lt_u32_e32 7, v47
; %bb.96:
	s_delay_alu instid0(VALU_DEP_2)
	v_dual_add_f32 v40, v40, v51 :: v_dual_add_f32 v43, v43, v48
; %bb.97:
	s_or_b32 exec_lo, exec_lo, s9
	ds_swizzle_b32 v47, v43 offset:swizzle(BROADCAST,32,15)
	ds_swizzle_b32 v48, v40 offset:swizzle(BROADCAST,32,15)
	v_add_nc_u32_e32 v51, -1, v44
	v_and_b32_e32 v52, 16, v44
	s_delay_alu instid0(VALU_DEP_2) | instskip(NEXT) | instid1(VALU_DEP_1)
	v_cmp_gt_i32_e64 s3, 0, v51
	v_cndmask_b32_e64 v44, v51, v44, s3
	s_waitcnt lgkmcnt(1)
	s_delay_alu instid0(VALU_DEP_1) | instskip(SKIP_3) | instid1(VALU_DEP_1)
	v_dual_add_f32 v47, v43, v47 :: v_dual_lshlrev_b32 v44, 2, v44
	s_waitcnt lgkmcnt(0)
	v_add_f32_e32 v48, v40, v48
	v_cmp_eq_u32_e64 s3, 0, v52
	v_cndmask_b32_e64 v40, v48, v40, s3
	v_cndmask_b32_e64 v43, v47, v43, s3
	ds_bpermute_b32 v40, v44, v40
	ds_bpermute_b32 v43, v44, v43
	s_waitcnt lgkmcnt(1)
	v_add_f32_e32 v40, v67, v40
	s_waitcnt lgkmcnt(0)
	v_add_f32_e32 v44, v68, v43
	s_delay_alu instid0(VALU_DEP_2) | instskip(NEXT) | instid1(VALU_DEP_1)
	v_cndmask_b32_e32 v43, v40, v35, vcc_lo
	v_dual_add_f32 v47, v69, v43 :: v_dual_cndmask_b32 v44, v44, v36
	s_delay_alu instid0(VALU_DEP_1) | instskip(NEXT) | instid1(VALU_DEP_1)
	v_add_f32_e32 v51, v63, v47
	v_dual_add_f32 v63, v65, v51 :: v_dual_add_f32 v48, v70, v44
	s_delay_alu instid0(VALU_DEP_1) | instskip(NEXT) | instid1(VALU_DEP_1)
	v_dual_add_f32 v59, v59, v63 :: v_dual_add_f32 v52, v64, v48
	v_dual_add_f32 v61, v61, v59 :: v_dual_add_f32 v64, v66, v52
	s_delay_alu instid0(VALU_DEP_1) | instskip(NEXT) | instid1(VALU_DEP_1)
	v_dual_add_f32 v55, v55, v61 :: v_dual_add_f32 v60, v60, v64
	v_dual_add_f32 v57, v57, v55 :: v_dual_add_f32 v62, v62, v60
	s_delay_alu instid0(VALU_DEP_1) | instskip(NEXT) | instid1(VALU_DEP_1)
	v_add_f32_e32 v56, v56, v62
	v_add_f32_e32 v58, v58, v56
	ds_store_2addr_b64 v39, v[43:44], v[47:48] offset1:1
	ds_store_2addr_b64 v39, v[51:52], v[63:64] offset0:2 offset1:3
	ds_store_2addr_b64 v39, v[59:60], v[61:62] offset0:4 offset1:5
	;; [unrolled: 1-line block ×3, first 2 shown]
.LBB93_98:
	s_or_b32 exec_lo, exec_lo, s8
	s_waitcnt lgkmcnt(0)
	s_barrier
	buffer_gl0_inv
	s_and_saveexec_b32 s3, s2
	s_cbranch_execnz .LBB93_179
; %bb.99:
	s_or_b32 exec_lo, exec_lo, s3
	s_and_saveexec_b32 s3, s2
	s_cbranch_execnz .LBB93_180
.LBB93_100:
	s_or_b32 exec_lo, exec_lo, s3
	s_and_saveexec_b32 s2, vcc_lo
	s_cbranch_execz .LBB93_102
.LBB93_101:
	v_dual_mov_b32 v10, 0 :: v_dual_mov_b32 v9, 2
	s_mov_b32 s8, 0
	s_add_u32 s4, s4, 0x200
	s_addc_u32 s5, s5, 0
	ds_load_b64 v[7:8], v10 offset:2096
	s_mov_b32 s18, s8
	v_dual_mov_b32 v1, s4 :: v_dual_mov_b32 v2, s5
	s_waitcnt lgkmcnt(0)
	v_readfirstlane_b32 s3, v8
	s_delay_alu instid0(VALU_DEP_1) | instskip(SKIP_1) | instid1(SALU_CYCLE_1)
	s_and_b32 s9, s3, 0xff000000
	s_and_b32 s19, s3, 0xff0000
	s_or_b64 s[18:19], s[18:19], s[8:9]
	s_and_b32 s9, s3, 0xff00
	s_delay_alu instid0(SALU_CYCLE_1) | instskip(SKIP_1) | instid1(SALU_CYCLE_1)
	s_or_b64 s[18:19], s[18:19], s[8:9]
	s_and_b32 s9, s3, 0xff
	s_or_b64 s[8:9], s[18:19], s[8:9]
	s_delay_alu instid0(SALU_CYCLE_1)
	v_mov_b32_e32 v8, s9
	;;#ASMSTART
	global_store_dwordx4 v[1:2], v[7:10] off	
s_waitcnt vmcnt(0)
	;;#ASMEND
.LBB93_102:
	s_or_b32 exec_lo, exec_lo, s2
	v_dual_mov_b32 v55, v5 :: v_dual_mov_b32 v56, v6
.LBB93_103:
	s_delay_alu instid0(VALU_DEP_1)
	v_dual_add_f32 v1, v3, v83 :: v_dual_add_f32 v2, v4, v84
	v_lshlrev_b32_e32 v3, 7, v0
	s_add_u32 s2, s6, s12
	s_addc_u32 s3, s7, s13
	s_and_b32 vcc_lo, exec_lo, s17
	s_mov_b32 s4, -1
	s_waitcnt lgkmcnt(0)
	s_barrier
	buffer_gl0_inv
	s_cbranch_vccz .LBB93_105
; %bb.104:
	v_lshl_add_u32 v4, v104, 3, v3
	v_lshrrev_b32_e32 v5, 5, v100
	v_lshrrev_b32_e32 v6, 5, v99
	v_add_lshl_u32 v7, v103, v0, 3
	v_lshrrev_b32_e32 v21, 5, v93
	ds_store_2addr_b64 v4, v[55:56], v[71:72] offset1:1
	ds_store_2addr_b64 v4, v[33:34], v[73:74] offset0:2 offset1:3
	ds_store_2addr_b64 v4, v[37:38], v[75:76] offset0:4 offset1:5
	;; [unrolled: 1-line block ×7, first 2 shown]
	v_lshrrev_b32_e32 v4, 5, v101
	v_add_lshl_u32 v9, v5, v0, 3
	v_add_lshl_u32 v10, v6, v0, 3
	s_waitcnt lgkmcnt(0)
	s_barrier
	v_add_lshl_u32 v8, v4, v0, 3
	buffer_gl0_inv
	v_lshrrev_b32_e32 v22, 5, v92
	ds_load_b64 v[4:5], v7
	ds_load_b64 v[6:7], v8 offset:2048
	ds_load_b64 v[8:9], v9 offset:4096
	;; [unrolled: 1-line block ×3, first 2 shown]
	v_lshrrev_b32_e32 v12, 5, v98
	v_lshrrev_b32_e32 v20, 5, v94
	;; [unrolled: 1-line block ×5, first 2 shown]
	v_add_lshl_u32 v23, v21, v0, 3
	v_lshrrev_b32_e32 v21, 5, v91
	v_add_lshl_u32 v24, v22, v0, 3
	v_lshrrev_b32_e32 v22, 5, v90
	v_lshrrev_b32_e32 v25, 5, v89
	;; [unrolled: 1-line block ×4, first 2 shown]
	v_add_lshl_u32 v12, v12, v0, 3
	v_add_lshl_u32 v20, v20, v0, 3
	;; [unrolled: 1-line block ×10, first 2 shown]
	ds_load_b64 v[12:13], v12 offset:8192
	ds_load_b64 v[14:15], v16 offset:10240
	;; [unrolled: 1-line block ×12, first 2 shown]
	v_add_co_u32 v32, s5, s2, v102
	s_delay_alu instid0(VALU_DEP_1)
	v_add_co_ci_u32_e64 v61, null, s3, 0, s5
	s_waitcnt lgkmcnt(14)
	global_store_b64 v102, v[6:7], s[2:3] offset:2048
	v_add_co_u32 v6, vcc_lo, 0x1000, v32
	v_add_co_ci_u32_e32 v7, vcc_lo, 0, v61, vcc_lo
	v_add_co_u32 v43, vcc_lo, v32, 0x2000
	v_add_co_ci_u32_e32 v44, vcc_lo, 0, v61, vcc_lo
	;; [unrolled: 2-line block ×6, first 2 shown]
	s_waitcnt lgkmcnt(13)
	global_store_b64 v[43:44], v[8:9], off offset:-4096
	s_waitcnt lgkmcnt(11)
	global_store_b64 v[43:44], v[12:13], off
	s_waitcnt lgkmcnt(9)
	global_store_b64 v[57:58], v[16:17], off offset:-4096
	s_waitcnt lgkmcnt(7)
	s_clause 0x3
	global_store_b64 v[57:58], v[20:21], off
	global_store_b64 v[6:7], v[10:11], off offset:2048
	global_store_b64 v[47:48], v[14:15], off offset:2048
	;; [unrolled: 1-line block ×3, first 2 shown]
	s_waitcnt lgkmcnt(6)
	global_store_b64 v[59:60], v[22:23], off offset:2048
	v_add_co_u32 v6, vcc_lo, v32, 0x6000
	v_add_co_ci_u32_e32 v7, vcc_lo, 0, v61, vcc_lo
	v_add_co_u32 v8, vcc_lo, 0x5000, v32
	v_add_co_ci_u32_e32 v9, vcc_lo, 0, v61, vcc_lo
	;; [unrolled: 2-line block ×4, first 2 shown]
	s_mov_b32 s4, 0
	s_waitcnt lgkmcnt(5)
	s_clause 0x1
	global_store_b64 v[6:7], v[24:25], off offset:-4096
	global_store_b64 v102, v[4:5], s[2:3]
	s_waitcnt lgkmcnt(3)
	s_clause 0x1
	global_store_b64 v[6:7], v[28:29], off
	global_store_b64 v[8:9], v[26:27], off offset:2048
	s_waitcnt lgkmcnt(2)
	global_store_b64 v[10:11], v[30:31], off offset:2048
	s_waitcnt lgkmcnt(1)
	global_store_b64 v[12:13], v[35:36], off
	s_waitcnt lgkmcnt(0)
	global_store_b64 v[12:13], v[39:40], off offset:2048
.LBB93_105:
	s_and_not1_b32 vcc_lo, exec_lo, s4
	s_cbranch_vccnz .LBB93_178
; %bb.106:
	v_lshl_add_u32 v3, v104, 3, v3
	v_add_lshl_u32 v36, v103, v0, 3
	v_lshrrev_b32_e32 v10, 5, v98
	v_lshrrev_b32_e32 v11, 5, v97
	;; [unrolled: 1-line block ×3, first 2 shown]
	ds_store_2addr_b64 v3, v[55:56], v[71:72] offset1:1
	ds_store_2addr_b64 v3, v[33:34], v[73:74] offset0:2 offset1:3
	ds_store_2addr_b64 v3, v[37:38], v[75:76] offset0:4 offset1:5
	;; [unrolled: 1-line block ×7, first 2 shown]
	v_lshrrev_b32_e32 v1, 5, v101
	v_lshrrev_b32_e32 v2, 5, v100
	;; [unrolled: 1-line block ×4, first 2 shown]
	s_waitcnt lgkmcnt(0)
	s_waitcnt_vscnt null, 0x0
	v_add_lshl_u32 v1, v1, v0, 3
	v_add_lshl_u32 v6, v2, v0, 3
	;; [unrolled: 1-line block ×3, first 2 shown]
	s_barrier
	buffer_gl0_inv
	ds_load_b64 v[4:5], v36
	ds_load_b64 v[2:3], v1 offset:2048
	ds_load_b64 v[6:7], v6 offset:4096
	ds_load_b64 v[8:9], v8 offset:6144
	v_add_lshl_u32 v1, v10, v0, 3
	v_lshrrev_b32_e32 v18, 5, v94
	v_add_lshl_u32 v14, v11, v0, 3
	v_lshrrev_b32_e32 v19, 5, v93
	v_lshrrev_b32_e32 v20, 5, v92
	v_add_lshl_u32 v15, v12, v0, 3
	v_add_lshl_u32 v16, v13, v0, 3
	ds_load_b64 v[10:11], v1 offset:8192
	ds_load_b64 v[12:13], v14 offset:10240
	;; [unrolled: 1-line block ×4, first 2 shown]
	v_add_lshl_u32 v1, v18, v0, 3
	v_lshrrev_b32_e32 v18, 5, v91
	v_add_lshl_u32 v21, v19, v0, 3
	v_add_lshl_u32 v22, v20, v0, 3
	v_lshrrev_b32_e32 v19, 5, v90
	v_lshrrev_b32_e32 v20, 5, v89
	;; [unrolled: 1-line block ×4, first 2 shown]
	v_add_lshl_u32 v25, v18, v0, 3
	v_add_lshl_u32 v26, v19, v0, 3
	;; [unrolled: 1-line block ×5, first 2 shown]
	ds_load_b64 v[18:19], v1 offset:16384
	ds_load_b64 v[20:21], v21 offset:18432
	;; [unrolled: 1-line block ×8, first 2 shown]
	v_add_co_u32 v34, s2, s2, v102
	v_mov_b32_e32 v1, 0
	v_add_co_ci_u32_e64 v35, null, s3, 0, s2
	s_mov_b32 s2, exec_lo
	v_cmpx_gt_u32_e64 s14, v0
	s_cbranch_execnz .LBB93_181
; %bb.107:
	s_or_b32 exec_lo, exec_lo, s2
	s_delay_alu instid0(SALU_CYCLE_1)
	s_mov_b32 s2, exec_lo
	v_cmpx_gt_u32_e64 s14, v101
	s_cbranch_execnz .LBB93_182
.LBB93_108:
	s_or_b32 exec_lo, exec_lo, s2
	s_delay_alu instid0(SALU_CYCLE_1)
	s_mov_b32 s2, exec_lo
	v_cmpx_gt_u32_e64 s14, v100
	s_cbranch_execnz .LBB93_183
.LBB93_109:
	s_or_b32 exec_lo, exec_lo, s2
	s_delay_alu instid0(SALU_CYCLE_1)
	s_mov_b32 s2, exec_lo
	v_cmpx_gt_u32_e64 s14, v99
	s_cbranch_execnz .LBB93_184
.LBB93_110:
	s_or_b32 exec_lo, exec_lo, s2
	s_delay_alu instid0(SALU_CYCLE_1)
	s_mov_b32 s2, exec_lo
	v_cmpx_gt_u32_e64 s14, v98
	s_cbranch_execnz .LBB93_185
.LBB93_111:
	s_or_b32 exec_lo, exec_lo, s2
	s_delay_alu instid0(SALU_CYCLE_1)
	s_mov_b32 s2, exec_lo
	v_cmpx_gt_u32_e64 s14, v97
	s_cbranch_execnz .LBB93_186
.LBB93_112:
	s_or_b32 exec_lo, exec_lo, s2
	s_delay_alu instid0(SALU_CYCLE_1)
	s_mov_b32 s2, exec_lo
	v_cmpx_gt_u32_e64 s14, v96
	s_cbranch_execnz .LBB93_187
.LBB93_113:
	s_or_b32 exec_lo, exec_lo, s2
	s_delay_alu instid0(SALU_CYCLE_1)
	s_mov_b32 s2, exec_lo
	v_cmpx_gt_u32_e64 s14, v95
	s_cbranch_execnz .LBB93_188
.LBB93_114:
	s_or_b32 exec_lo, exec_lo, s2
	s_delay_alu instid0(SALU_CYCLE_1)
	s_mov_b32 s2, exec_lo
	v_cmpx_gt_u32_e64 s14, v94
	s_cbranch_execnz .LBB93_189
.LBB93_115:
	s_or_b32 exec_lo, exec_lo, s2
	s_delay_alu instid0(SALU_CYCLE_1)
	s_mov_b32 s2, exec_lo
	v_cmpx_gt_u32_e64 s14, v93
	s_cbranch_execnz .LBB93_190
.LBB93_116:
	s_or_b32 exec_lo, exec_lo, s2
	s_delay_alu instid0(SALU_CYCLE_1)
	s_mov_b32 s2, exec_lo
	v_cmpx_gt_u32_e64 s14, v92
	s_cbranch_execnz .LBB93_191
.LBB93_117:
	s_or_b32 exec_lo, exec_lo, s2
	s_delay_alu instid0(SALU_CYCLE_1)
	s_mov_b32 s2, exec_lo
	v_cmpx_gt_u32_e64 s14, v91
	s_cbranch_execnz .LBB93_192
.LBB93_118:
	s_or_b32 exec_lo, exec_lo, s2
	s_delay_alu instid0(SALU_CYCLE_1)
	s_mov_b32 s2, exec_lo
	v_cmpx_gt_u32_e64 s14, v90
	s_cbranch_execnz .LBB93_193
.LBB93_119:
	s_or_b32 exec_lo, exec_lo, s2
	s_delay_alu instid0(SALU_CYCLE_1)
	s_mov_b32 s2, exec_lo
	v_cmpx_gt_u32_e64 s14, v89
	s_cbranch_execnz .LBB93_194
.LBB93_120:
	s_or_b32 exec_lo, exec_lo, s2
	s_delay_alu instid0(SALU_CYCLE_1)
	s_mov_b32 s2, exec_lo
	v_cmpx_gt_u32_e64 s14, v88
	s_cbranch_execnz .LBB93_195
.LBB93_121:
	s_or_b32 exec_lo, exec_lo, s2
	s_delay_alu instid0(SALU_CYCLE_1)
	s_mov_b32 s2, exec_lo
	v_cmpx_gt_u32_e64 s14, v87
	s_cbranch_execz .LBB93_123
.LBB93_122:
	v_add_co_u32 v34, vcc_lo, 0x7000, v34
	v_add_co_ci_u32_e32 v35, vcc_lo, 0, v35, vcc_lo
	s_waitcnt lgkmcnt(0)
	global_store_b64 v[34:35], v[32:33], off offset:2048
.LBB93_123:
	s_or_b32 exec_lo, exec_lo, s2
	s_load_b32 s0, s[0:1], 0x48
	s_waitcnt lgkmcnt(0)
	s_bfe_u32 s0, s0, 0x10008
	s_delay_alu instid0(SALU_CYCLE_1)
	s_cmp_eq_u32 s0, 0
	s_cbranch_scc1 .LBB93_178
; %bb.124:
	s_add_u32 s0, s14, -1
	s_addc_u32 s1, s16, -1
	s_delay_alu instid0(SALU_CYCLE_1)
	s_lshr_b64 s[2:3], s[0:1], 4
	s_mov_b32 s1, exec_lo
	v_cmpx_eq_u64_e64 s[2:3], v[0:1]
	s_cbranch_execz .LBB93_178
; %bb.125:
	s_and_b32 s0, s0, 15
	s_mov_b32 s1, 0
	s_delay_alu instid0(SALU_CYCLE_1) | instskip(NEXT) | instid1(VALU_DEP_1)
	v_cmp_lt_i64_e64 s2, s[0:1], 8
	s_and_b32 vcc_lo, exec_lo, s2
	s_mov_b32 s2, -1
	s_cbranch_vccnz .LBB93_152
; %bb.126:
	v_cmp_lt_i64_e64 s2, s[0:1], 12
	s_delay_alu instid0(VALU_DEP_1)
	s_and_b32 vcc_lo, exec_lo, s2
	s_mov_b32 s2, -1
	s_cbranch_vccnz .LBB93_139
; %bb.127:
	v_cmp_lt_i64_e64 s2, s[0:1], 14
	s_delay_alu instid0(VALU_DEP_1)
	s_and_b32 vcc_lo, exec_lo, s2
	s_mov_b32 s2, -1
	s_cbranch_vccnz .LBB93_133
; %bb.128:
	v_cmp_gt_i64_e64 s2, s[0:1], 14
	s_delay_alu instid0(VALU_DEP_1)
	s_and_b32 vcc_lo, exec_lo, s2
	s_mov_b32 s2, -1
	s_cbranch_vccz .LBB93_130
; %bb.129:
	v_mov_b32_e32 v0, 0
	s_mov_b32 s2, 0
	global_store_b64 v0, v[32:33], s[10:11]
.LBB93_130:
	s_and_not1_b32 vcc_lo, exec_lo, s2
	s_cbranch_vccnz .LBB93_132
; %bb.131:
	v_mov_b32_e32 v0, 0
	global_store_b64 v0, v[30:31], s[10:11]
.LBB93_132:
	s_mov_b32 s2, 0
.LBB93_133:
	s_delay_alu instid0(SALU_CYCLE_1)
	s_and_not1_b32 vcc_lo, exec_lo, s2
	s_cbranch_vccnz .LBB93_138
; %bb.134:
	v_cmp_gt_i64_e64 s2, s[0:1], 12
	s_delay_alu instid0(VALU_DEP_1)
	s_and_b32 vcc_lo, exec_lo, s2
	s_mov_b32 s2, -1
	s_cbranch_vccz .LBB93_136
; %bb.135:
	v_mov_b32_e32 v0, 0
	s_mov_b32 s2, 0
	global_store_b64 v0, v[28:29], s[10:11]
.LBB93_136:
	s_and_not1_b32 vcc_lo, exec_lo, s2
	s_cbranch_vccnz .LBB93_138
; %bb.137:
	v_mov_b32_e32 v0, 0
	global_store_b64 v0, v[26:27], s[10:11]
.LBB93_138:
	s_mov_b32 s2, 0
.LBB93_139:
	s_delay_alu instid0(SALU_CYCLE_1)
	s_and_not1_b32 vcc_lo, exec_lo, s2
	s_cbranch_vccnz .LBB93_151
; %bb.140:
	v_cmp_lt_i64_e64 s2, s[0:1], 10
	s_delay_alu instid0(VALU_DEP_1)
	s_and_b32 vcc_lo, exec_lo, s2
	s_mov_b32 s2, -1
	s_cbranch_vccnz .LBB93_146
; %bb.141:
	v_cmp_gt_i64_e64 s2, s[0:1], 10
	s_delay_alu instid0(VALU_DEP_1)
	s_and_b32 vcc_lo, exec_lo, s2
	s_mov_b32 s2, -1
	s_cbranch_vccz .LBB93_143
; %bb.142:
	v_mov_b32_e32 v0, 0
	s_mov_b32 s2, 0
	global_store_b64 v0, v[24:25], s[10:11]
.LBB93_143:
	s_and_not1_b32 vcc_lo, exec_lo, s2
	s_cbranch_vccnz .LBB93_145
; %bb.144:
	v_mov_b32_e32 v0, 0
	global_store_b64 v0, v[22:23], s[10:11]
.LBB93_145:
	s_mov_b32 s2, 0
.LBB93_146:
	s_delay_alu instid0(SALU_CYCLE_1)
	s_and_not1_b32 vcc_lo, exec_lo, s2
	s_cbranch_vccnz .LBB93_151
; %bb.147:
	v_cmp_gt_i64_e64 s2, s[0:1], 8
	s_delay_alu instid0(VALU_DEP_1)
	s_and_b32 vcc_lo, exec_lo, s2
	s_mov_b32 s2, -1
	s_cbranch_vccz .LBB93_149
; %bb.148:
	v_mov_b32_e32 v0, 0
	s_mov_b32 s2, 0
	global_store_b64 v0, v[20:21], s[10:11]
.LBB93_149:
	s_and_not1_b32 vcc_lo, exec_lo, s2
	s_cbranch_vccnz .LBB93_151
; %bb.150:
	v_mov_b32_e32 v0, 0
	global_store_b64 v0, v[18:19], s[10:11]
.LBB93_151:
	s_mov_b32 s2, 0
.LBB93_152:
	s_delay_alu instid0(SALU_CYCLE_1)
	s_and_not1_b32 vcc_lo, exec_lo, s2
	s_cbranch_vccnz .LBB93_178
; %bb.153:
	v_cmp_lt_i64_e64 s2, s[0:1], 4
	s_delay_alu instid0(VALU_DEP_1)
	s_and_b32 vcc_lo, exec_lo, s2
	s_mov_b32 s2, -1
	s_cbranch_vccnz .LBB93_166
; %bb.154:
	v_cmp_lt_i64_e64 s2, s[0:1], 6
	s_delay_alu instid0(VALU_DEP_1)
	s_and_b32 vcc_lo, exec_lo, s2
	s_mov_b32 s2, -1
	s_cbranch_vccnz .LBB93_160
; %bb.155:
	v_cmp_gt_i64_e64 s2, s[0:1], 6
	s_delay_alu instid0(VALU_DEP_1)
	s_and_b32 vcc_lo, exec_lo, s2
	s_mov_b32 s2, -1
	s_cbranch_vccz .LBB93_157
; %bb.156:
	v_mov_b32_e32 v0, 0
	s_mov_b32 s2, 0
	global_store_b64 v0, v[16:17], s[10:11]
.LBB93_157:
	s_and_not1_b32 vcc_lo, exec_lo, s2
	s_cbranch_vccnz .LBB93_159
; %bb.158:
	v_mov_b32_e32 v0, 0
	global_store_b64 v0, v[14:15], s[10:11]
.LBB93_159:
	s_mov_b32 s2, 0
.LBB93_160:
	s_delay_alu instid0(SALU_CYCLE_1)
	s_and_not1_b32 vcc_lo, exec_lo, s2
	s_cbranch_vccnz .LBB93_165
; %bb.161:
	v_cmp_gt_i64_e64 s2, s[0:1], 4
	s_delay_alu instid0(VALU_DEP_1)
	s_and_b32 vcc_lo, exec_lo, s2
	s_mov_b32 s2, -1
	s_cbranch_vccz .LBB93_163
; %bb.162:
	v_mov_b32_e32 v0, 0
	s_mov_b32 s2, 0
	global_store_b64 v0, v[12:13], s[10:11]
.LBB93_163:
	s_and_not1_b32 vcc_lo, exec_lo, s2
	s_cbranch_vccnz .LBB93_165
; %bb.164:
	v_mov_b32_e32 v0, 0
	global_store_b64 v0, v[10:11], s[10:11]
.LBB93_165:
	s_mov_b32 s2, 0
.LBB93_166:
	s_delay_alu instid0(SALU_CYCLE_1)
	s_and_not1_b32 vcc_lo, exec_lo, s2
	s_cbranch_vccnz .LBB93_178
; %bb.167:
	v_cmp_lt_i64_e64 s2, s[0:1], 2
	s_delay_alu instid0(VALU_DEP_1)
	s_and_b32 vcc_lo, exec_lo, s2
	s_mov_b32 s2, -1
	s_cbranch_vccnz .LBB93_173
; %bb.168:
	v_cmp_gt_i64_e64 s2, s[0:1], 2
	s_delay_alu instid0(VALU_DEP_1)
	s_and_b32 vcc_lo, exec_lo, s2
	s_mov_b32 s2, -1
	s_cbranch_vccz .LBB93_170
; %bb.169:
	v_mov_b32_e32 v0, 0
	s_mov_b32 s2, 0
	global_store_b64 v0, v[8:9], s[10:11]
.LBB93_170:
	s_and_not1_b32 vcc_lo, exec_lo, s2
	s_cbranch_vccnz .LBB93_172
; %bb.171:
	v_mov_b32_e32 v0, 0
	global_store_b64 v0, v[6:7], s[10:11]
.LBB93_172:
	s_mov_b32 s2, 0
.LBB93_173:
	s_delay_alu instid0(SALU_CYCLE_1)
	s_and_not1_b32 vcc_lo, exec_lo, s2
	s_cbranch_vccnz .LBB93_178
; %bb.174:
	s_cmp_eq_u64 s[0:1], 1
	s_mov_b32 s0, -1
	s_cbranch_scc1 .LBB93_176
; %bb.175:
	v_mov_b32_e32 v0, 0
	s_mov_b32 s0, 0
	global_store_b64 v0, v[4:5], s[10:11]
.LBB93_176:
	s_and_not1_b32 vcc_lo, exec_lo, s0
	s_cbranch_vccnz .LBB93_178
; %bb.177:
	v_mov_b32_e32 v0, 0
	global_store_b64 v0, v[2:3], s[10:11]
.LBB93_178:
	s_nop 0
	s_sendmsg sendmsg(MSG_DEALLOC_VGPRS)
	s_endpgm
.LBB93_179:
	v_add_nc_u32_e32 v35, -1, v0
	s_delay_alu instid0(VALU_DEP_1) | instskip(NEXT) | instid1(VALU_DEP_1)
	v_lshrrev_b32_e32 v36, 5, v35
	v_add_lshl_u32 v35, v36, v35, 3
	ds_load_b64 v[35:36], v35
	s_or_b32 exec_lo, exec_lo, s3
	s_and_saveexec_b32 s3, s2
	s_cbranch_execz .LBB93_100
.LBB93_180:
	s_waitcnt lgkmcnt(0)
	v_dual_add_f32 v5, v35, v5 :: v_dual_add_f32 v6, v36, v6
	s_delay_alu instid0(VALU_DEP_1) | instskip(NEXT) | instid1(VALU_DEP_1)
	v_dual_add_f32 v71, v5, v7 :: v_dual_add_f32 v72, v6, v8
	v_dual_add_f32 v33, v71, v29 :: v_dual_add_f32 v34, v72, v30
	s_delay_alu instid0(VALU_DEP_1) | instskip(NEXT) | instid1(VALU_DEP_1)
	v_dual_add_f32 v73, v33, v31 :: v_dual_add_f32 v74, v34, v32
	;; [unrolled: 3-line block ×7, first 2 shown]
	v_dual_add_f32 v83, v85, v1 :: v_dual_add_f32 v84, v86, v2
	s_or_b32 exec_lo, exec_lo, s3
	s_and_saveexec_b32 s2, vcc_lo
	s_cbranch_execnz .LBB93_101
	s_branch .LBB93_102
.LBB93_181:
	ds_load_b64 v[36:37], v36
	s_waitcnt lgkmcnt(0)
	global_store_b64 v[34:35], v[36:37], off
	s_or_b32 exec_lo, exec_lo, s2
	s_delay_alu instid0(SALU_CYCLE_1)
	s_mov_b32 s2, exec_lo
	v_cmpx_gt_u32_e64 s14, v101
	s_cbranch_execz .LBB93_108
.LBB93_182:
	s_waitcnt lgkmcnt(14)
	global_store_b64 v[34:35], v[2:3], off offset:2048
	s_or_b32 exec_lo, exec_lo, s2
	s_delay_alu instid0(SALU_CYCLE_1)
	s_mov_b32 s2, exec_lo
	v_cmpx_gt_u32_e64 s14, v100
	s_cbranch_execz .LBB93_109
.LBB93_183:
	v_add_co_u32 v36, vcc_lo, 0x1000, v34
	v_add_co_ci_u32_e32 v37, vcc_lo, 0, v35, vcc_lo
	s_waitcnt lgkmcnt(13)
	global_store_b64 v[36:37], v[6:7], off
	s_or_b32 exec_lo, exec_lo, s2
	s_delay_alu instid0(SALU_CYCLE_1)
	s_mov_b32 s2, exec_lo
	v_cmpx_gt_u32_e64 s14, v99
	s_cbranch_execz .LBB93_110
.LBB93_184:
	v_add_co_u32 v36, vcc_lo, 0x1000, v34
	v_add_co_ci_u32_e32 v37, vcc_lo, 0, v35, vcc_lo
	s_waitcnt lgkmcnt(12)
	global_store_b64 v[36:37], v[8:9], off offset:2048
	s_or_b32 exec_lo, exec_lo, s2
	s_delay_alu instid0(SALU_CYCLE_1)
	s_mov_b32 s2, exec_lo
	v_cmpx_gt_u32_e64 s14, v98
	s_cbranch_execz .LBB93_111
.LBB93_185:
	v_add_co_u32 v36, vcc_lo, 0x2000, v34
	v_add_co_ci_u32_e32 v37, vcc_lo, 0, v35, vcc_lo
	s_waitcnt lgkmcnt(11)
	global_store_b64 v[36:37], v[10:11], off
	s_or_b32 exec_lo, exec_lo, s2
	s_delay_alu instid0(SALU_CYCLE_1)
	s_mov_b32 s2, exec_lo
	v_cmpx_gt_u32_e64 s14, v97
	s_cbranch_execz .LBB93_112
.LBB93_186:
	v_add_co_u32 v36, vcc_lo, 0x2000, v34
	v_add_co_ci_u32_e32 v37, vcc_lo, 0, v35, vcc_lo
	s_waitcnt lgkmcnt(10)
	global_store_b64 v[36:37], v[12:13], off offset:2048
	s_or_b32 exec_lo, exec_lo, s2
	s_delay_alu instid0(SALU_CYCLE_1)
	s_mov_b32 s2, exec_lo
	v_cmpx_gt_u32_e64 s14, v96
	s_cbranch_execz .LBB93_113
.LBB93_187:
	v_add_co_u32 v36, vcc_lo, 0x3000, v34
	v_add_co_ci_u32_e32 v37, vcc_lo, 0, v35, vcc_lo
	s_waitcnt lgkmcnt(9)
	global_store_b64 v[36:37], v[14:15], off
	s_or_b32 exec_lo, exec_lo, s2
	s_delay_alu instid0(SALU_CYCLE_1)
	s_mov_b32 s2, exec_lo
	v_cmpx_gt_u32_e64 s14, v95
	s_cbranch_execz .LBB93_114
.LBB93_188:
	v_add_co_u32 v36, vcc_lo, 0x3000, v34
	v_add_co_ci_u32_e32 v37, vcc_lo, 0, v35, vcc_lo
	s_waitcnt lgkmcnt(8)
	global_store_b64 v[36:37], v[16:17], off offset:2048
	s_or_b32 exec_lo, exec_lo, s2
	s_delay_alu instid0(SALU_CYCLE_1)
	s_mov_b32 s2, exec_lo
	v_cmpx_gt_u32_e64 s14, v94
	s_cbranch_execz .LBB93_115
.LBB93_189:
	v_add_co_u32 v36, vcc_lo, 0x4000, v34
	v_add_co_ci_u32_e32 v37, vcc_lo, 0, v35, vcc_lo
	s_waitcnt lgkmcnt(7)
	global_store_b64 v[36:37], v[18:19], off
	s_or_b32 exec_lo, exec_lo, s2
	s_delay_alu instid0(SALU_CYCLE_1)
	s_mov_b32 s2, exec_lo
	v_cmpx_gt_u32_e64 s14, v93
	s_cbranch_execz .LBB93_116
.LBB93_190:
	v_add_co_u32 v36, vcc_lo, 0x4000, v34
	v_add_co_ci_u32_e32 v37, vcc_lo, 0, v35, vcc_lo
	s_waitcnt lgkmcnt(6)
	global_store_b64 v[36:37], v[20:21], off offset:2048
	s_or_b32 exec_lo, exec_lo, s2
	s_delay_alu instid0(SALU_CYCLE_1)
	s_mov_b32 s2, exec_lo
	v_cmpx_gt_u32_e64 s14, v92
	s_cbranch_execz .LBB93_117
.LBB93_191:
	v_add_co_u32 v36, vcc_lo, 0x5000, v34
	v_add_co_ci_u32_e32 v37, vcc_lo, 0, v35, vcc_lo
	s_waitcnt lgkmcnt(5)
	global_store_b64 v[36:37], v[22:23], off
	s_or_b32 exec_lo, exec_lo, s2
	s_delay_alu instid0(SALU_CYCLE_1)
	s_mov_b32 s2, exec_lo
	v_cmpx_gt_u32_e64 s14, v91
	s_cbranch_execz .LBB93_118
.LBB93_192:
	v_add_co_u32 v36, vcc_lo, 0x5000, v34
	v_add_co_ci_u32_e32 v37, vcc_lo, 0, v35, vcc_lo
	s_waitcnt lgkmcnt(4)
	global_store_b64 v[36:37], v[24:25], off offset:2048
	s_or_b32 exec_lo, exec_lo, s2
	s_delay_alu instid0(SALU_CYCLE_1)
	s_mov_b32 s2, exec_lo
	v_cmpx_gt_u32_e64 s14, v90
	s_cbranch_execz .LBB93_119
.LBB93_193:
	v_add_co_u32 v36, vcc_lo, 0x6000, v34
	v_add_co_ci_u32_e32 v37, vcc_lo, 0, v35, vcc_lo
	s_waitcnt lgkmcnt(3)
	global_store_b64 v[36:37], v[26:27], off
	s_or_b32 exec_lo, exec_lo, s2
	s_delay_alu instid0(SALU_CYCLE_1)
	s_mov_b32 s2, exec_lo
	v_cmpx_gt_u32_e64 s14, v89
	s_cbranch_execz .LBB93_120
.LBB93_194:
	v_add_co_u32 v36, vcc_lo, 0x6000, v34
	v_add_co_ci_u32_e32 v37, vcc_lo, 0, v35, vcc_lo
	s_waitcnt lgkmcnt(2)
	global_store_b64 v[36:37], v[28:29], off offset:2048
	s_or_b32 exec_lo, exec_lo, s2
	s_delay_alu instid0(SALU_CYCLE_1)
	s_mov_b32 s2, exec_lo
	v_cmpx_gt_u32_e64 s14, v88
	s_cbranch_execz .LBB93_121
.LBB93_195:
	v_add_co_u32 v36, vcc_lo, 0x7000, v34
	v_add_co_ci_u32_e32 v37, vcc_lo, 0, v35, vcc_lo
	s_waitcnt lgkmcnt(1)
	global_store_b64 v[36:37], v[30:31], off
	s_or_b32 exec_lo, exec_lo, s2
	s_delay_alu instid0(SALU_CYCLE_1)
	s_mov_b32 s2, exec_lo
	v_cmpx_gt_u32_e64 s14, v87
	s_cbranch_execnz .LBB93_122
	s_branch .LBB93_123
	.section	.rodata,"a",@progbits
	.p2align	6, 0x0
	.amdhsa_kernel _ZN7rocprim17ROCPRIM_304000_NS6detail20lookback_scan_kernelILNS1_25lookback_scan_determinismE0ELb0ENS1_19wrapped_scan_configINS0_14default_configEN3c107complexIfEEEEPKS8_PS8_St4plusIS8_ES8_S8_NS1_19lookback_scan_stateIS8_Lb0ELb1EEEEEvT2_T3_mT5_T4_T7_jPT6_SN_bb
		.amdhsa_group_segment_fixed_size 33792
		.amdhsa_private_segment_fixed_size 0
		.amdhsa_kernarg_size 76
		.amdhsa_user_sgpr_count 15
		.amdhsa_user_sgpr_dispatch_ptr 0
		.amdhsa_user_sgpr_queue_ptr 0
		.amdhsa_user_sgpr_kernarg_segment_ptr 1
		.amdhsa_user_sgpr_dispatch_id 0
		.amdhsa_user_sgpr_private_segment_size 0
		.amdhsa_wavefront_size32 1
		.amdhsa_uses_dynamic_stack 0
		.amdhsa_enable_private_segment 0
		.amdhsa_system_sgpr_workgroup_id_x 1
		.amdhsa_system_sgpr_workgroup_id_y 0
		.amdhsa_system_sgpr_workgroup_id_z 0
		.amdhsa_system_sgpr_workgroup_info 0
		.amdhsa_system_vgpr_workitem_id 0
		.amdhsa_next_free_vgpr 105
		.amdhsa_next_free_sgpr 26
		.amdhsa_reserve_vcc 1
		.amdhsa_float_round_mode_32 0
		.amdhsa_float_round_mode_16_64 0
		.amdhsa_float_denorm_mode_32 3
		.amdhsa_float_denorm_mode_16_64 3
		.amdhsa_dx10_clamp 1
		.amdhsa_ieee_mode 1
		.amdhsa_fp16_overflow 0
		.amdhsa_workgroup_processor_mode 1
		.amdhsa_memory_ordered 1
		.amdhsa_forward_progress 0
		.amdhsa_shared_vgpr_count 0
		.amdhsa_exception_fp_ieee_invalid_op 0
		.amdhsa_exception_fp_denorm_src 0
		.amdhsa_exception_fp_ieee_div_zero 0
		.amdhsa_exception_fp_ieee_overflow 0
		.amdhsa_exception_fp_ieee_underflow 0
		.amdhsa_exception_fp_ieee_inexact 0
		.amdhsa_exception_int_div_zero 0
	.end_amdhsa_kernel
	.section	.text._ZN7rocprim17ROCPRIM_304000_NS6detail20lookback_scan_kernelILNS1_25lookback_scan_determinismE0ELb0ENS1_19wrapped_scan_configINS0_14default_configEN3c107complexIfEEEEPKS8_PS8_St4plusIS8_ES8_S8_NS1_19lookback_scan_stateIS8_Lb0ELb1EEEEEvT2_T3_mT5_T4_T7_jPT6_SN_bb,"axG",@progbits,_ZN7rocprim17ROCPRIM_304000_NS6detail20lookback_scan_kernelILNS1_25lookback_scan_determinismE0ELb0ENS1_19wrapped_scan_configINS0_14default_configEN3c107complexIfEEEEPKS8_PS8_St4plusIS8_ES8_S8_NS1_19lookback_scan_stateIS8_Lb0ELb1EEEEEvT2_T3_mT5_T4_T7_jPT6_SN_bb,comdat
.Lfunc_end93:
	.size	_ZN7rocprim17ROCPRIM_304000_NS6detail20lookback_scan_kernelILNS1_25lookback_scan_determinismE0ELb0ENS1_19wrapped_scan_configINS0_14default_configEN3c107complexIfEEEEPKS8_PS8_St4plusIS8_ES8_S8_NS1_19lookback_scan_stateIS8_Lb0ELb1EEEEEvT2_T3_mT5_T4_T7_jPT6_SN_bb, .Lfunc_end93-_ZN7rocprim17ROCPRIM_304000_NS6detail20lookback_scan_kernelILNS1_25lookback_scan_determinismE0ELb0ENS1_19wrapped_scan_configINS0_14default_configEN3c107complexIfEEEEPKS8_PS8_St4plusIS8_ES8_S8_NS1_19lookback_scan_stateIS8_Lb0ELb1EEEEEvT2_T3_mT5_T4_T7_jPT6_SN_bb
                                        ; -- End function
	.section	.AMDGPU.csdata,"",@progbits
; Kernel info:
; codeLenInByte = 9476
; NumSgprs: 28
; NumVgprs: 105
; ScratchSize: 0
; MemoryBound: 0
; FloatMode: 240
; IeeeMode: 1
; LDSByteSize: 33792 bytes/workgroup (compile time only)
; SGPRBlocks: 3
; VGPRBlocks: 13
; NumSGPRsForWavesPerEU: 28
; NumVGPRsForWavesPerEU: 105
; Occupancy: 6
; WaveLimiterHint : 1
; COMPUTE_PGM_RSRC2:SCRATCH_EN: 0
; COMPUTE_PGM_RSRC2:USER_SGPR: 15
; COMPUTE_PGM_RSRC2:TRAP_HANDLER: 0
; COMPUTE_PGM_RSRC2:TGID_X_EN: 1
; COMPUTE_PGM_RSRC2:TGID_Y_EN: 0
; COMPUTE_PGM_RSRC2:TGID_Z_EN: 0
; COMPUTE_PGM_RSRC2:TIDIG_COMP_CNT: 0
	.section	.text._ZN7rocprim17ROCPRIM_304000_NS6detail16transform_kernelINS1_24wrapped_transform_configINS0_14default_configEN3c107complexIfEEEES7_PS7_S9_NS0_8identityIS7_EEEEvT1_mT2_T3_,"axG",@progbits,_ZN7rocprim17ROCPRIM_304000_NS6detail16transform_kernelINS1_24wrapped_transform_configINS0_14default_configEN3c107complexIfEEEES7_PS7_S9_NS0_8identityIS7_EEEEvT1_mT2_T3_,comdat
	.protected	_ZN7rocprim17ROCPRIM_304000_NS6detail16transform_kernelINS1_24wrapped_transform_configINS0_14default_configEN3c107complexIfEEEES7_PS7_S9_NS0_8identityIS7_EEEEvT1_mT2_T3_ ; -- Begin function _ZN7rocprim17ROCPRIM_304000_NS6detail16transform_kernelINS1_24wrapped_transform_configINS0_14default_configEN3c107complexIfEEEES7_PS7_S9_NS0_8identityIS7_EEEEvT1_mT2_T3_
	.globl	_ZN7rocprim17ROCPRIM_304000_NS6detail16transform_kernelINS1_24wrapped_transform_configINS0_14default_configEN3c107complexIfEEEES7_PS7_S9_NS0_8identityIS7_EEEEvT1_mT2_T3_
	.p2align	8
	.type	_ZN7rocprim17ROCPRIM_304000_NS6detail16transform_kernelINS1_24wrapped_transform_configINS0_14default_configEN3c107complexIfEEEES7_PS7_S9_NS0_8identityIS7_EEEEvT1_mT2_T3_,@function
_ZN7rocprim17ROCPRIM_304000_NS6detail16transform_kernelINS1_24wrapped_transform_configINS0_14default_configEN3c107complexIfEEEES7_PS7_S9_NS0_8identityIS7_EEEEvT1_mT2_T3_: ; @_ZN7rocprim17ROCPRIM_304000_NS6detail16transform_kernelINS1_24wrapped_transform_configINS0_14default_configEN3c107complexIfEEEES7_PS7_S9_NS0_8identityIS7_EEEEvT1_mT2_T3_
; %bb.0:
	s_clause 0x1
	s_load_b32 s2, s[0:1], 0x20
	s_load_b128 s[4:7], s[0:1], 0x0
	s_waitcnt lgkmcnt(0)
	s_add_i32 s3, s2, -1
	s_lshl_b32 s2, s15, 9
	s_cmp_lg_u32 s15, s3
	s_cselect_b32 s3, -1, 0
	s_sub_i32 s6, s6, s2
	s_delay_alu instid0(SALU_CYCLE_1) | instskip(SKIP_1) | instid1(SALU_CYCLE_1)
	v_cmp_gt_u32_e32 vcc_lo, s6, v0
	s_or_b32 s3, vcc_lo, s3
	s_and_saveexec_b32 s6, s3
	s_cbranch_execz .LBB94_2
; %bb.1:
	s_load_b64 s[0:1], s[0:1], 0x10
	s_mov_b32 s3, 0
	v_lshlrev_b32_e32 v2, 3, v0
	s_lshl_b64 s[2:3], s[2:3], 3
	s_waitcnt lgkmcnt(0)
	s_add_u32 s0, s0, s2
	s_addc_u32 s1, s1, s3
	s_add_u32 s2, s4, s2
	s_addc_u32 s3, s5, s3
	global_load_b64 v[0:1], v2, s[2:3]
	s_waitcnt vmcnt(0)
	global_store_b64 v2, v[0:1], s[0:1]
.LBB94_2:
	s_nop 0
	s_sendmsg sendmsg(MSG_DEALLOC_VGPRS)
	s_endpgm
	.section	.rodata,"a",@progbits
	.p2align	6, 0x0
	.amdhsa_kernel _ZN7rocprim17ROCPRIM_304000_NS6detail16transform_kernelINS1_24wrapped_transform_configINS0_14default_configEN3c107complexIfEEEES7_PS7_S9_NS0_8identityIS7_EEEEvT1_mT2_T3_
		.amdhsa_group_segment_fixed_size 0
		.amdhsa_private_segment_fixed_size 0
		.amdhsa_kernarg_size 288
		.amdhsa_user_sgpr_count 15
		.amdhsa_user_sgpr_dispatch_ptr 0
		.amdhsa_user_sgpr_queue_ptr 0
		.amdhsa_user_sgpr_kernarg_segment_ptr 1
		.amdhsa_user_sgpr_dispatch_id 0
		.amdhsa_user_sgpr_private_segment_size 0
		.amdhsa_wavefront_size32 1
		.amdhsa_uses_dynamic_stack 0
		.amdhsa_enable_private_segment 0
		.amdhsa_system_sgpr_workgroup_id_x 1
		.amdhsa_system_sgpr_workgroup_id_y 0
		.amdhsa_system_sgpr_workgroup_id_z 0
		.amdhsa_system_sgpr_workgroup_info 0
		.amdhsa_system_vgpr_workitem_id 0
		.amdhsa_next_free_vgpr 3
		.amdhsa_next_free_sgpr 16
		.amdhsa_reserve_vcc 1
		.amdhsa_float_round_mode_32 0
		.amdhsa_float_round_mode_16_64 0
		.amdhsa_float_denorm_mode_32 3
		.amdhsa_float_denorm_mode_16_64 3
		.amdhsa_dx10_clamp 1
		.amdhsa_ieee_mode 1
		.amdhsa_fp16_overflow 0
		.amdhsa_workgroup_processor_mode 1
		.amdhsa_memory_ordered 1
		.amdhsa_forward_progress 0
		.amdhsa_shared_vgpr_count 0
		.amdhsa_exception_fp_ieee_invalid_op 0
		.amdhsa_exception_fp_denorm_src 0
		.amdhsa_exception_fp_ieee_div_zero 0
		.amdhsa_exception_fp_ieee_overflow 0
		.amdhsa_exception_fp_ieee_underflow 0
		.amdhsa_exception_fp_ieee_inexact 0
		.amdhsa_exception_int_div_zero 0
	.end_amdhsa_kernel
	.section	.text._ZN7rocprim17ROCPRIM_304000_NS6detail16transform_kernelINS1_24wrapped_transform_configINS0_14default_configEN3c107complexIfEEEES7_PS7_S9_NS0_8identityIS7_EEEEvT1_mT2_T3_,"axG",@progbits,_ZN7rocprim17ROCPRIM_304000_NS6detail16transform_kernelINS1_24wrapped_transform_configINS0_14default_configEN3c107complexIfEEEES7_PS7_S9_NS0_8identityIS7_EEEEvT1_mT2_T3_,comdat
.Lfunc_end94:
	.size	_ZN7rocprim17ROCPRIM_304000_NS6detail16transform_kernelINS1_24wrapped_transform_configINS0_14default_configEN3c107complexIfEEEES7_PS7_S9_NS0_8identityIS7_EEEEvT1_mT2_T3_, .Lfunc_end94-_ZN7rocprim17ROCPRIM_304000_NS6detail16transform_kernelINS1_24wrapped_transform_configINS0_14default_configEN3c107complexIfEEEES7_PS7_S9_NS0_8identityIS7_EEEEvT1_mT2_T3_
                                        ; -- End function
	.section	.AMDGPU.csdata,"",@progbits
; Kernel info:
; codeLenInByte = 136
; NumSgprs: 18
; NumVgprs: 3
; ScratchSize: 0
; MemoryBound: 0
; FloatMode: 240
; IeeeMode: 1
; LDSByteSize: 0 bytes/workgroup (compile time only)
; SGPRBlocks: 2
; VGPRBlocks: 0
; NumSGPRsForWavesPerEU: 18
; NumVGPRsForWavesPerEU: 3
; Occupancy: 16
; WaveLimiterHint : 0
; COMPUTE_PGM_RSRC2:SCRATCH_EN: 0
; COMPUTE_PGM_RSRC2:USER_SGPR: 15
; COMPUTE_PGM_RSRC2:TRAP_HANDLER: 0
; COMPUTE_PGM_RSRC2:TGID_X_EN: 1
; COMPUTE_PGM_RSRC2:TGID_Y_EN: 0
; COMPUTE_PGM_RSRC2:TGID_Z_EN: 0
; COMPUTE_PGM_RSRC2:TIDIG_COMP_CNT: 0
	.section	.text._ZN7rocprim17ROCPRIM_304000_NS6detail18single_scan_kernelILb0ENS1_19wrapped_scan_configINS0_14default_configEN3c107complexIfEEEEPKS7_PS7_St4plusIS7_ES7_S7_EEvT1_mT4_T2_T3_,"axG",@progbits,_ZN7rocprim17ROCPRIM_304000_NS6detail18single_scan_kernelILb0ENS1_19wrapped_scan_configINS0_14default_configEN3c107complexIfEEEEPKS7_PS7_St4plusIS7_ES7_S7_EEvT1_mT4_T2_T3_,comdat
	.protected	_ZN7rocprim17ROCPRIM_304000_NS6detail18single_scan_kernelILb0ENS1_19wrapped_scan_configINS0_14default_configEN3c107complexIfEEEEPKS7_PS7_St4plusIS7_ES7_S7_EEvT1_mT4_T2_T3_ ; -- Begin function _ZN7rocprim17ROCPRIM_304000_NS6detail18single_scan_kernelILb0ENS1_19wrapped_scan_configINS0_14default_configEN3c107complexIfEEEEPKS7_PS7_St4plusIS7_ES7_S7_EEvT1_mT4_T2_T3_
	.globl	_ZN7rocprim17ROCPRIM_304000_NS6detail18single_scan_kernelILb0ENS1_19wrapped_scan_configINS0_14default_configEN3c107complexIfEEEEPKS7_PS7_St4plusIS7_ES7_S7_EEvT1_mT4_T2_T3_
	.p2align	8
	.type	_ZN7rocprim17ROCPRIM_304000_NS6detail18single_scan_kernelILb0ENS1_19wrapped_scan_configINS0_14default_configEN3c107complexIfEEEEPKS7_PS7_St4plusIS7_ES7_S7_EEvT1_mT4_T2_T3_,@function
_ZN7rocprim17ROCPRIM_304000_NS6detail18single_scan_kernelILb0ENS1_19wrapped_scan_configINS0_14default_configEN3c107complexIfEEEEPKS7_PS7_St4plusIS7_ES7_S7_EEvT1_mT4_T2_T3_: ; @_ZN7rocprim17ROCPRIM_304000_NS6detail18single_scan_kernelILb0ENS1_19wrapped_scan_configINS0_14default_configEN3c107complexIfEEEEPKS7_PS7_St4plusIS7_ES7_S7_EEvT1_mT4_T2_T3_
; %bb.0:
	s_load_b128 s[16:19], s[0:1], 0x0
	s_waitcnt lgkmcnt(0)
	s_load_b64 s[20:21], s[16:17], 0x0
	v_lshlrev_b32_e32 v77, 3, v0
	v_cmp_gt_u32_e32 vcc_lo, s18, v0
	s_waitcnt lgkmcnt(0)
	v_mov_b32_e32 v2, s21
	s_delay_alu instid0(VALU_DEP_3) | instskip(NEXT) | instid1(VALU_DEP_1)
	v_add_co_u32 v7, s2, s16, v77
	v_add_co_ci_u32_e64 v8, null, s17, 0, s2
	v_mov_b32_e32 v1, s20
	s_and_saveexec_b32 s2, vcc_lo
	s_cbranch_execz .LBB95_2
; %bb.1:
	global_load_b64 v[1:2], v[7:8], off
.LBB95_2:
	s_or_b32 exec_lo, exec_lo, s2
	v_or_b32_e32 v35, 0x100, v0
	v_dual_mov_b32 v4, s21 :: v_dual_mov_b32 v3, s20
	s_delay_alu instid0(VALU_DEP_2) | instskip(NEXT) | instid1(VALU_DEP_1)
	v_cmp_gt_u32_e64 s2, s18, v35
	s_and_saveexec_b32 s3, s2
	s_cbranch_execz .LBB95_4
; %bb.3:
	global_load_b64 v[3:4], v[7:8], off offset:2048
.LBB95_4:
	s_or_b32 exec_lo, exec_lo, s3
	v_or_b32_e32 v36, 0x200, v0
	v_dual_mov_b32 v6, s21 :: v_dual_mov_b32 v5, s20
	s_delay_alu instid0(VALU_DEP_2) | instskip(NEXT) | instid1(VALU_DEP_1)
	v_cmp_gt_u32_e64 s3, s18, v36
	s_and_saveexec_b32 s5, s3
	s_cbranch_execz .LBB95_6
; %bb.5:
	v_add_co_u32 v5, s4, 0x1000, v7
	s_delay_alu instid0(VALU_DEP_1)
	v_add_co_ci_u32_e64 v6, s4, 0, v8, s4
	global_load_b64 v[5:6], v[5:6], off
.LBB95_6:
	s_or_b32 exec_lo, exec_lo, s5
	v_or_b32_e32 v37, 0x300, v0
	v_dual_mov_b32 v10, s21 :: v_dual_mov_b32 v9, s20
	s_delay_alu instid0(VALU_DEP_2) | instskip(NEXT) | instid1(VALU_DEP_1)
	v_cmp_gt_u32_e64 s4, s18, v37
	s_and_saveexec_b32 s6, s4
	s_cbranch_execz .LBB95_8
; %bb.7:
	v_add_co_u32 v9, s5, 0x1000, v7
	s_delay_alu instid0(VALU_DEP_1)
	v_add_co_ci_u32_e64 v10, s5, 0, v8, s5
	global_load_b64 v[9:10], v[9:10], off offset:2048
.LBB95_8:
	s_or_b32 exec_lo, exec_lo, s6
	v_or_b32_e32 v38, 0x400, v0
	v_dual_mov_b32 v12, s21 :: v_dual_mov_b32 v11, s20
	s_delay_alu instid0(VALU_DEP_2) | instskip(NEXT) | instid1(VALU_DEP_1)
	v_cmp_gt_u32_e64 s5, s18, v38
	s_and_saveexec_b32 s7, s5
	s_cbranch_execz .LBB95_10
; %bb.9:
	v_add_co_u32 v11, s6, 0x2000, v7
	s_delay_alu instid0(VALU_DEP_1)
	v_add_co_ci_u32_e64 v12, s6, 0, v8, s6
	global_load_b64 v[11:12], v[11:12], off
.LBB95_10:
	s_or_b32 exec_lo, exec_lo, s7
	v_or_b32_e32 v39, 0x500, v0
	v_dual_mov_b32 v14, s21 :: v_dual_mov_b32 v13, s20
	s_delay_alu instid0(VALU_DEP_2) | instskip(NEXT) | instid1(VALU_DEP_1)
	v_cmp_gt_u32_e64 s6, s18, v39
	s_and_saveexec_b32 s8, s6
	s_cbranch_execz .LBB95_12
; %bb.11:
	v_add_co_u32 v13, s7, 0x2000, v7
	s_delay_alu instid0(VALU_DEP_1)
	v_add_co_ci_u32_e64 v14, s7, 0, v8, s7
	global_load_b64 v[13:14], v[13:14], off offset:2048
.LBB95_12:
	s_or_b32 exec_lo, exec_lo, s8
	v_or_b32_e32 v40, 0x600, v0
	v_dual_mov_b32 v16, s21 :: v_dual_mov_b32 v15, s20
	s_delay_alu instid0(VALU_DEP_2) | instskip(NEXT) | instid1(VALU_DEP_1)
	v_cmp_gt_u32_e64 s7, s18, v40
	s_and_saveexec_b32 s9, s7
	s_cbranch_execz .LBB95_14
; %bb.13:
	v_add_co_u32 v15, s8, 0x3000, v7
	s_delay_alu instid0(VALU_DEP_1)
	v_add_co_ci_u32_e64 v16, s8, 0, v8, s8
	global_load_b64 v[15:16], v[15:16], off
.LBB95_14:
	s_or_b32 exec_lo, exec_lo, s9
	v_or_b32_e32 v41, 0x700, v0
	v_dual_mov_b32 v18, s21 :: v_dual_mov_b32 v17, s20
	s_delay_alu instid0(VALU_DEP_2) | instskip(NEXT) | instid1(VALU_DEP_1)
	v_cmp_gt_u32_e64 s8, s18, v41
	s_and_saveexec_b32 s10, s8
	s_cbranch_execz .LBB95_16
; %bb.15:
	v_add_co_u32 v17, s9, 0x3000, v7
	s_delay_alu instid0(VALU_DEP_1)
	v_add_co_ci_u32_e64 v18, s9, 0, v8, s9
	global_load_b64 v[17:18], v[17:18], off offset:2048
.LBB95_16:
	s_or_b32 exec_lo, exec_lo, s10
	v_or_b32_e32 v42, 0x800, v0
	v_dual_mov_b32 v20, s21 :: v_dual_mov_b32 v19, s20
	s_delay_alu instid0(VALU_DEP_2) | instskip(NEXT) | instid1(VALU_DEP_1)
	v_cmp_gt_u32_e64 s9, s18, v42
	s_and_saveexec_b32 s11, s9
	s_cbranch_execz .LBB95_18
; %bb.17:
	v_add_co_u32 v19, s10, 0x4000, v7
	s_delay_alu instid0(VALU_DEP_1)
	v_add_co_ci_u32_e64 v20, s10, 0, v8, s10
	global_load_b64 v[19:20], v[19:20], off
.LBB95_18:
	s_or_b32 exec_lo, exec_lo, s11
	v_or_b32_e32 v43, 0x900, v0
	v_dual_mov_b32 v22, s21 :: v_dual_mov_b32 v21, s20
	s_delay_alu instid0(VALU_DEP_2) | instskip(NEXT) | instid1(VALU_DEP_1)
	v_cmp_gt_u32_e64 s10, s18, v43
	s_and_saveexec_b32 s12, s10
	s_cbranch_execz .LBB95_20
; %bb.19:
	v_add_co_u32 v21, s11, 0x4000, v7
	s_delay_alu instid0(VALU_DEP_1)
	v_add_co_ci_u32_e64 v22, s11, 0, v8, s11
	global_load_b64 v[21:22], v[21:22], off offset:2048
.LBB95_20:
	s_or_b32 exec_lo, exec_lo, s12
	v_or_b32_e32 v44, 0xa00, v0
	v_dual_mov_b32 v24, s21 :: v_dual_mov_b32 v23, s20
	s_delay_alu instid0(VALU_DEP_2) | instskip(NEXT) | instid1(VALU_DEP_1)
	v_cmp_gt_u32_e64 s11, s18, v44
	s_and_saveexec_b32 s13, s11
	s_cbranch_execz .LBB95_22
; %bb.21:
	v_add_co_u32 v23, s12, 0x5000, v7
	s_delay_alu instid0(VALU_DEP_1)
	v_add_co_ci_u32_e64 v24, s12, 0, v8, s12
	global_load_b64 v[23:24], v[23:24], off
.LBB95_22:
	s_or_b32 exec_lo, exec_lo, s13
	v_or_b32_e32 v45, 0xb00, v0
	v_dual_mov_b32 v26, s21 :: v_dual_mov_b32 v25, s20
	s_delay_alu instid0(VALU_DEP_2) | instskip(NEXT) | instid1(VALU_DEP_1)
	v_cmp_gt_u32_e64 s12, s18, v45
	s_and_saveexec_b32 s14, s12
	s_cbranch_execz .LBB95_24
; %bb.23:
	v_add_co_u32 v25, s13, 0x5000, v7
	s_delay_alu instid0(VALU_DEP_1)
	v_add_co_ci_u32_e64 v26, s13, 0, v8, s13
	global_load_b64 v[25:26], v[25:26], off offset:2048
.LBB95_24:
	s_or_b32 exec_lo, exec_lo, s14
	v_or_b32_e32 v46, 0xc00, v0
	v_dual_mov_b32 v28, s21 :: v_dual_mov_b32 v27, s20
	s_delay_alu instid0(VALU_DEP_2) | instskip(NEXT) | instid1(VALU_DEP_1)
	v_cmp_gt_u32_e64 s13, s18, v46
	s_and_saveexec_b32 s15, s13
	s_cbranch_execz .LBB95_26
; %bb.25:
	v_add_co_u32 v27, s14, 0x6000, v7
	s_delay_alu instid0(VALU_DEP_1)
	v_add_co_ci_u32_e64 v28, s14, 0, v8, s14
	global_load_b64 v[27:28], v[27:28], off
.LBB95_26:
	s_or_b32 exec_lo, exec_lo, s15
	v_or_b32_e32 v47, 0xd00, v0
	v_dual_mov_b32 v30, s21 :: v_dual_mov_b32 v29, s20
	s_delay_alu instid0(VALU_DEP_2) | instskip(NEXT) | instid1(VALU_DEP_1)
	v_cmp_gt_u32_e64 s14, s18, v47
	s_and_saveexec_b32 s16, s14
	s_cbranch_execz .LBB95_28
; %bb.27:
	v_add_co_u32 v29, s15, 0x6000, v7
	s_delay_alu instid0(VALU_DEP_1)
	v_add_co_ci_u32_e64 v30, s15, 0, v8, s15
	global_load_b64 v[29:30], v[29:30], off offset:2048
.LBB95_28:
	s_or_b32 exec_lo, exec_lo, s16
	v_or_b32_e32 v48, 0xe00, v0
	v_dual_mov_b32 v32, s21 :: v_dual_mov_b32 v31, s20
	s_delay_alu instid0(VALU_DEP_2) | instskip(NEXT) | instid1(VALU_DEP_1)
	v_cmp_gt_u32_e64 s15, s18, v48
	s_and_saveexec_b32 s17, s15
	s_cbranch_execz .LBB95_30
; %bb.29:
	v_add_co_u32 v31, s16, 0x7000, v7
	s_delay_alu instid0(VALU_DEP_1)
	v_add_co_ci_u32_e64 v32, s16, 0, v8, s16
	global_load_b64 v[31:32], v[31:32], off
.LBB95_30:
	s_or_b32 exec_lo, exec_lo, s17
	v_or_b32_e32 v49, 0xf00, v0
	v_dual_mov_b32 v34, s21 :: v_dual_mov_b32 v33, s20
	s_delay_alu instid0(VALU_DEP_2) | instskip(NEXT) | instid1(VALU_DEP_1)
	v_cmp_gt_u32_e64 s16, s18, v49
	s_and_saveexec_b32 s18, s16
	s_cbranch_execz .LBB95_32
; %bb.31:
	v_add_co_u32 v7, s17, 0x7000, v7
	s_delay_alu instid0(VALU_DEP_1)
	v_add_co_ci_u32_e64 v8, s17, 0, v8, s17
	global_load_b64 v[33:34], v[7:8], off offset:2048
.LBB95_32:
	s_or_b32 exec_lo, exec_lo, s18
	v_lshrrev_b32_e32 v7, 2, v0
	v_lshrrev_b32_e32 v8, 2, v35
	;; [unrolled: 1-line block ×5, first 2 shown]
	v_and_b32_e32 v7, 56, v7
	v_and_b32_e32 v8, 0x78, v8
	v_lshrrev_b32_e32 v38, 2, v39
	v_and_b32_e32 v35, 0xf8, v35
	s_mov_b32 s18, exec_lo
	v_add_nc_u32_e32 v78, v7, v77
	v_add_nc_u32_e32 v79, v8, v77
	v_and_b32_e32 v7, 0xf8, v36
	v_and_b32_e32 v8, 0x1f8, v37
	v_add_nc_u32_e32 v80, v35, v77
	s_waitcnt vmcnt(0)
	ds_store_b64 v78, v[1:2]
	ds_store_b64 v79, v[3:4] offset:2048
	v_and_b32_e32 v1, 0x1f8, v38
	v_lshrrev_b32_e32 v2, 2, v40
	v_lshrrev_b32_e32 v3, 2, v42
	;; [unrolled: 1-line block ×3, first 2 shown]
	v_add_nc_u32_e32 v81, v7, v77
	v_add_nc_u32_e32 v83, v1, v77
	v_and_b32_e32 v1, 0x1f8, v2
	v_lshrrev_b32_e32 v2, 2, v41
	v_and_b32_e32 v3, 0x3f8, v3
	v_and_b32_e32 v4, 0x3f8, v4
	v_add_nc_u32_e32 v82, v8, v77
	v_add_nc_u32_e32 v84, v1, v77
	v_and_b32_e32 v1, 0x1f8, v2
	v_lshrrev_b32_e32 v2, 2, v44
	v_add_nc_u32_e32 v86, v3, v77
	v_lshrrev_b32_e32 v3, 2, v47
	v_add_nc_u32_e32 v87, v4, v77
	v_add_nc_u32_e32 v85, v1, v77
	v_and_b32_e32 v1, 0x3f8, v2
	v_lshrrev_b32_e32 v2, 2, v45
	v_and_b32_e32 v3, 0x3f8, v3
	v_lshrrev_b32_e32 v4, 2, v48
	ds_store_b64 v80, v[5:6] offset:4096
	v_add_nc_u32_e32 v88, v1, v77
	v_and_b32_e32 v1, 0x3f8, v2
	v_lshrrev_b32_e32 v2, 2, v46
	v_add_nc_u32_e32 v91, v3, v77
	v_lshrrev_b32_e32 v3, 1, v0
	v_and_b32_e32 v4, 0x3f8, v4
	v_add_nc_u32_e32 v89, v1, v77
	v_and_b32_e32 v1, 0x3f8, v2
	v_lshrrev_b32_e32 v2, 2, v49
	ds_store_b64 v81, v[9:10] offset:6144
	ds_store_b64 v82, v[11:12] offset:8192
	v_add_nc_u32_e32 v92, v4, v77
	ds_store_b64 v83, v[13:14] offset:10240
	v_add_nc_u32_e32 v90, v1, v77
	v_and_b32_e32 v1, 0x3f8, v2
	v_lshlrev_b32_e32 v2, 4, v0
	ds_store_b64 v84, v[15:16] offset:12288
	ds_store_b64 v85, v[17:18] offset:14336
	;; [unrolled: 1-line block ×4, first 2 shown]
	v_add_nc_u32_e32 v93, v1, v77
	v_add_lshl_u32 v94, v3, v2, 3
	ds_store_b64 v88, v[23:24] offset:20480
	ds_store_b64 v89, v[25:26] offset:22528
	;; [unrolled: 1-line block ×6, first 2 shown]
	s_waitcnt lgkmcnt(0)
	s_barrier
	buffer_gl0_inv
	ds_load_2addr_b64 v[1:4], v94 offset1:1
	ds_load_2addr_b64 v[9:12], v94 offset0:2 offset1:3
	ds_load_2addr_b64 v[5:8], v94 offset0:4 offset1:5
	;; [unrolled: 1-line block ×7, first 2 shown]
	s_waitcnt lgkmcnt(0)
	s_barrier
	buffer_gl0_inv
	v_dual_add_f32 v95, v3, v1 :: v_dual_add_f32 v96, v4, v2
	s_delay_alu instid0(VALU_DEP_1) | instskip(NEXT) | instid1(VALU_DEP_1)
	v_dual_add_f32 v49, v95, v9 :: v_dual_add_f32 v50, v96, v10
	v_dual_add_f32 v53, v49, v11 :: v_dual_add_f32 v54, v50, v12
	s_delay_alu instid0(VALU_DEP_1) | instskip(NEXT) | instid1(VALU_DEP_1)
	v_dual_add_f32 v51, v53, v5 :: v_dual_add_f32 v52, v54, v6
	v_dual_add_f32 v57, v51, v7 :: v_dual_add_f32 v58, v52, v8
	s_delay_alu instid0(VALU_DEP_1) | instskip(NEXT) | instid1(VALU_DEP_1)
	v_dual_add_f32 v55, v57, v13 :: v_dual_add_f32 v56, v58, v14
	v_dual_add_f32 v61, v55, v15 :: v_dual_add_f32 v62, v56, v16
	s_delay_alu instid0(VALU_DEP_1) | instskip(NEXT) | instid1(VALU_DEP_1)
	v_dual_add_f32 v59, v61, v17 :: v_dual_add_f32 v60, v62, v18
	v_dual_add_f32 v65, v59, v19 :: v_dual_add_f32 v66, v60, v20
	s_delay_alu instid0(VALU_DEP_1) | instskip(NEXT) | instid1(VALU_DEP_1)
	v_dual_add_f32 v63, v65, v21 :: v_dual_add_f32 v64, v66, v22
	v_dual_add_f32 v69, v63, v23 :: v_dual_add_f32 v70, v64, v24
	s_delay_alu instid0(VALU_DEP_1) | instskip(NEXT) | instid1(VALU_DEP_1)
	v_dual_add_f32 v67, v69, v25 :: v_dual_add_f32 v68, v70, v26
	v_dual_add_f32 v73, v67, v27 :: v_dual_add_f32 v74, v68, v28
	s_delay_alu instid0(VALU_DEP_1) | instskip(NEXT) | instid1(VALU_DEP_1)
	v_dual_add_f32 v71, v73, v29 :: v_dual_add_f32 v72, v74, v30
	v_dual_add_f32 v75, v71, v31 :: v_dual_add_f32 v76, v72, v32
	ds_store_b64 v78, v[75:76]
	s_waitcnt lgkmcnt(0)
	s_barrier
	buffer_gl0_inv
	v_cmpx_gt_u32_e32 32, v0
	s_cbranch_execz .LBB95_42
; %bb.33:
	v_lshlrev_b32_e32 v33, 1, v0
	v_mbcnt_lo_u32_b32 v100, -1, 0
	s_mov_b32 s19, exec_lo
	s_delay_alu instid0(VALU_DEP_2) | instskip(NEXT) | instid1(VALU_DEP_2)
	v_and_b32_e32 v33, 0x1f8, v33
	v_and_b32_e32 v101, 15, v100
	s_delay_alu instid0(VALU_DEP_2)
	v_lshl_or_b32 v97, v0, 6, v33
	ds_load_2addr_b64 v[45:48], v97 offset1:1
	ds_load_2addr_b64 v[41:44], v97 offset0:2 offset1:3
	ds_load_2addr_b64 v[37:40], v97 offset0:4 offset1:5
	;; [unrolled: 1-line block ×3, first 2 shown]
	s_waitcnt lgkmcnt(3)
	v_dual_add_f32 v98, v45, v47 :: v_dual_add_f32 v99, v46, v48
	s_waitcnt lgkmcnt(2)
	s_delay_alu instid0(VALU_DEP_1) | instskip(NEXT) | instid1(VALU_DEP_1)
	v_dual_add_f32 v98, v98, v41 :: v_dual_add_f32 v99, v99, v42
	v_dual_add_f32 v98, v98, v43 :: v_dual_add_f32 v99, v99, v44
	s_waitcnt lgkmcnt(1)
	s_delay_alu instid0(VALU_DEP_1) | instskip(NEXT) | instid1(VALU_DEP_1)
	v_dual_add_f32 v98, v98, v37 :: v_dual_add_f32 v99, v99, v38
	;; [unrolled: 4-line block ×3, first 2 shown]
	v_dual_add_f32 v98, v98, v35 :: v_dual_add_f32 v99, v99, v36
	s_delay_alu instid0(VALU_DEP_1) | instskip(NEXT) | instid1(VALU_DEP_2)
	v_mov_b32_dpp v102, v98 row_shr:1 row_mask:0xf bank_mask:0xf
	v_mov_b32_dpp v103, v99 row_shr:1 row_mask:0xf bank_mask:0xf
	v_cmpx_ne_u32_e32 0, v101
; %bb.34:
	s_delay_alu instid0(VALU_DEP_2)
	v_dual_add_f32 v99, v99, v103 :: v_dual_add_f32 v98, v98, v102
; %bb.35:
	s_or_b32 exec_lo, exec_lo, s19
	s_delay_alu instid0(VALU_DEP_1) | instskip(NEXT) | instid1(VALU_DEP_2)
	v_mov_b32_dpp v102, v98 row_shr:2 row_mask:0xf bank_mask:0xf
	v_mov_b32_dpp v103, v99 row_shr:2 row_mask:0xf bank_mask:0xf
	s_mov_b32 s19, exec_lo
	v_cmpx_lt_u32_e32 1, v101
; %bb.36:
	s_delay_alu instid0(VALU_DEP_2)
	v_dual_add_f32 v99, v99, v103 :: v_dual_add_f32 v98, v98, v102
; %bb.37:
	s_or_b32 exec_lo, exec_lo, s19
	s_delay_alu instid0(VALU_DEP_1) | instskip(NEXT) | instid1(VALU_DEP_2)
	v_mov_b32_dpp v102, v98 row_shr:4 row_mask:0xf bank_mask:0xf
	v_mov_b32_dpp v103, v99 row_shr:4 row_mask:0xf bank_mask:0xf
	s_mov_b32 s19, exec_lo
	v_cmpx_lt_u32_e32 3, v101
	;; [unrolled: 10-line block ×3, first 2 shown]
; %bb.40:
	s_delay_alu instid0(VALU_DEP_2)
	v_dual_add_f32 v99, v99, v103 :: v_dual_add_f32 v98, v98, v102
; %bb.41:
	s_or_b32 exec_lo, exec_lo, s19
	ds_swizzle_b32 v102, v98 offset:swizzle(BROADCAST,32,15)
	ds_swizzle_b32 v101, v99 offset:swizzle(BROADCAST,32,15)
	v_add_nc_u32_e32 v103, -1, v100
	v_and_b32_e32 v104, 16, v100
	s_waitcnt lgkmcnt(0)
	v_dual_add_f32 v102, v98, v102 :: v_dual_add_f32 v101, v99, v101
	s_delay_alu instid0(VALU_DEP_3) | instskip(NEXT) | instid1(VALU_DEP_1)
	v_cmp_gt_i32_e64 s17, 0, v103
	v_cndmask_b32_e64 v100, v103, v100, s17
	v_cmp_eq_u32_e64 s17, 0, v104
	s_delay_alu instid0(VALU_DEP_2) | instskip(NEXT) | instid1(VALU_DEP_2)
	v_lshlrev_b32_e32 v100, 2, v100
	v_cndmask_b32_e64 v98, v102, v98, s17
	v_cndmask_b32_e64 v99, v101, v99, s17
	v_cmp_eq_u32_e64 s17, 0, v0
	ds_bpermute_b32 v98, v100, v98
	s_waitcnt lgkmcnt(0)
	v_add_f32_e32 v45, v45, v98
	ds_bpermute_b32 v99, v100, v99
	v_cndmask_b32_e64 v45, v45, v75, s17
	s_delay_alu instid0(VALU_DEP_1) | instskip(NEXT) | instid1(VALU_DEP_1)
	v_add_f32_e32 v47, v47, v45
	v_add_f32_e32 v41, v41, v47
	s_waitcnt lgkmcnt(0)
	s_delay_alu instid0(VALU_DEP_1) | instskip(NEXT) | instid1(VALU_DEP_1)
	v_dual_add_f32 v43, v43, v41 :: v_dual_add_f32 v46, v46, v99
	v_add_f32_e32 v37, v37, v43
	s_delay_alu instid0(VALU_DEP_2) | instskip(NEXT) | instid1(VALU_DEP_1)
	v_cndmask_b32_e64 v46, v46, v76, s17
	v_dual_add_f32 v39, v39, v37 :: v_dual_add_f32 v48, v48, v46
	s_delay_alu instid0(VALU_DEP_1) | instskip(NEXT) | instid1(VALU_DEP_1)
	v_dual_add_f32 v33, v33, v39 :: v_dual_add_f32 v42, v42, v48
	v_dual_add_f32 v35, v35, v33 :: v_dual_add_f32 v44, v44, v42
	s_delay_alu instid0(VALU_DEP_1) | instskip(NEXT) | instid1(VALU_DEP_1)
	v_add_f32_e32 v38, v38, v44
	v_add_f32_e32 v40, v40, v38
	s_delay_alu instid0(VALU_DEP_1) | instskip(NEXT) | instid1(VALU_DEP_1)
	v_add_f32_e32 v34, v34, v40
	v_add_f32_e32 v36, v36, v34
	ds_store_2addr_b64 v97, v[45:46], v[47:48] offset1:1
	ds_store_2addr_b64 v97, v[41:42], v[43:44] offset0:2 offset1:3
	ds_store_2addr_b64 v97, v[37:38], v[39:40] offset0:4 offset1:5
	;; [unrolled: 1-line block ×3, first 2 shown]
.LBB95_42:
	s_or_b32 exec_lo, exec_lo, s18
	v_cmp_ne_u32_e64 s17, 0, v0
	v_dual_mov_b32 v34, v76 :: v_dual_mov_b32 v33, v75
	s_waitcnt lgkmcnt(0)
	s_barrier
	buffer_gl0_inv
	s_and_saveexec_b32 s18, s17
	s_cbranch_execz .LBB95_44
; %bb.43:
	v_add_nc_u32_e32 v0, -1, v0
	s_delay_alu instid0(VALU_DEP_1) | instskip(NEXT) | instid1(VALU_DEP_1)
	v_lshrrev_b32_e32 v33, 5, v0
	v_add_lshl_u32 v0, v33, v0, 3
	ds_load_b64 v[33:34], v0
.LBB95_44:
	s_or_b32 exec_lo, exec_lo, s18
	s_and_saveexec_b32 s18, s17
	s_cbranch_execz .LBB95_46
; %bb.45:
	s_waitcnt lgkmcnt(0)
	v_dual_add_f32 v1, v33, v1 :: v_dual_add_f32 v2, v34, v2
	s_delay_alu instid0(VALU_DEP_1) | instskip(NEXT) | instid1(VALU_DEP_1)
	v_dual_add_f32 v95, v3, v1 :: v_dual_add_f32 v96, v4, v2
	v_dual_add_f32 v49, v9, v95 :: v_dual_add_f32 v50, v10, v96
	s_delay_alu instid0(VALU_DEP_1) | instskip(NEXT) | instid1(VALU_DEP_1)
	v_dual_add_f32 v53, v11, v49 :: v_dual_add_f32 v54, v12, v50
	;; [unrolled: 3-line block ×7, first 2 shown]
	v_dual_add_f32 v71, v29, v73 :: v_dual_add_f32 v72, v30, v74
	s_delay_alu instid0(VALU_DEP_1)
	v_dual_add_f32 v75, v31, v71 :: v_dual_add_f32 v76, v32, v72
.LBB95_46:
	s_or_b32 exec_lo, exec_lo, s18
	v_dual_mov_b32 v3, v95 :: v_dual_mov_b32 v4, v96
	s_waitcnt lgkmcnt(0)
	s_barrier
	buffer_gl0_inv
	ds_store_2addr_b64 v94, v[1:2], v[3:4] offset1:1
	ds_store_2addr_b64 v94, v[49:50], v[53:54] offset0:2 offset1:3
	ds_store_2addr_b64 v94, v[51:52], v[57:58] offset0:4 offset1:5
	;; [unrolled: 1-line block ×7, first 2 shown]
	s_waitcnt lgkmcnt(0)
	s_barrier
	buffer_gl0_inv
	ds_load_b64 v[30:31], v79 offset:2048
	ds_load_b64 v[28:29], v80 offset:4096
	ds_load_b64 v[26:27], v81 offset:6144
	ds_load_b64 v[24:25], v82 offset:8192
	ds_load_b64 v[22:23], v83 offset:10240
	ds_load_b64 v[20:21], v84 offset:12288
	ds_load_b64 v[18:19], v85 offset:14336
	ds_load_b64 v[16:17], v86 offset:16384
	ds_load_b64 v[14:15], v87 offset:18432
	ds_load_b64 v[12:13], v88 offset:20480
	ds_load_b64 v[10:11], v89 offset:22528
	ds_load_b64 v[8:9], v90 offset:24576
	ds_load_b64 v[6:7], v91 offset:26624
	ds_load_b64 v[4:5], v92 offset:28672
	ds_load_b64 v[0:1], v93 offset:30720
	s_load_b64 s[0:1], s[0:1], 0x18
	s_waitcnt lgkmcnt(0)
	v_add_co_u32 v2, s0, s0, v77
	s_delay_alu instid0(VALU_DEP_1)
	v_add_co_ci_u32_e64 v3, null, s1, 0, s0
	s_and_saveexec_b32 s0, vcc_lo
	s_cbranch_execnz .LBB95_63
; %bb.47:
	s_or_b32 exec_lo, exec_lo, s0
	s_and_saveexec_b32 s0, s2
	s_cbranch_execnz .LBB95_64
.LBB95_48:
	s_or_b32 exec_lo, exec_lo, s0
	s_and_saveexec_b32 s0, s3
	s_cbranch_execnz .LBB95_65
.LBB95_49:
	s_or_b32 exec_lo, exec_lo, s0
	s_and_saveexec_b32 s0, s4
	s_cbranch_execnz .LBB95_66
.LBB95_50:
	s_or_b32 exec_lo, exec_lo, s0
	s_and_saveexec_b32 s0, s5
	s_cbranch_execnz .LBB95_67
.LBB95_51:
	s_or_b32 exec_lo, exec_lo, s0
	s_and_saveexec_b32 s0, s6
	s_cbranch_execnz .LBB95_68
.LBB95_52:
	s_or_b32 exec_lo, exec_lo, s0
	s_and_saveexec_b32 s0, s7
	s_cbranch_execnz .LBB95_69
.LBB95_53:
	s_or_b32 exec_lo, exec_lo, s0
	s_and_saveexec_b32 s0, s8
	s_cbranch_execnz .LBB95_70
.LBB95_54:
	s_or_b32 exec_lo, exec_lo, s0
	s_and_saveexec_b32 s0, s9
	s_cbranch_execnz .LBB95_71
.LBB95_55:
	s_or_b32 exec_lo, exec_lo, s0
	s_and_saveexec_b32 s0, s10
	s_cbranch_execnz .LBB95_72
.LBB95_56:
	s_or_b32 exec_lo, exec_lo, s0
	s_and_saveexec_b32 s0, s11
	s_cbranch_execnz .LBB95_73
.LBB95_57:
	s_or_b32 exec_lo, exec_lo, s0
	s_and_saveexec_b32 s0, s12
	s_cbranch_execnz .LBB95_74
.LBB95_58:
	s_or_b32 exec_lo, exec_lo, s0
	s_and_saveexec_b32 s0, s13
	s_cbranch_execnz .LBB95_75
.LBB95_59:
	s_or_b32 exec_lo, exec_lo, s0
	s_and_saveexec_b32 s0, s14
	s_cbranch_execnz .LBB95_76
.LBB95_60:
	s_or_b32 exec_lo, exec_lo, s0
	s_and_saveexec_b32 s0, s15
	s_cbranch_execnz .LBB95_77
.LBB95_61:
	s_or_b32 exec_lo, exec_lo, s0
	s_and_saveexec_b32 s0, s16
	s_cbranch_execnz .LBB95_78
.LBB95_62:
	s_nop 0
	s_sendmsg sendmsg(MSG_DEALLOC_VGPRS)
	s_endpgm
.LBB95_63:
	ds_load_b64 v[32:33], v78
	s_waitcnt lgkmcnt(0)
	global_store_b64 v[2:3], v[32:33], off
	s_or_b32 exec_lo, exec_lo, s0
	s_and_saveexec_b32 s0, s2
	s_cbranch_execz .LBB95_48
.LBB95_64:
	global_store_b64 v[2:3], v[30:31], off offset:2048
	s_or_b32 exec_lo, exec_lo, s0
	s_and_saveexec_b32 s0, s3
	s_cbranch_execz .LBB95_49
.LBB95_65:
	v_add_co_u32 v30, vcc_lo, 0x1000, v2
	v_add_co_ci_u32_e32 v31, vcc_lo, 0, v3, vcc_lo
	global_store_b64 v[30:31], v[28:29], off
	s_or_b32 exec_lo, exec_lo, s0
	s_and_saveexec_b32 s0, s4
	s_cbranch_execz .LBB95_50
.LBB95_66:
	v_add_co_u32 v28, vcc_lo, 0x1000, v2
	v_add_co_ci_u32_e32 v29, vcc_lo, 0, v3, vcc_lo
	global_store_b64 v[28:29], v[26:27], off offset:2048
	s_or_b32 exec_lo, exec_lo, s0
	s_and_saveexec_b32 s0, s5
	s_cbranch_execz .LBB95_51
.LBB95_67:
	v_add_co_u32 v26, vcc_lo, 0x2000, v2
	v_add_co_ci_u32_e32 v27, vcc_lo, 0, v3, vcc_lo
	global_store_b64 v[26:27], v[24:25], off
	s_or_b32 exec_lo, exec_lo, s0
	s_and_saveexec_b32 s0, s6
	s_cbranch_execz .LBB95_52
.LBB95_68:
	v_add_co_u32 v24, vcc_lo, 0x2000, v2
	v_add_co_ci_u32_e32 v25, vcc_lo, 0, v3, vcc_lo
	global_store_b64 v[24:25], v[22:23], off offset:2048
	s_or_b32 exec_lo, exec_lo, s0
	s_and_saveexec_b32 s0, s7
	s_cbranch_execz .LBB95_53
.LBB95_69:
	v_add_co_u32 v22, vcc_lo, 0x3000, v2
	v_add_co_ci_u32_e32 v23, vcc_lo, 0, v3, vcc_lo
	global_store_b64 v[22:23], v[20:21], off
	s_or_b32 exec_lo, exec_lo, s0
	s_and_saveexec_b32 s0, s8
	s_cbranch_execz .LBB95_54
.LBB95_70:
	v_add_co_u32 v20, vcc_lo, 0x3000, v2
	v_add_co_ci_u32_e32 v21, vcc_lo, 0, v3, vcc_lo
	global_store_b64 v[20:21], v[18:19], off offset:2048
	s_or_b32 exec_lo, exec_lo, s0
	s_and_saveexec_b32 s0, s9
	s_cbranch_execz .LBB95_55
.LBB95_71:
	v_add_co_u32 v18, vcc_lo, 0x4000, v2
	v_add_co_ci_u32_e32 v19, vcc_lo, 0, v3, vcc_lo
	global_store_b64 v[18:19], v[16:17], off
	s_or_b32 exec_lo, exec_lo, s0
	s_and_saveexec_b32 s0, s10
	s_cbranch_execz .LBB95_56
.LBB95_72:
	v_add_co_u32 v16, vcc_lo, 0x4000, v2
	v_add_co_ci_u32_e32 v17, vcc_lo, 0, v3, vcc_lo
	global_store_b64 v[16:17], v[14:15], off offset:2048
	s_or_b32 exec_lo, exec_lo, s0
	s_and_saveexec_b32 s0, s11
	s_cbranch_execz .LBB95_57
.LBB95_73:
	v_add_co_u32 v14, vcc_lo, 0x5000, v2
	v_add_co_ci_u32_e32 v15, vcc_lo, 0, v3, vcc_lo
	global_store_b64 v[14:15], v[12:13], off
	s_or_b32 exec_lo, exec_lo, s0
	s_and_saveexec_b32 s0, s12
	s_cbranch_execz .LBB95_58
.LBB95_74:
	v_add_co_u32 v12, vcc_lo, 0x5000, v2
	v_add_co_ci_u32_e32 v13, vcc_lo, 0, v3, vcc_lo
	global_store_b64 v[12:13], v[10:11], off offset:2048
	s_or_b32 exec_lo, exec_lo, s0
	s_and_saveexec_b32 s0, s13
	s_cbranch_execz .LBB95_59
.LBB95_75:
	v_add_co_u32 v10, vcc_lo, 0x6000, v2
	v_add_co_ci_u32_e32 v11, vcc_lo, 0, v3, vcc_lo
	global_store_b64 v[10:11], v[8:9], off
	s_or_b32 exec_lo, exec_lo, s0
	s_and_saveexec_b32 s0, s14
	s_cbranch_execz .LBB95_60
.LBB95_76:
	v_add_co_u32 v8, vcc_lo, 0x6000, v2
	v_add_co_ci_u32_e32 v9, vcc_lo, 0, v3, vcc_lo
	global_store_b64 v[8:9], v[6:7], off offset:2048
	s_or_b32 exec_lo, exec_lo, s0
	s_and_saveexec_b32 s0, s15
	s_cbranch_execz .LBB95_61
.LBB95_77:
	v_add_co_u32 v6, vcc_lo, 0x7000, v2
	v_add_co_ci_u32_e32 v7, vcc_lo, 0, v3, vcc_lo
	global_store_b64 v[6:7], v[4:5], off
	s_or_b32 exec_lo, exec_lo, s0
	s_and_saveexec_b32 s0, s16
	s_cbranch_execz .LBB95_62
.LBB95_78:
	v_add_co_u32 v2, vcc_lo, 0x7000, v2
	v_add_co_ci_u32_e32 v3, vcc_lo, 0, v3, vcc_lo
	global_store_b64 v[2:3], v[0:1], off offset:2048
	s_nop 0
	s_sendmsg sendmsg(MSG_DEALLOC_VGPRS)
	s_endpgm
	.section	.rodata,"a",@progbits
	.p2align	6, 0x0
	.amdhsa_kernel _ZN7rocprim17ROCPRIM_304000_NS6detail18single_scan_kernelILb0ENS1_19wrapped_scan_configINS0_14default_configEN3c107complexIfEEEEPKS7_PS7_St4plusIS7_ES7_S7_EEvT1_mT4_T2_T3_
		.amdhsa_group_segment_fixed_size 33792
		.amdhsa_private_segment_fixed_size 0
		.amdhsa_kernarg_size 36
		.amdhsa_user_sgpr_count 15
		.amdhsa_user_sgpr_dispatch_ptr 0
		.amdhsa_user_sgpr_queue_ptr 0
		.amdhsa_user_sgpr_kernarg_segment_ptr 1
		.amdhsa_user_sgpr_dispatch_id 0
		.amdhsa_user_sgpr_private_segment_size 0
		.amdhsa_wavefront_size32 1
		.amdhsa_uses_dynamic_stack 0
		.amdhsa_enable_private_segment 0
		.amdhsa_system_sgpr_workgroup_id_x 1
		.amdhsa_system_sgpr_workgroup_id_y 0
		.amdhsa_system_sgpr_workgroup_id_z 0
		.amdhsa_system_sgpr_workgroup_info 0
		.amdhsa_system_vgpr_workitem_id 0
		.amdhsa_next_free_vgpr 105
		.amdhsa_next_free_sgpr 22
		.amdhsa_reserve_vcc 1
		.amdhsa_float_round_mode_32 0
		.amdhsa_float_round_mode_16_64 0
		.amdhsa_float_denorm_mode_32 3
		.amdhsa_float_denorm_mode_16_64 3
		.amdhsa_dx10_clamp 1
		.amdhsa_ieee_mode 1
		.amdhsa_fp16_overflow 0
		.amdhsa_workgroup_processor_mode 1
		.amdhsa_memory_ordered 1
		.amdhsa_forward_progress 0
		.amdhsa_shared_vgpr_count 0
		.amdhsa_exception_fp_ieee_invalid_op 0
		.amdhsa_exception_fp_denorm_src 0
		.amdhsa_exception_fp_ieee_div_zero 0
		.amdhsa_exception_fp_ieee_overflow 0
		.amdhsa_exception_fp_ieee_underflow 0
		.amdhsa_exception_fp_ieee_inexact 0
		.amdhsa_exception_int_div_zero 0
	.end_amdhsa_kernel
	.section	.text._ZN7rocprim17ROCPRIM_304000_NS6detail18single_scan_kernelILb0ENS1_19wrapped_scan_configINS0_14default_configEN3c107complexIfEEEEPKS7_PS7_St4plusIS7_ES7_S7_EEvT1_mT4_T2_T3_,"axG",@progbits,_ZN7rocprim17ROCPRIM_304000_NS6detail18single_scan_kernelILb0ENS1_19wrapped_scan_configINS0_14default_configEN3c107complexIfEEEEPKS7_PS7_St4plusIS7_ES7_S7_EEvT1_mT4_T2_T3_,comdat
.Lfunc_end95:
	.size	_ZN7rocprim17ROCPRIM_304000_NS6detail18single_scan_kernelILb0ENS1_19wrapped_scan_configINS0_14default_configEN3c107complexIfEEEEPKS7_PS7_St4plusIS7_ES7_S7_EEvT1_mT4_T2_T3_, .Lfunc_end95-_ZN7rocprim17ROCPRIM_304000_NS6detail18single_scan_kernelILb0ENS1_19wrapped_scan_configINS0_14default_configEN3c107complexIfEEEEPKS7_PS7_St4plusIS7_ES7_S7_EEvT1_mT4_T2_T3_
                                        ; -- End function
	.section	.AMDGPU.csdata,"",@progbits
; Kernel info:
; codeLenInByte = 3668
; NumSgprs: 24
; NumVgprs: 105
; ScratchSize: 0
; MemoryBound: 0
; FloatMode: 240
; IeeeMode: 1
; LDSByteSize: 33792 bytes/workgroup (compile time only)
; SGPRBlocks: 2
; VGPRBlocks: 13
; NumSGPRsForWavesPerEU: 24
; NumVGPRsForWavesPerEU: 105
; Occupancy: 6
; WaveLimiterHint : 0
; COMPUTE_PGM_RSRC2:SCRATCH_EN: 0
; COMPUTE_PGM_RSRC2:USER_SGPR: 15
; COMPUTE_PGM_RSRC2:TRAP_HANDLER: 0
; COMPUTE_PGM_RSRC2:TGID_X_EN: 1
; COMPUTE_PGM_RSRC2:TGID_Y_EN: 0
; COMPUTE_PGM_RSRC2:TGID_Z_EN: 0
; COMPUTE_PGM_RSRC2:TIDIG_COMP_CNT: 0
	.section	.text._ZN2at6native32tensor_kernel_scan_innermost_dimIN3c107complexIfEESt4plusIS4_EEEvPT_PKS7_jjjS7_T0_,"axG",@progbits,_ZN2at6native32tensor_kernel_scan_innermost_dimIN3c107complexIfEESt4plusIS4_EEEvPT_PKS7_jjjS7_T0_,comdat
	.protected	_ZN2at6native32tensor_kernel_scan_innermost_dimIN3c107complexIfEESt4plusIS4_EEEvPT_PKS7_jjjS7_T0_ ; -- Begin function _ZN2at6native32tensor_kernel_scan_innermost_dimIN3c107complexIfEESt4plusIS4_EEEvPT_PKS7_jjjS7_T0_
	.globl	_ZN2at6native32tensor_kernel_scan_innermost_dimIN3c107complexIfEESt4plusIS4_EEEvPT_PKS7_jjjS7_T0_
	.p2align	8
	.type	_ZN2at6native32tensor_kernel_scan_innermost_dimIN3c107complexIfEESt4plusIS4_EEEvPT_PKS7_jjjS7_T0_,@function
_ZN2at6native32tensor_kernel_scan_innermost_dimIN3c107complexIfEESt4plusIS4_EEEvPT_PKS7_jjjS7_T0_: ; @_ZN2at6native32tensor_kernel_scan_innermost_dimIN3c107complexIfEESt4plusIS4_EEEvPT_PKS7_jjjS7_T0_
; %bb.0:
	s_clause 0x1
	s_load_b256 s[16:23], s[0:1], 0x0
	s_load_b64 s[6:7], s[0:1], 0x20
	v_bfe_u32 v9, v0, 10, 10
	s_waitcnt lgkmcnt(0)
	s_lshl_b32 s5, 2, s22
	s_mul_hi_u32 s2, s20, s21
	s_delay_alu instid0(VALU_DEP_1) | instskip(SKIP_3) | instid1(VALU_DEP_1)
	v_mul_lo_u32 v1, s5, v9
	s_mov_b32 s8, s20
	s_cmp_lg_u32 s2, 0
	s_mov_b32 s2, -1
	v_lshl_add_u32 v10, v1, 3, 0
	s_cbranch_scc1 .LBB96_30
; %bb.1:
	s_load_b32 s4, s[0:1], 0x3c
	s_add_u32 s2, s0, 48
	s_addc_u32 s3, s1, 0
	s_waitcnt lgkmcnt(0)
	s_lshr_b32 s4, s4, 16
	s_delay_alu instid0(SALU_CYCLE_1) | instskip(NEXT) | instid1(SALU_CYCLE_1)
	s_mul_i32 s9, s15, s4
	s_cmp_ge_u32 s9, s20
	s_cbranch_scc1 .LBB96_29
; %bb.2:
	s_load_b32 s12, s[2:3], 0x0
	v_dual_mov_b32 v2, 0 :: v_dual_and_b32 v7, 0x3ff, v0
	s_lshl_b32 s10, 1, s22
	s_cmp_lg_u32 s21, 0
	s_delay_alu instid0(VALU_DEP_1)
	v_lshl_add_u32 v8, v7, 3, v10
	s_cselect_b32 s11, -1, 0
	s_lshl_b32 s3, s5, 3
	v_cmp_eq_u32_e64 s2, 0, v7
	v_add3_u32 v11, v10, s3, -8
	v_lshl_add_u32 v12, s10, 3, v8
	s_add_i32 s13, s22, 1
	s_waitcnt lgkmcnt(0)
	s_mul_i32 s12, s12, s4
	s_branch .LBB96_4
.LBB96_3:                               ;   in Loop: Header=BB96_4 Depth=1
	s_add_i32 s9, s9, s12
	s_delay_alu instid0(SALU_CYCLE_1)
	s_cmp_ge_u32 s9, s20
	s_cbranch_scc1 .LBB96_29
.LBB96_4:                               ; =>This Loop Header: Depth=1
                                        ;     Child Loop BB96_7 Depth 2
                                        ;       Child Loop BB96_18 Depth 3
	s_and_not1_b32 vcc_lo, exec_lo, s11
	s_cbranch_vccnz .LBB96_3
; %bb.5:                                ;   in Loop: Header=BB96_4 Depth=1
	v_dual_mov_b32 v6, s7 :: v_dual_add_nc_u32 v5, s9, v9
	s_mov_b32 s14, 0
	s_delay_alu instid0(VALU_DEP_1) | instskip(SKIP_3) | instid1(VALU_DEP_4)
	v_mul_lo_u32 v1, v5, s21
	v_cmp_gt_u32_e32 vcc_lo, s20, v5
	v_cmp_le_u32_e64 s3, s20, v5
	v_mov_b32_e32 v5, s6
	v_lshlrev_b64 v[3:4], 3, v[1:2]
	s_delay_alu instid0(VALU_DEP_1) | instskip(NEXT) | instid1(VALU_DEP_1)
	v_add_co_u32 v13, s4, s18, v3
	v_add_co_ci_u32_e64 v14, s4, s19, v4, s4
	v_add_co_u32 v15, s4, s16, v3
	s_delay_alu instid0(VALU_DEP_1)
	v_add_co_ci_u32_e64 v16, s4, s17, v4, s4
	s_branch .LBB96_7
.LBB96_6:                               ;   in Loop: Header=BB96_7 Depth=2
	s_or_b32 exec_lo, exec_lo, s23
	ds_load_b64 v[5:6], v11
	s_add_i32 s14, s14, s5
	s_waitcnt lgkmcnt(0)
	s_waitcnt_vscnt null, 0x0
	s_cmp_ge_u32 s14, s21
	s_barrier
	buffer_gl0_inv
	s_cbranch_scc1 .LBB96_3
.LBB96_7:                               ;   Parent Loop BB96_4 Depth=1
                                        ; =>  This Loop Header: Depth=2
                                        ;       Child Loop BB96_18 Depth 3
	v_add_nc_u32_e32 v1, s14, v7
	s_delay_alu instid0(VALU_DEP_1)
	v_add_nc_u32_e32 v3, s10, v1
	s_and_saveexec_b32 s23, vcc_lo
	s_cbranch_execz .LBB96_16
; %bb.8:                                ;   in Loop: Header=BB96_7 Depth=2
	v_cmp_le_u32_e64 s4, s21, v1
	s_delay_alu instid0(VALU_DEP_1) | instskip(NEXT) | instid1(SALU_CYCLE_1)
	s_and_saveexec_b32 s24, s4
	s_xor_b32 s4, exec_lo, s24
	s_cbranch_execz .LBB96_10
; %bb.9:                                ;   in Loop: Header=BB96_7 Depth=2
	v_dual_mov_b32 v17, s6 :: v_dual_mov_b32 v18, s7
	ds_store_b64 v8, v[17:18]
.LBB96_10:                              ;   in Loop: Header=BB96_7 Depth=2
	s_and_not1_saveexec_b32 s24, s4
	s_cbranch_execz .LBB96_12
; %bb.11:                               ;   in Loop: Header=BB96_7 Depth=2
	v_lshlrev_b64 v[17:18], 3, v[1:2]
	s_delay_alu instid0(VALU_DEP_1) | instskip(NEXT) | instid1(VALU_DEP_1)
	v_add_co_u32 v17, s4, v13, v17
	v_add_co_ci_u32_e64 v18, s4, v14, v18, s4
	global_load_b64 v[17:18], v[17:18], off
	s_waitcnt vmcnt(0)
	ds_store_b64 v8, v[17:18]
.LBB96_12:                              ;   in Loop: Header=BB96_7 Depth=2
	s_or_b32 exec_lo, exec_lo, s24
	v_cmp_le_u32_e64 s4, s21, v3
	s_delay_alu instid0(VALU_DEP_1) | instskip(NEXT) | instid1(SALU_CYCLE_1)
	s_and_saveexec_b32 s24, s4
	s_xor_b32 s4, exec_lo, s24
	s_cbranch_execnz .LBB96_27
; %bb.13:                               ;   in Loop: Header=BB96_7 Depth=2
	s_and_not1_saveexec_b32 s24, s4
	s_cbranch_execnz .LBB96_28
.LBB96_14:                              ;   in Loop: Header=BB96_7 Depth=2
	s_or_b32 exec_lo, exec_lo, s24
	s_delay_alu instid0(SALU_CYCLE_1)
	s_and_b32 exec_lo, exec_lo, s2
	s_cbranch_execz .LBB96_16
.LBB96_15:                              ;   in Loop: Header=BB96_7 Depth=2
	ds_load_b64 v[17:18], v10
	s_waitcnt lgkmcnt(0)
	v_dual_add_f32 v4, v5, v17 :: v_dual_add_f32 v5, v6, v18
	ds_store_b64 v10, v[4:5]
.LBB96_16:                              ;   in Loop: Header=BB96_7 Depth=2
	s_or_b32 exec_lo, exec_lo, s23
	v_mov_b32_e32 v4, 0
	s_mov_b32 s23, 0
	s_waitcnt lgkmcnt(0)
	s_barrier
	buffer_gl0_inv
	s_set_inst_prefetch_distance 0x1
	s_branch .LBB96_18
	.p2align	6
.LBB96_17:                              ;   in Loop: Header=BB96_18 Depth=3
	s_or_b32 exec_lo, exec_lo, s4
	s_delay_alu instid0(VALU_DEP_1) | instskip(SKIP_4) | instid1(SALU_CYCLE_1)
	v_cmp_eq_u32_e64 s4, s13, v4
	s_waitcnt lgkmcnt(0)
	s_barrier
	buffer_gl0_inv
	s_or_b32 s23, s4, s23
	s_and_not1_b32 exec_lo, exec_lo, s23
	s_cbranch_execz .LBB96_22
.LBB96_18:                              ;   Parent Loop BB96_4 Depth=1
                                        ;     Parent Loop BB96_7 Depth=2
                                        ; =>    This Inner Loop Header: Depth=3
	v_add_nc_u32_e32 v5, 1, v4
	s_and_saveexec_b32 s4, s3
	s_delay_alu instid0(SALU_CYCLE_1)
	s_xor_b32 s4, exec_lo, s4
; %bb.19:                               ;   in Loop: Header=BB96_18 Depth=3
	v_add_nc_u32_e32 v4, 1, v4
                                        ; implicit-def: $vgpr5
; %bb.20:                               ;   in Loop: Header=BB96_18 Depth=3
	s_and_not1_saveexec_b32 s4, s4
	s_cbranch_execz .LBB96_17
; %bb.21:                               ;   in Loop: Header=BB96_18 Depth=3
	s_delay_alu instid0(VALU_DEP_1) | instskip(SKIP_2) | instid1(VALU_DEP_2)
	v_lshlrev_b32_e64 v6, v4, 1
	v_lshrrev_b32_e32 v17, v4, v7
	v_bfm_b32 v4, v4, 0
	v_lshl_or_b32 v6, v17, v5, v6
	s_delay_alu instid0(VALU_DEP_2) | instskip(NEXT) | instid1(VALU_DEP_2)
	v_and_b32_e32 v4, v4, v7
	v_lshl_add_u32 v6, v6, 3, v10
	s_delay_alu instid0(VALU_DEP_1)
	v_lshl_add_u32 v21, v4, 3, v6
	v_add_nc_u32_e32 v4, -8, v6
	ds_load_b64 v[17:18], v21
	ds_load_b64 v[19:20], v4
	s_waitcnt lgkmcnt(0)
	v_dual_mov_b32 v4, v5 :: v_dual_add_f32 v17, v19, v17
	v_add_f32_e32 v18, v20, v18
	ds_store_b64 v21, v[17:18]
	s_branch .LBB96_17
.LBB96_22:                              ;   in Loop: Header=BB96_7 Depth=2
	s_set_inst_prefetch_distance 0x2
	s_or_b32 exec_lo, exec_lo, s23
	s_and_saveexec_b32 s23, vcc_lo
	s_cbranch_execz .LBB96_6
; %bb.23:                               ;   in Loop: Header=BB96_7 Depth=2
	s_mov_b32 s24, exec_lo
	v_cmpx_gt_u32_e64 s21, v1
	s_cbranch_execz .LBB96_25
; %bb.24:                               ;   in Loop: Header=BB96_7 Depth=2
	ds_load_b64 v[4:5], v8
	v_lshlrev_b64 v[17:18], 3, v[1:2]
	s_delay_alu instid0(VALU_DEP_1) | instskip(NEXT) | instid1(VALU_DEP_1)
	v_add_co_u32 v17, s4, v15, v17
	v_add_co_ci_u32_e64 v18, s4, v16, v18, s4
	s_waitcnt lgkmcnt(0)
	global_store_b64 v[17:18], v[4:5], off
.LBB96_25:                              ;   in Loop: Header=BB96_7 Depth=2
	s_or_b32 exec_lo, exec_lo, s24
	v_cmp_gt_u32_e64 s4, s21, v3
	s_delay_alu instid0(VALU_DEP_1)
	s_and_b32 exec_lo, exec_lo, s4
	s_cbranch_execz .LBB96_6
; %bb.26:                               ;   in Loop: Header=BB96_7 Depth=2
	ds_load_b64 v[5:6], v12
	v_mov_b32_e32 v4, v2
	s_delay_alu instid0(VALU_DEP_1) | instskip(NEXT) | instid1(VALU_DEP_1)
	v_lshlrev_b64 v[3:4], 3, v[3:4]
	v_add_co_u32 v3, s4, v15, v3
	s_delay_alu instid0(VALU_DEP_1)
	v_add_co_ci_u32_e64 v4, s4, v16, v4, s4
	s_waitcnt lgkmcnt(0)
	global_store_b64 v[3:4], v[5:6], off
	s_branch .LBB96_6
.LBB96_27:                              ;   in Loop: Header=BB96_7 Depth=2
	v_dual_mov_b32 v17, s6 :: v_dual_mov_b32 v18, s7
	ds_store_b64 v12, v[17:18]
	s_and_not1_saveexec_b32 s24, s4
	s_cbranch_execz .LBB96_14
.LBB96_28:                              ;   in Loop: Header=BB96_7 Depth=2
	v_mov_b32_e32 v4, v2
	s_delay_alu instid0(VALU_DEP_1) | instskip(NEXT) | instid1(VALU_DEP_1)
	v_lshlrev_b64 v[17:18], 3, v[3:4]
	v_add_co_u32 v17, s4, v13, v17
	s_delay_alu instid0(VALU_DEP_1) | instskip(SKIP_4) | instid1(SALU_CYCLE_1)
	v_add_co_ci_u32_e64 v18, s4, v14, v18, s4
	global_load_b64 v[17:18], v[17:18], off
	s_waitcnt vmcnt(0)
	ds_store_b64 v12, v[17:18]
	s_or_b32 exec_lo, exec_lo, s24
	s_and_b32 exec_lo, exec_lo, s2
	s_cbranch_execnz .LBB96_15
	s_branch .LBB96_16
.LBB96_29:
	s_mov_b32 s2, 0
.LBB96_30:
	s_delay_alu instid0(SALU_CYCLE_1)
	s_and_not1_b32 vcc_lo, exec_lo, s2
	s_cbranch_vccnz .LBB96_61
; %bb.31:
	s_load_b32 s2, s[0:1], 0x3c
	s_add_u32 s0, s0, 48
	s_addc_u32 s1, s1, 0
	s_mov_b32 s9, 0
	s_waitcnt lgkmcnt(0)
	s_lshr_b32 s2, s2, 16
	s_delay_alu instid0(SALU_CYCLE_1) | instskip(SKIP_1) | instid1(SALU_CYCLE_1)
	s_mul_hi_u32 s5, s2, s15
	s_mul_i32 s4, s2, s15
	v_cmp_ge_u64_e64 s3, s[4:5], s[8:9]
	s_delay_alu instid0(VALU_DEP_1)
	s_and_b32 vcc_lo, exec_lo, s3
	s_cbranch_vccnz .LBB96_61
; %bb.32:
	s_load_b32 s1, s[0:1], 0x0
	v_dual_mov_b32 v1, 0 :: v_dual_and_b32 v0, 0x3ff, v0
	s_lshl_b32 s10, 1, s22
	s_and_b32 s2, 0xffff, s2
	s_ashr_i32 s11, s10, 31
	s_cmp_lg_u32 s21, 0
	v_lshl_add_u32 v11, v0, 3, v10
	s_cselect_b32 s3, -1, 0
	s_lshl_b64 s[14:15], s[10:11], 1
	v_cmp_eq_u32_e64 s0, 0, v0
	s_lshl_b32 s13, s14, 3
	v_lshl_add_u32 v13, s10, 3, v11
	v_add3_u32 v12, v10, s13, -8
	s_mov_b32 s12, s21
	s_mov_b32 s13, s9
	s_add_i32 s22, s22, 1
	s_waitcnt lgkmcnt(0)
	s_mul_i32 s23, s1, s2
	s_branch .LBB96_34
.LBB96_33:                              ;   in Loop: Header=BB96_34 Depth=1
	s_add_u32 s4, s4, s23
	s_addc_u32 s5, s5, 0
	s_delay_alu instid0(SALU_CYCLE_1) | instskip(NEXT) | instid1(VALU_DEP_1)
	v_cmp_ge_u64_e64 s1, s[4:5], s[8:9]
	s_and_b32 vcc_lo, exec_lo, s1
	s_cbranch_vccnz .LBB96_61
.LBB96_34:                              ; =>This Loop Header: Depth=1
                                        ;     Child Loop BB96_37 Depth 2
                                        ;       Child Loop BB96_49 Depth 3
	s_and_not1_b32 vcc_lo, exec_lo, s3
	s_cbranch_vccnz .LBB96_33
; %bb.35:                               ;   in Loop: Header=BB96_34 Depth=1
	v_add_co_u32 v2, s1, s4, v9
	s_delay_alu instid0(VALU_DEP_1) | instskip(SKIP_1) | instid1(VALU_DEP_2)
	v_add_co_ci_u32_e64 v3, null, s5, 0, s1
	s_mov_b64 s[20:21], 0
	v_mad_u64_u32 v[4:5], null, v2, s12, 0
	s_delay_alu instid0(VALU_DEP_2) | instskip(SKIP_1) | instid1(VALU_DEP_3)
	v_cmp_gt_u64_e64 s1, s[8:9], v[2:3]
	v_cmp_le_u64_e64 s2, s[8:9], v[2:3]
	v_mad_u64_u32 v[6:7], null, v3, s12, v[5:6]
	v_mov_b32_e32 v7, s7
	s_delay_alu instid0(VALU_DEP_2) | instskip(NEXT) | instid1(VALU_DEP_1)
	v_dual_mov_b32 v5, v6 :: v_dual_mov_b32 v6, s6
	v_lshlrev_b64 v[4:5], 3, v[4:5]
	s_delay_alu instid0(VALU_DEP_1) | instskip(NEXT) | instid1(VALU_DEP_2)
	v_add_co_u32 v14, vcc_lo, s18, v4
	v_add_co_ci_u32_e32 v15, vcc_lo, s19, v5, vcc_lo
	v_add_co_u32 v16, vcc_lo, s16, v4
	v_add_co_ci_u32_e32 v17, vcc_lo, s17, v5, vcc_lo
	s_branch .LBB96_37
.LBB96_36:                              ;   in Loop: Header=BB96_37 Depth=2
	s_or_b32 exec_lo, exec_lo, s24
	ds_load_b64 v[6:7], v12
	s_add_u32 s20, s20, s14
	s_addc_u32 s21, s21, s15
	s_waitcnt lgkmcnt(0)
	s_waitcnt_vscnt null, 0x0
	v_cmp_ge_u64_e64 s24, s[20:21], s[12:13]
	s_barrier
	buffer_gl0_inv
	s_and_b32 vcc_lo, exec_lo, s24
	s_cbranch_vccnz .LBB96_33
.LBB96_37:                              ;   Parent Loop BB96_34 Depth=1
                                        ; =>  This Loop Header: Depth=2
                                        ;       Child Loop BB96_49 Depth 3
	v_add_co_u32 v4, s24, s20, v0
	s_delay_alu instid0(VALU_DEP_1) | instskip(NEXT) | instid1(VALU_DEP_2)
	v_add_co_ci_u32_e64 v5, null, s21, 0, s24
	v_add_co_u32 v2, vcc_lo, v4, s10
	s_delay_alu instid0(VALU_DEP_2)
	v_add_co_ci_u32_e32 v3, vcc_lo, s11, v5, vcc_lo
	s_and_saveexec_b32 s24, s1
	s_cbranch_execz .LBB96_46
; %bb.38:                               ;   in Loop: Header=BB96_37 Depth=2
	s_mov_b32 s25, exec_lo
	v_cmpx_le_u64_e64 s[12:13], v[4:5]
	s_xor_b32 s25, exec_lo, s25
	s_cbranch_execz .LBB96_40
; %bb.39:                               ;   in Loop: Header=BB96_37 Depth=2
	v_dual_mov_b32 v18, s6 :: v_dual_mov_b32 v19, s7
	ds_store_b64 v11, v[18:19]
.LBB96_40:                              ;   in Loop: Header=BB96_37 Depth=2
	s_and_not1_saveexec_b32 s25, s25
	s_cbranch_execz .LBB96_42
; %bb.41:                               ;   in Loop: Header=BB96_37 Depth=2
	v_lshlrev_b64 v[18:19], 3, v[4:5]
	s_delay_alu instid0(VALU_DEP_1) | instskip(NEXT) | instid1(VALU_DEP_2)
	v_add_co_u32 v18, vcc_lo, v14, v18
	v_add_co_ci_u32_e32 v19, vcc_lo, v15, v19, vcc_lo
	global_load_b64 v[18:19], v[18:19], off
	s_waitcnt vmcnt(0)
	ds_store_b64 v11, v[18:19]
.LBB96_42:                              ;   in Loop: Header=BB96_37 Depth=2
	s_or_b32 exec_lo, exec_lo, s25
	s_delay_alu instid0(SALU_CYCLE_1)
	s_mov_b32 s25, exec_lo
	v_cmpx_le_u64_e64 s[12:13], v[2:3]
	s_xor_b32 s25, exec_lo, s25
	s_cbranch_execnz .LBB96_59
; %bb.43:                               ;   in Loop: Header=BB96_37 Depth=2
	s_and_not1_saveexec_b32 s25, s25
	s_cbranch_execnz .LBB96_60
.LBB96_44:                              ;   in Loop: Header=BB96_37 Depth=2
	s_or_b32 exec_lo, exec_lo, s25
	s_delay_alu instid0(SALU_CYCLE_1)
	s_and_b32 exec_lo, exec_lo, s0
	s_cbranch_execz .LBB96_46
.LBB96_45:                              ;   in Loop: Header=BB96_37 Depth=2
	ds_load_b64 v[18:19], v10
	s_waitcnt lgkmcnt(0)
	v_dual_add_f32 v6, v6, v18 :: v_dual_add_f32 v7, v7, v19
	ds_store_b64 v10, v[6:7]
.LBB96_46:                              ;   in Loop: Header=BB96_37 Depth=2
	s_or_b32 exec_lo, exec_lo, s24
	v_mov_b32_e32 v19, 0
	s_mov_b32 s24, 0
	s_waitcnt lgkmcnt(0)
	s_barrier
	buffer_gl0_inv
	s_branch .LBB96_49
.LBB96_47:                              ;   in Loop: Header=BB96_49 Depth=3
	s_or_b32 exec_lo, exec_lo, s26
	v_lshrrev_b32_e32 v8, v19, v0
	s_delay_alu instid0(VALU_DEP_1) | instskip(NEXT) | instid1(VALU_DEP_1)
	v_lshl_or_b32 v6, v8, v18, v6
	v_lshl_add_u32 v6, v6, 3, v10
	s_delay_alu instid0(VALU_DEP_1)
	v_lshl_add_u32 v8, v7, 3, v6
	v_add_nc_u32_e32 v19, -8, v6
	ds_load_b64 v[6:7], v8
	ds_load_b64 v[19:20], v19
	s_waitcnt lgkmcnt(0)
	v_dual_add_f32 v6, v19, v6 :: v_dual_add_f32 v7, v20, v7
	ds_store_b64 v8, v[6:7]
.LBB96_48:                              ;   in Loop: Header=BB96_49 Depth=3
	s_or_b32 exec_lo, exec_lo, s25
	s_delay_alu instid0(VALU_DEP_1)
	v_cmp_eq_u32_e32 vcc_lo, s22, v18
	v_mov_b32_e32 v19, v18
	s_waitcnt lgkmcnt(0)
	s_barrier
	buffer_gl0_inv
	s_or_b32 s24, vcc_lo, s24
	s_delay_alu instid0(SALU_CYCLE_1)
	s_and_not1_b32 exec_lo, exec_lo, s24
	s_cbranch_execz .LBB96_54
.LBB96_49:                              ;   Parent Loop BB96_34 Depth=1
                                        ;     Parent Loop BB96_37 Depth=2
                                        ; =>    This Inner Loop Header: Depth=3
	v_add_nc_u32_e32 v18, 1, v19
	s_and_saveexec_b32 s25, s2
	s_delay_alu instid0(SALU_CYCLE_1)
	s_xor_b32 s25, exec_lo, s25
; %bb.50:                               ;   in Loop: Header=BB96_49 Depth=3
	v_add_nc_u32_e32 v18, 1, v19
                                        ; implicit-def: $vgpr19
; %bb.51:                               ;   in Loop: Header=BB96_49 Depth=3
	s_and_not1_saveexec_b32 s25, s25
	s_cbranch_execz .LBB96_48
; %bb.52:                               ;   in Loop: Header=BB96_49 Depth=3
	v_lshlrev_b32_e64 v6, v19, 1
	s_delay_alu instid0(VALU_DEP_1) | instskip(NEXT) | instid1(VALU_DEP_1)
	v_ashrrev_i32_e32 v7, 31, v6
	v_cmp_ge_u64_e32 vcc_lo, v[0:1], v[6:7]
	v_dual_mov_b32 v8, v1 :: v_dual_mov_b32 v7, v0
	s_and_saveexec_b32 s26, vcc_lo
	s_cbranch_execz .LBB96_47
; %bb.53:                               ;   in Loop: Header=BB96_49 Depth=3
	v_cvt_f32_u32_e32 v7, v6
	v_sub_nc_u32_e32 v8, 0, v6
	s_delay_alu instid0(VALU_DEP_2) | instskip(SKIP_2) | instid1(VALU_DEP_1)
	v_rcp_iflag_f32_e32 v7, v7
	s_waitcnt_depctr 0xfff
	v_mul_f32_e32 v7, 0x4f7ffffe, v7
	v_cvt_u32_f32_e32 v7, v7
	s_delay_alu instid0(VALU_DEP_1) | instskip(NEXT) | instid1(VALU_DEP_1)
	v_mul_lo_u32 v8, v8, v7
	v_mul_hi_u32 v8, v7, v8
	s_delay_alu instid0(VALU_DEP_1) | instskip(NEXT) | instid1(VALU_DEP_1)
	v_add_nc_u32_e32 v7, v7, v8
	v_mul_hi_u32 v7, v0, v7
	s_delay_alu instid0(VALU_DEP_1) | instskip(NEXT) | instid1(VALU_DEP_1)
	v_mul_lo_u32 v7, v7, v6
	v_sub_nc_u32_e32 v7, v0, v7
	s_delay_alu instid0(VALU_DEP_1) | instskip(SKIP_1) | instid1(VALU_DEP_2)
	v_sub_nc_u32_e32 v8, v7, v6
	v_cmp_ge_u32_e32 vcc_lo, v7, v6
	v_cndmask_b32_e32 v7, v7, v8, vcc_lo
	s_delay_alu instid0(VALU_DEP_1) | instskip(SKIP_1) | instid1(VALU_DEP_2)
	v_sub_nc_u32_e32 v8, v7, v6
	v_cmp_ge_u32_e32 vcc_lo, v7, v6
	v_cndmask_b32_e32 v7, v7, v8, vcc_lo
	s_branch .LBB96_47
.LBB96_54:                              ;   in Loop: Header=BB96_37 Depth=2
	s_or_b32 exec_lo, exec_lo, s24
	s_and_saveexec_b32 s24, s1
	s_cbranch_execz .LBB96_36
; %bb.55:                               ;   in Loop: Header=BB96_37 Depth=2
	s_mov_b32 s25, exec_lo
	v_cmpx_gt_u64_e64 s[12:13], v[4:5]
	s_cbranch_execz .LBB96_57
; %bb.56:                               ;   in Loop: Header=BB96_37 Depth=2
	ds_load_b64 v[6:7], v11
	v_lshlrev_b64 v[4:5], 3, v[4:5]
	s_delay_alu instid0(VALU_DEP_1) | instskip(NEXT) | instid1(VALU_DEP_2)
	v_add_co_u32 v4, vcc_lo, v16, v4
	v_add_co_ci_u32_e32 v5, vcc_lo, v17, v5, vcc_lo
	s_waitcnt lgkmcnt(0)
	global_store_b64 v[4:5], v[6:7], off
.LBB96_57:                              ;   in Loop: Header=BB96_37 Depth=2
	s_or_b32 exec_lo, exec_lo, s25
	v_cmp_gt_u64_e32 vcc_lo, s[12:13], v[2:3]
	s_and_b32 exec_lo, exec_lo, vcc_lo
	s_cbranch_execz .LBB96_36
; %bb.58:                               ;   in Loop: Header=BB96_37 Depth=2
	ds_load_b64 v[4:5], v13
	v_lshlrev_b64 v[2:3], 3, v[2:3]
	s_delay_alu instid0(VALU_DEP_1) | instskip(NEXT) | instid1(VALU_DEP_2)
	v_add_co_u32 v2, vcc_lo, v16, v2
	v_add_co_ci_u32_e32 v3, vcc_lo, v17, v3, vcc_lo
	s_waitcnt lgkmcnt(0)
	global_store_b64 v[2:3], v[4:5], off
	s_branch .LBB96_36
.LBB96_59:                              ;   in Loop: Header=BB96_37 Depth=2
	v_dual_mov_b32 v18, s6 :: v_dual_mov_b32 v19, s7
	ds_store_b64 v13, v[18:19]
	s_and_not1_saveexec_b32 s25, s25
	s_cbranch_execz .LBB96_44
.LBB96_60:                              ;   in Loop: Header=BB96_37 Depth=2
	v_lshlrev_b64 v[18:19], 3, v[2:3]
	s_delay_alu instid0(VALU_DEP_1) | instskip(NEXT) | instid1(VALU_DEP_2)
	v_add_co_u32 v18, vcc_lo, v14, v18
	v_add_co_ci_u32_e32 v19, vcc_lo, v15, v19, vcc_lo
	global_load_b64 v[18:19], v[18:19], off
	s_waitcnt vmcnt(0)
	ds_store_b64 v13, v[18:19]
	s_or_b32 exec_lo, exec_lo, s25
	s_delay_alu instid0(SALU_CYCLE_1)
	s_and_b32 exec_lo, exec_lo, s0
	s_cbranch_execnz .LBB96_45
	s_branch .LBB96_46
.LBB96_61:
	s_endpgm
	.section	.rodata,"a",@progbits
	.p2align	6, 0x0
	.amdhsa_kernel _ZN2at6native32tensor_kernel_scan_innermost_dimIN3c107complexIfEESt4plusIS4_EEEvPT_PKS7_jjjS7_T0_
		.amdhsa_group_segment_fixed_size 0
		.amdhsa_private_segment_fixed_size 0
		.amdhsa_kernarg_size 304
		.amdhsa_user_sgpr_count 15
		.amdhsa_user_sgpr_dispatch_ptr 0
		.amdhsa_user_sgpr_queue_ptr 0
		.amdhsa_user_sgpr_kernarg_segment_ptr 1
		.amdhsa_user_sgpr_dispatch_id 0
		.amdhsa_user_sgpr_private_segment_size 0
		.amdhsa_wavefront_size32 1
		.amdhsa_uses_dynamic_stack 0
		.amdhsa_enable_private_segment 0
		.amdhsa_system_sgpr_workgroup_id_x 1
		.amdhsa_system_sgpr_workgroup_id_y 0
		.amdhsa_system_sgpr_workgroup_id_z 0
		.amdhsa_system_sgpr_workgroup_info 0
		.amdhsa_system_vgpr_workitem_id 1
		.amdhsa_next_free_vgpr 22
		.amdhsa_next_free_sgpr 27
		.amdhsa_reserve_vcc 1
		.amdhsa_float_round_mode_32 0
		.amdhsa_float_round_mode_16_64 0
		.amdhsa_float_denorm_mode_32 3
		.amdhsa_float_denorm_mode_16_64 3
		.amdhsa_dx10_clamp 1
		.amdhsa_ieee_mode 1
		.amdhsa_fp16_overflow 0
		.amdhsa_workgroup_processor_mode 1
		.amdhsa_memory_ordered 1
		.amdhsa_forward_progress 0
		.amdhsa_shared_vgpr_count 0
		.amdhsa_exception_fp_ieee_invalid_op 0
		.amdhsa_exception_fp_denorm_src 0
		.amdhsa_exception_fp_ieee_div_zero 0
		.amdhsa_exception_fp_ieee_overflow 0
		.amdhsa_exception_fp_ieee_underflow 0
		.amdhsa_exception_fp_ieee_inexact 0
		.amdhsa_exception_int_div_zero 0
	.end_amdhsa_kernel
	.section	.text._ZN2at6native32tensor_kernel_scan_innermost_dimIN3c107complexIfEESt4plusIS4_EEEvPT_PKS7_jjjS7_T0_,"axG",@progbits,_ZN2at6native32tensor_kernel_scan_innermost_dimIN3c107complexIfEESt4plusIS4_EEEvPT_PKS7_jjjS7_T0_,comdat
.Lfunc_end96:
	.size	_ZN2at6native32tensor_kernel_scan_innermost_dimIN3c107complexIfEESt4plusIS4_EEEvPT_PKS7_jjjS7_T0_, .Lfunc_end96-_ZN2at6native32tensor_kernel_scan_innermost_dimIN3c107complexIfEESt4plusIS4_EEEvPT_PKS7_jjjS7_T0_
                                        ; -- End function
	.section	.AMDGPU.csdata,"",@progbits
; Kernel info:
; codeLenInByte = 2212
; NumSgprs: 29
; NumVgprs: 22
; ScratchSize: 0
; MemoryBound: 0
; FloatMode: 240
; IeeeMode: 1
; LDSByteSize: 0 bytes/workgroup (compile time only)
; SGPRBlocks: 3
; VGPRBlocks: 2
; NumSGPRsForWavesPerEU: 29
; NumVGPRsForWavesPerEU: 22
; Occupancy: 16
; WaveLimiterHint : 0
; COMPUTE_PGM_RSRC2:SCRATCH_EN: 0
; COMPUTE_PGM_RSRC2:USER_SGPR: 15
; COMPUTE_PGM_RSRC2:TRAP_HANDLER: 0
; COMPUTE_PGM_RSRC2:TGID_X_EN: 1
; COMPUTE_PGM_RSRC2:TGID_Y_EN: 0
; COMPUTE_PGM_RSRC2:TGID_Z_EN: 0
; COMPUTE_PGM_RSRC2:TIDIG_COMP_CNT: 1
	.section	.text._ZN2at6native28tensor_kernel_scan_outer_dimIN3c107complexIfEEjSt4plusIS4_EEEvPT_PKS7_jjjS7_T1_,"axG",@progbits,_ZN2at6native28tensor_kernel_scan_outer_dimIN3c107complexIfEEjSt4plusIS4_EEEvPT_PKS7_jjjS7_T1_,comdat
	.protected	_ZN2at6native28tensor_kernel_scan_outer_dimIN3c107complexIfEEjSt4plusIS4_EEEvPT_PKS7_jjjS7_T1_ ; -- Begin function _ZN2at6native28tensor_kernel_scan_outer_dimIN3c107complexIfEEjSt4plusIS4_EEEvPT_PKS7_jjjS7_T1_
	.globl	_ZN2at6native28tensor_kernel_scan_outer_dimIN3c107complexIfEEjSt4plusIS4_EEEvPT_PKS7_jjjS7_T1_
	.p2align	8
	.type	_ZN2at6native28tensor_kernel_scan_outer_dimIN3c107complexIfEEjSt4plusIS4_EEEvPT_PKS7_jjjS7_T1_,@function
_ZN2at6native28tensor_kernel_scan_outer_dimIN3c107complexIfEEjSt4plusIS4_EEEvPT_PKS7_jjjS7_T1_: ; @_ZN2at6native28tensor_kernel_scan_outer_dimIN3c107complexIfEEjSt4plusIS4_EEEvPT_PKS7_jjjS7_T1_
; %bb.0:
	s_load_b128 s[4:7], s[0:1], 0x10
	s_waitcnt lgkmcnt(0)
	s_cmp_ge_u32 s14, s4
	s_cbranch_scc1 .LBB97_9
; %bb.1:
	s_clause 0x3
	s_load_b32 s16, s[0:1], 0x3c
	s_load_b32 s7, s[0:1], 0x30
	s_load_b128 s[8:11], s[0:1], 0x0
	s_load_b64 s[2:3], s[0:1], 0x20
	s_add_u32 s12, s0, 48
	s_addc_u32 s13, s1, 0
	s_mul_i32 s0, s14, s6
	v_mov_b32_e32 v3, 0
	s_mul_i32 s20, s0, s5
	s_mov_b32 s17, 0
	s_waitcnt lgkmcnt(0)
	s_and_b32 s1, s16, 0xffff
	s_mov_b32 s16, s5
	v_mad_u64_u32 v[1:2], null, s15, s1, v[0:1]
	s_cmp_lg_u32 s6, 0
	s_mul_i32 s22, s7, s6
	s_cselect_b32 s15, -1, 0
	s_mul_i32 s22, s22, s5
	s_lshl_b64 s[18:19], s[16:17], 3
	s_mov_b32 s16, s20
	s_delay_alu instid0(VALU_DEP_1)
	v_cmp_gt_u32_e64 s0, s5, v1
	s_set_inst_prefetch_distance 0x1
	s_branch .LBB97_3
	.p2align	6
.LBB97_2:                               ;   in Loop: Header=BB97_3 Depth=1
	s_or_b32 exec_lo, exec_lo, s23
	s_add_i32 s14, s7, s14
	s_add_i32 s16, s16, s22
	s_cmp_ge_u32 s14, s4
	s_cbranch_scc1 .LBB97_9
.LBB97_3:                               ; =>This Loop Header: Depth=1
                                        ;     Child Loop BB97_6 Depth 2
                                        ;       Child Loop BB97_8 Depth 3
	s_delay_alu instid0(VALU_DEP_1)
	s_and_saveexec_b32 s23, s0
	s_cbranch_execz .LBB97_2
; %bb.4:                                ;   in Loop: Header=BB97_3 Depth=1
	s_load_b32 s24, s[12:13], 0x4
	v_mov_b32_e32 v2, v1
	s_lshl_b64 s[20:21], s[16:17], 3
	s_mov_b32 s25, 0
	s_waitcnt lgkmcnt(0)
	s_mul_i32 s24, s24, s1
	s_branch .LBB97_6
	.p2align	6
.LBB97_5:                               ;   in Loop: Header=BB97_6 Depth=2
	v_add_nc_u32_e32 v2, s24, v2
	s_delay_alu instid0(VALU_DEP_1) | instskip(SKIP_1) | instid1(SALU_CYCLE_1)
	v_cmp_le_u32_e32 vcc_lo, s5, v2
	s_or_b32 s25, vcc_lo, s25
	s_and_not1_b32 exec_lo, exec_lo, s25
	s_cbranch_execz .LBB97_2
.LBB97_6:                               ;   Parent Loop BB97_3 Depth=1
                                        ; =>  This Loop Header: Depth=2
                                        ;       Child Loop BB97_8 Depth 3
	s_and_not1_b32 vcc_lo, exec_lo, s15
	s_cbranch_vccnz .LBB97_5
; %bb.7:                                ;   in Loop: Header=BB97_6 Depth=2
	v_lshlrev_b64 v[6:7], 3, v[2:3]
	v_dual_mov_b32 v5, s3 :: v_dual_mov_b32 v4, s2
	s_mov_b32 s26, s6
	s_delay_alu instid0(VALU_DEP_2) | instskip(NEXT) | instid1(VALU_DEP_3)
	v_add_co_u32 v0, vcc_lo, s20, v6
	v_add_co_ci_u32_e32 v6, vcc_lo, s21, v7, vcc_lo
	.p2align	6
.LBB97_8:                               ;   Parent Loop BB97_3 Depth=1
                                        ;     Parent Loop BB97_6 Depth=2
                                        ; =>    This Inner Loop Header: Depth=3
	s_delay_alu instid0(VALU_DEP_2) | instskip(NEXT) | instid1(VALU_DEP_2)
	v_add_co_u32 v7, vcc_lo, s10, v0
	v_add_co_ci_u32_e32 v8, vcc_lo, s11, v6, vcc_lo
	v_add_co_u32 v9, vcc_lo, s8, v0
	v_add_co_ci_u32_e32 v10, vcc_lo, s9, v6, vcc_lo
	global_load_b64 v[7:8], v[7:8], off
	v_add_co_u32 v0, vcc_lo, v0, s18
	v_add_co_ci_u32_e32 v6, vcc_lo, s19, v6, vcc_lo
	s_add_i32 s26, s26, -1
	s_delay_alu instid0(SALU_CYCLE_1)
	s_cmp_eq_u32 s26, 0
	s_waitcnt vmcnt(0)
	v_dual_add_f32 v4, v7, v4 :: v_dual_add_f32 v5, v8, v5
	global_store_b64 v[9:10], v[4:5], off
	s_cbranch_scc0 .LBB97_8
	s_branch .LBB97_5
.LBB97_9:
	s_set_inst_prefetch_distance 0x2
	s_nop 0
	s_sendmsg sendmsg(MSG_DEALLOC_VGPRS)
	s_endpgm
	.section	.rodata,"a",@progbits
	.p2align	6, 0x0
	.amdhsa_kernel _ZN2at6native28tensor_kernel_scan_outer_dimIN3c107complexIfEEjSt4plusIS4_EEEvPT_PKS7_jjjS7_T1_
		.amdhsa_group_segment_fixed_size 0
		.amdhsa_private_segment_fixed_size 0
		.amdhsa_kernarg_size 304
		.amdhsa_user_sgpr_count 14
		.amdhsa_user_sgpr_dispatch_ptr 0
		.amdhsa_user_sgpr_queue_ptr 0
		.amdhsa_user_sgpr_kernarg_segment_ptr 1
		.amdhsa_user_sgpr_dispatch_id 0
		.amdhsa_user_sgpr_private_segment_size 0
		.amdhsa_wavefront_size32 1
		.amdhsa_uses_dynamic_stack 0
		.amdhsa_enable_private_segment 0
		.amdhsa_system_sgpr_workgroup_id_x 1
		.amdhsa_system_sgpr_workgroup_id_y 1
		.amdhsa_system_sgpr_workgroup_id_z 0
		.amdhsa_system_sgpr_workgroup_info 0
		.amdhsa_system_vgpr_workitem_id 0
		.amdhsa_next_free_vgpr 11
		.amdhsa_next_free_sgpr 27
		.amdhsa_reserve_vcc 1
		.amdhsa_float_round_mode_32 0
		.amdhsa_float_round_mode_16_64 0
		.amdhsa_float_denorm_mode_32 3
		.amdhsa_float_denorm_mode_16_64 3
		.amdhsa_dx10_clamp 1
		.amdhsa_ieee_mode 1
		.amdhsa_fp16_overflow 0
		.amdhsa_workgroup_processor_mode 1
		.amdhsa_memory_ordered 1
		.amdhsa_forward_progress 0
		.amdhsa_shared_vgpr_count 0
		.amdhsa_exception_fp_ieee_invalid_op 0
		.amdhsa_exception_fp_denorm_src 0
		.amdhsa_exception_fp_ieee_div_zero 0
		.amdhsa_exception_fp_ieee_overflow 0
		.amdhsa_exception_fp_ieee_underflow 0
		.amdhsa_exception_fp_ieee_inexact 0
		.amdhsa_exception_int_div_zero 0
	.end_amdhsa_kernel
	.section	.text._ZN2at6native28tensor_kernel_scan_outer_dimIN3c107complexIfEEjSt4plusIS4_EEEvPT_PKS7_jjjS7_T1_,"axG",@progbits,_ZN2at6native28tensor_kernel_scan_outer_dimIN3c107complexIfEEjSt4plusIS4_EEEvPT_PKS7_jjjS7_T1_,comdat
.Lfunc_end97:
	.size	_ZN2at6native28tensor_kernel_scan_outer_dimIN3c107complexIfEEjSt4plusIS4_EEEvPT_PKS7_jjjS7_T1_, .Lfunc_end97-_ZN2at6native28tensor_kernel_scan_outer_dimIN3c107complexIfEEjSt4plusIS4_EEEvPT_PKS7_jjjS7_T1_
                                        ; -- End function
	.section	.AMDGPU.csdata,"",@progbits
; Kernel info:
; codeLenInByte = 384
; NumSgprs: 29
; NumVgprs: 11
; ScratchSize: 0
; MemoryBound: 0
; FloatMode: 240
; IeeeMode: 1
; LDSByteSize: 0 bytes/workgroup (compile time only)
; SGPRBlocks: 3
; VGPRBlocks: 1
; NumSGPRsForWavesPerEU: 29
; NumVGPRsForWavesPerEU: 11
; Occupancy: 16
; WaveLimiterHint : 0
; COMPUTE_PGM_RSRC2:SCRATCH_EN: 0
; COMPUTE_PGM_RSRC2:USER_SGPR: 14
; COMPUTE_PGM_RSRC2:TRAP_HANDLER: 0
; COMPUTE_PGM_RSRC2:TGID_X_EN: 1
; COMPUTE_PGM_RSRC2:TGID_Y_EN: 1
; COMPUTE_PGM_RSRC2:TGID_Z_EN: 0
; COMPUTE_PGM_RSRC2:TIDIG_COMP_CNT: 0
	.section	.text._ZN2at6native28tensor_kernel_scan_outer_dimIN3c107complexIfEEmSt4plusIS4_EEEvPT_PKS7_jjjS7_T1_,"axG",@progbits,_ZN2at6native28tensor_kernel_scan_outer_dimIN3c107complexIfEEmSt4plusIS4_EEEvPT_PKS7_jjjS7_T1_,comdat
	.protected	_ZN2at6native28tensor_kernel_scan_outer_dimIN3c107complexIfEEmSt4plusIS4_EEEvPT_PKS7_jjjS7_T1_ ; -- Begin function _ZN2at6native28tensor_kernel_scan_outer_dimIN3c107complexIfEEmSt4plusIS4_EEEvPT_PKS7_jjjS7_T1_
	.globl	_ZN2at6native28tensor_kernel_scan_outer_dimIN3c107complexIfEEmSt4plusIS4_EEEvPT_PKS7_jjjS7_T1_
	.p2align	8
	.type	_ZN2at6native28tensor_kernel_scan_outer_dimIN3c107complexIfEEmSt4plusIS4_EEEvPT_PKS7_jjjS7_T1_,@function
_ZN2at6native28tensor_kernel_scan_outer_dimIN3c107complexIfEEmSt4plusIS4_EEEvPT_PKS7_jjjS7_T1_: ; @_ZN2at6native28tensor_kernel_scan_outer_dimIN3c107complexIfEEmSt4plusIS4_EEEvPT_PKS7_jjjS7_T1_
; %bb.0:
	s_load_b128 s[4:7], s[0:1], 0x10
	s_waitcnt lgkmcnt(0)
	s_cmp_ge_u32 s14, s4
	s_cbranch_scc1 .LBB98_9
; %bb.1:
	s_clause 0x3
	s_load_b32 s16, s[0:1], 0x3c
	s_load_b32 s7, s[0:1], 0x30
	s_load_b128 s[8:11], s[0:1], 0x0
	s_load_b64 s[2:3], s[0:1], 0x20
	s_add_u32 s12, s0, 48
	s_addc_u32 s13, s1, 0
	v_mov_b32_e32 v3, 0
	s_mov_b32 s19, 0
	s_mul_hi_u32 s17, s6, s5
	s_mov_b32 s18, s5
	s_waitcnt lgkmcnt(0)
	s_and_b32 s1, s16, 0xffff
	s_cmp_lg_u32 s6, 0
	v_mad_u64_u32 v[1:2], null, s15, s1, v[0:1]
	s_mul_i32 s16, s6, s5
	s_cselect_b32 s15, -1, 0
	s_lshl_b64 s[16:17], s[16:17], 3
	s_lshl_b64 s[18:19], s[18:19], 3
	s_delay_alu instid0(VALU_DEP_1)
	v_cmp_gt_u32_e64 s0, s5, v1
	s_branch .LBB98_3
.LBB98_2:                               ;   in Loop: Header=BB98_3 Depth=1
	s_set_inst_prefetch_distance 0x2
	s_or_b32 exec_lo, exec_lo, s20
	s_add_i32 s14, s14, s7
	s_delay_alu instid0(SALU_CYCLE_1)
	s_cmp_ge_u32 s14, s4
	s_cbranch_scc1 .LBB98_9
.LBB98_3:                               ; =>This Loop Header: Depth=1
                                        ;     Child Loop BB98_6 Depth 2
                                        ;       Child Loop BB98_8 Depth 3
	s_delay_alu instid0(VALU_DEP_1)
	s_and_saveexec_b32 s20, s0
	s_cbranch_execz .LBB98_2
; %bb.4:                                ;   in Loop: Header=BB98_3 Depth=1
	s_load_b32 s23, s[12:13], 0x4
	v_mov_b32_e32 v2, v1
	s_mul_i32 s22, s17, s14
	s_mul_hi_u32 s24, s16, s14
	s_mul_i32 s21, s16, s14
	s_add_i32 s22, s24, s22
	s_mov_b32 s24, 0
	s_waitcnt lgkmcnt(0)
	s_mul_i32 s23, s23, s1
	s_set_inst_prefetch_distance 0x1
	s_branch .LBB98_6
	.p2align	6
.LBB98_5:                               ;   in Loop: Header=BB98_6 Depth=2
	v_add_nc_u32_e32 v2, s23, v2
	s_delay_alu instid0(VALU_DEP_1) | instskip(SKIP_1) | instid1(SALU_CYCLE_1)
	v_cmp_le_u32_e32 vcc_lo, s5, v2
	s_or_b32 s24, vcc_lo, s24
	s_and_not1_b32 exec_lo, exec_lo, s24
	s_cbranch_execz .LBB98_2
.LBB98_6:                               ;   Parent Loop BB98_3 Depth=1
                                        ; =>  This Loop Header: Depth=2
                                        ;       Child Loop BB98_8 Depth 3
	s_and_not1_b32 vcc_lo, exec_lo, s15
	s_cbranch_vccnz .LBB98_5
; %bb.7:                                ;   in Loop: Header=BB98_6 Depth=2
	v_lshlrev_b64 v[6:7], 3, v[2:3]
	v_dual_mov_b32 v5, s3 :: v_dual_mov_b32 v4, s2
	s_mov_b32 s25, s6
	s_delay_alu instid0(VALU_DEP_2) | instskip(NEXT) | instid1(VALU_DEP_3)
	v_add_co_u32 v0, vcc_lo, s21, v6
	v_add_co_ci_u32_e32 v6, vcc_lo, s22, v7, vcc_lo
	.p2align	6
.LBB98_8:                               ;   Parent Loop BB98_3 Depth=1
                                        ;     Parent Loop BB98_6 Depth=2
                                        ; =>    This Inner Loop Header: Depth=3
	s_delay_alu instid0(VALU_DEP_2) | instskip(NEXT) | instid1(VALU_DEP_2)
	v_add_co_u32 v7, vcc_lo, s10, v0
	v_add_co_ci_u32_e32 v8, vcc_lo, s11, v6, vcc_lo
	v_add_co_u32 v9, vcc_lo, s8, v0
	v_add_co_ci_u32_e32 v10, vcc_lo, s9, v6, vcc_lo
	global_load_b64 v[7:8], v[7:8], off
	v_add_co_u32 v0, vcc_lo, v0, s18
	v_add_co_ci_u32_e32 v6, vcc_lo, s19, v6, vcc_lo
	s_add_i32 s25, s25, -1
	s_delay_alu instid0(SALU_CYCLE_1)
	s_cmp_eq_u32 s25, 0
	s_waitcnt vmcnt(0)
	v_dual_add_f32 v4, v7, v4 :: v_dual_add_f32 v5, v8, v5
	global_store_b64 v[9:10], v[4:5], off
	s_cbranch_scc0 .LBB98_8
	s_branch .LBB98_5
.LBB98_9:
	s_nop 0
	s_sendmsg sendmsg(MSG_DEALLOC_VGPRS)
	s_endpgm
	.section	.rodata,"a",@progbits
	.p2align	6, 0x0
	.amdhsa_kernel _ZN2at6native28tensor_kernel_scan_outer_dimIN3c107complexIfEEmSt4plusIS4_EEEvPT_PKS7_jjjS7_T1_
		.amdhsa_group_segment_fixed_size 0
		.amdhsa_private_segment_fixed_size 0
		.amdhsa_kernarg_size 304
		.amdhsa_user_sgpr_count 14
		.amdhsa_user_sgpr_dispatch_ptr 0
		.amdhsa_user_sgpr_queue_ptr 0
		.amdhsa_user_sgpr_kernarg_segment_ptr 1
		.amdhsa_user_sgpr_dispatch_id 0
		.amdhsa_user_sgpr_private_segment_size 0
		.amdhsa_wavefront_size32 1
		.amdhsa_uses_dynamic_stack 0
		.amdhsa_enable_private_segment 0
		.amdhsa_system_sgpr_workgroup_id_x 1
		.amdhsa_system_sgpr_workgroup_id_y 1
		.amdhsa_system_sgpr_workgroup_id_z 0
		.amdhsa_system_sgpr_workgroup_info 0
		.amdhsa_system_vgpr_workitem_id 0
		.amdhsa_next_free_vgpr 11
		.amdhsa_next_free_sgpr 26
		.amdhsa_reserve_vcc 1
		.amdhsa_float_round_mode_32 0
		.amdhsa_float_round_mode_16_64 0
		.amdhsa_float_denorm_mode_32 3
		.amdhsa_float_denorm_mode_16_64 3
		.amdhsa_dx10_clamp 1
		.amdhsa_ieee_mode 1
		.amdhsa_fp16_overflow 0
		.amdhsa_workgroup_processor_mode 1
		.amdhsa_memory_ordered 1
		.amdhsa_forward_progress 0
		.amdhsa_shared_vgpr_count 0
		.amdhsa_exception_fp_ieee_invalid_op 0
		.amdhsa_exception_fp_denorm_src 0
		.amdhsa_exception_fp_ieee_div_zero 0
		.amdhsa_exception_fp_ieee_overflow 0
		.amdhsa_exception_fp_ieee_underflow 0
		.amdhsa_exception_fp_ieee_inexact 0
		.amdhsa_exception_int_div_zero 0
	.end_amdhsa_kernel
	.section	.text._ZN2at6native28tensor_kernel_scan_outer_dimIN3c107complexIfEEmSt4plusIS4_EEEvPT_PKS7_jjjS7_T1_,"axG",@progbits,_ZN2at6native28tensor_kernel_scan_outer_dimIN3c107complexIfEEmSt4plusIS4_EEEvPT_PKS7_jjjS7_T1_,comdat
.Lfunc_end98:
	.size	_ZN2at6native28tensor_kernel_scan_outer_dimIN3c107complexIfEEmSt4plusIS4_EEEvPT_PKS7_jjjS7_T1_, .Lfunc_end98-_ZN2at6native28tensor_kernel_scan_outer_dimIN3c107complexIfEEmSt4plusIS4_EEEvPT_PKS7_jjjS7_T1_
                                        ; -- End function
	.section	.AMDGPU.csdata,"",@progbits
; Kernel info:
; codeLenInByte = 388
; NumSgprs: 28
; NumVgprs: 11
; ScratchSize: 0
; MemoryBound: 0
; FloatMode: 240
; IeeeMode: 1
; LDSByteSize: 0 bytes/workgroup (compile time only)
; SGPRBlocks: 3
; VGPRBlocks: 1
; NumSGPRsForWavesPerEU: 28
; NumVGPRsForWavesPerEU: 11
; Occupancy: 16
; WaveLimiterHint : 0
; COMPUTE_PGM_RSRC2:SCRATCH_EN: 0
; COMPUTE_PGM_RSRC2:USER_SGPR: 14
; COMPUTE_PGM_RSRC2:TRAP_HANDLER: 0
; COMPUTE_PGM_RSRC2:TGID_X_EN: 1
; COMPUTE_PGM_RSRC2:TGID_Y_EN: 1
; COMPUTE_PGM_RSRC2:TGID_Z_EN: 0
; COMPUTE_PGM_RSRC2:TIDIG_COMP_CNT: 0
	.section	.text._ZN2at4cuda3cub15calc_block_sumsILi512ELi16ELb0EN3c104HalfES4_EEvPKT2_PT3_li,"axG",@progbits,_ZN2at4cuda3cub15calc_block_sumsILi512ELi16ELb0EN3c104HalfES4_EEvPKT2_PT3_li,comdat
	.protected	_ZN2at4cuda3cub15calc_block_sumsILi512ELi16ELb0EN3c104HalfES4_EEvPKT2_PT3_li ; -- Begin function _ZN2at4cuda3cub15calc_block_sumsILi512ELi16ELb0EN3c104HalfES4_EEvPKT2_PT3_li
	.globl	_ZN2at4cuda3cub15calc_block_sumsILi512ELi16ELb0EN3c104HalfES4_EEvPKT2_PT3_li
	.p2align	8
	.type	_ZN2at4cuda3cub15calc_block_sumsILi512ELi16ELb0EN3c104HalfES4_EEvPKT2_PT3_li,@function
_ZN2at4cuda3cub15calc_block_sumsILi512ELi16ELb0EN3c104HalfES4_EEvPKT2_PT3_li: ; @_ZN2at4cuda3cub15calc_block_sumsILi512ELi16ELb0EN3c104HalfES4_EEvPKT2_PT3_li
; %bb.0:
	s_clause 0x1
	s_load_b32 s12, s[0:1], 0x18
	s_load_b64 s[4:5], s[0:1], 0x10
	s_waitcnt lgkmcnt(0)
	s_lshl_b32 s3, s12, 13
	s_delay_alu instid0(SALU_CYCLE_1)
	s_ashr_i32 s6, s3, 31
	s_mul_hi_u32 s7, s3, s15
	s_mul_i32 s6, s6, s15
	s_mul_i32 s10, s3, s15
	s_add_i32 s11, s7, s6
	s_sub_u32 s8, s4, s10
	s_subb_u32 s9, s5, s11
	s_delay_alu instid0(SALU_CYCLE_1) | instskip(NEXT) | instid1(VALU_DEP_1)
	v_cmp_lt_i64_e64 s3, s[8:9], 1
	s_and_b32 vcc_lo, exec_lo, s3
	s_cbranch_vccnz .LBB99_56
; %bb.1:
	s_load_b128 s[4:7], s[0:1], 0x0
	s_mov_b32 s2, s15
	s_mov_b32 s3, 0
	s_cmp_gt_i32 s12, 0
	s_mov_b32 s1, 0
	s_cbranch_scc1 .LBB99_3
; %bb.2:
	s_mov_b32 s0, -1
	s_mov_b32 s13, 0
	s_delay_alu instid0(SALU_CYCLE_1)
	v_mov_b32_e32 v16, s13
	s_and_not1_b32 vcc_lo, exec_lo, s1
	s_cbranch_vccz .LBB99_4
	s_branch .LBB99_53
.LBB99_3:
	s_mov_b32 s0, 0
                                        ; implicit-def: $sgpr13
	v_mov_b32_e32 v16, s13
.LBB99_4:
	v_lshrrev_b32_e32 v1, 4, v0
	v_mbcnt_lo_u32_b32 v20, -1, 0
	s_lshl_b64 s[10:11], s[10:11], 1
	v_dual_mov_b32 v16, 0 :: v_dual_add_nc_u32 v3, 0x200, v0
	s_delay_alu instid0(VALU_DEP_3)
	v_and_b32_e32 v19, 62, v1
	v_lshlrev_b32_e32 v1, 1, v0
	v_and_b32_e32 v22, 15, v20
	s_waitcnt lgkmcnt(0)
	s_add_u32 s1, s4, s10
	s_addc_u32 s4, s5, s11
	v_or_b32_e32 v4, 0x400, v0
	v_add_co_u32 v1, s1, s1, v1
	v_add_nc_u32_e32 v5, 0x600, v0
	v_or_b32_e32 v6, 0x800, v0
	v_add_nc_u32_e32 v7, 0xa00, v0
	v_or_b32_e32 v8, 0xc00, v0
	;; [unrolled: 2-line block ×6, first 2 shown]
	v_dual_mov_b32 v21, 0 :: v_dual_add_nc_u32 v18, 0x1e00, v0
	v_cmp_gt_u32_e64 s0, 32, v0
	v_add_co_ci_u32_e64 v2, null, s4, 0, s1
	v_lshlrev_b32_e32 v23, 1, v22
	s_branch .LBB99_6
.LBB99_5:                               ;   in Loop: Header=BB99_6 Depth=1
	s_add_u32 s8, s8, 0xffffe000
	v_add_co_u32 v1, vcc_lo, 0x4000, v1
	s_addc_u32 s9, s9, -1
	s_add_i32 s12, s12, -1
	v_add_f16_e32 v16, v16, v24
	v_add_co_ci_u32_e32 v2, vcc_lo, 0, v2, vcc_lo
	s_cmp_eq_u32 s12, 0
	s_mov_b32 s1, 0
	s_cselect_b32 s4, -1, 0
	s_barrier
	buffer_gl0_inv
	s_and_not1_b32 vcc_lo, exec_lo, s4
	s_cbranch_vccz .LBB99_52
.LBB99_6:                               ; =>This Inner Loop Header: Depth=1
	v_cmp_gt_i64_e64 s1, 0x2000, s[8:9]
                                        ; implicit-def: $vgpr24
	s_delay_alu instid0(VALU_DEP_1)
	s_and_b32 vcc_lo, exec_lo, s1
	s_mov_b32 s1, -1
	s_cbranch_vccnz .LBB99_9
; %bb.7:                                ;   in Loop: Header=BB99_6 Depth=1
	s_and_b32 vcc_lo, exec_lo, s1
	s_cbranch_vccnz .LBB99_46
.LBB99_8:                               ;   in Loop: Header=BB99_6 Depth=1
	v_cmp_gt_i64_e64 s1, 0x2001, s[8:9]
	s_delay_alu instid0(VALU_DEP_1)
	s_and_b32 vcc_lo, exec_lo, s1
	s_cbranch_vccz .LBB99_5
	s_branch .LBB99_51
.LBB99_9:                               ;   in Loop: Header=BB99_6 Depth=1
	v_dual_mov_b32 v24, 0 :: v_dual_mov_b32 v25, 0
	s_mov_b32 s1, exec_lo
	v_cmpx_gt_u32_e64 s8, v0
	s_cbranch_execz .LBB99_11
; %bb.10:                               ;   in Loop: Header=BB99_6 Depth=1
	global_load_u16 v25, v[1:2], off
.LBB99_11:                              ;   in Loop: Header=BB99_6 Depth=1
	s_or_b32 exec_lo, exec_lo, s1
	s_delay_alu instid0(SALU_CYCLE_1)
	s_mov_b32 s1, exec_lo
	v_cmpx_gt_u32_e64 s8, v3
	s_cbranch_execz .LBB99_13
; %bb.12:                               ;   in Loop: Header=BB99_6 Depth=1
	global_load_u16 v24, v[1:2], off offset:1024
.LBB99_13:                              ;   in Loop: Header=BB99_6 Depth=1
	s_or_b32 exec_lo, exec_lo, s1
	v_dual_mov_b32 v26, 0 :: v_dual_mov_b32 v27, 0
	s_mov_b32 s1, exec_lo
	v_cmpx_gt_u32_e64 s8, v4
	s_cbranch_execz .LBB99_15
; %bb.14:                               ;   in Loop: Header=BB99_6 Depth=1
	global_load_u16 v27, v[1:2], off offset:2048
.LBB99_15:                              ;   in Loop: Header=BB99_6 Depth=1
	s_or_b32 exec_lo, exec_lo, s1
	s_delay_alu instid0(SALU_CYCLE_1)
	s_mov_b32 s1, exec_lo
	v_cmpx_gt_u32_e64 s8, v5
	s_cbranch_execz .LBB99_17
; %bb.16:                               ;   in Loop: Header=BB99_6 Depth=1
	global_load_u16 v26, v[1:2], off offset:3072
.LBB99_17:                              ;   in Loop: Header=BB99_6 Depth=1
	s_or_b32 exec_lo, exec_lo, s1
	v_dual_mov_b32 v28, 0 :: v_dual_mov_b32 v29, 0
	s_mov_b32 s1, exec_lo
	v_cmpx_gt_u32_e64 s8, v6
	s_cbranch_execz .LBB99_19
; %bb.18:                               ;   in Loop: Header=BB99_6 Depth=1
	v_add_co_u32 v29, vcc_lo, 0x1000, v1
	v_add_co_ci_u32_e32 v30, vcc_lo, 0, v2, vcc_lo
	global_load_u16 v29, v[29:30], off
.LBB99_19:                              ;   in Loop: Header=BB99_6 Depth=1
	s_or_b32 exec_lo, exec_lo, s1
	s_delay_alu instid0(SALU_CYCLE_1)
	s_mov_b32 s1, exec_lo
	v_cmpx_gt_u32_e64 s8, v7
	s_cbranch_execz .LBB99_21
; %bb.20:                               ;   in Loop: Header=BB99_6 Depth=1
	v_add_co_u32 v30, vcc_lo, 0x1000, v1
	v_add_co_ci_u32_e32 v31, vcc_lo, 0, v2, vcc_lo
	global_load_u16 v28, v[30:31], off offset:1024
.LBB99_21:                              ;   in Loop: Header=BB99_6 Depth=1
	s_or_b32 exec_lo, exec_lo, s1
	v_dual_mov_b32 v30, 0 :: v_dual_mov_b32 v31, 0
	s_mov_b32 s1, exec_lo
	v_cmpx_gt_u32_e64 s8, v8
	s_cbranch_execz .LBB99_23
; %bb.22:                               ;   in Loop: Header=BB99_6 Depth=1
	v_add_co_u32 v31, vcc_lo, 0x1000, v1
	v_add_co_ci_u32_e32 v32, vcc_lo, 0, v2, vcc_lo
	global_load_u16 v31, v[31:32], off offset:2048
.LBB99_23:                              ;   in Loop: Header=BB99_6 Depth=1
	s_or_b32 exec_lo, exec_lo, s1
	s_delay_alu instid0(SALU_CYCLE_1)
	s_mov_b32 s1, exec_lo
	v_cmpx_gt_u32_e64 s8, v9
	s_cbranch_execz .LBB99_25
; %bb.24:                               ;   in Loop: Header=BB99_6 Depth=1
	v_add_co_u32 v32, vcc_lo, 0x1000, v1
	v_add_co_ci_u32_e32 v33, vcc_lo, 0, v2, vcc_lo
	global_load_u16 v30, v[32:33], off offset:3072
.LBB99_25:                              ;   in Loop: Header=BB99_6 Depth=1
	s_or_b32 exec_lo, exec_lo, s1
	v_dual_mov_b32 v32, 0 :: v_dual_mov_b32 v33, 0
	s_mov_b32 s1, exec_lo
	v_cmpx_gt_u32_e64 s8, v10
	s_cbranch_execz .LBB99_27
; %bb.26:                               ;   in Loop: Header=BB99_6 Depth=1
	v_add_co_u32 v33, vcc_lo, 0x2000, v1
	v_add_co_ci_u32_e32 v34, vcc_lo, 0, v2, vcc_lo
	global_load_u16 v33, v[33:34], off
.LBB99_27:                              ;   in Loop: Header=BB99_6 Depth=1
	s_or_b32 exec_lo, exec_lo, s1
	s_delay_alu instid0(SALU_CYCLE_1)
	s_mov_b32 s1, exec_lo
	v_cmpx_gt_u32_e64 s8, v11
	s_cbranch_execz .LBB99_29
; %bb.28:                               ;   in Loop: Header=BB99_6 Depth=1
	v_add_co_u32 v34, vcc_lo, 0x2000, v1
	v_add_co_ci_u32_e32 v35, vcc_lo, 0, v2, vcc_lo
	global_load_u16 v32, v[34:35], off offset:1024
.LBB99_29:                              ;   in Loop: Header=BB99_6 Depth=1
	s_or_b32 exec_lo, exec_lo, s1
	v_dual_mov_b32 v34, 0 :: v_dual_mov_b32 v35, 0
	s_mov_b32 s1, exec_lo
	v_cmpx_gt_u32_e64 s8, v12
	s_cbranch_execz .LBB99_31
; %bb.30:                               ;   in Loop: Header=BB99_6 Depth=1
	v_add_co_u32 v35, vcc_lo, 0x2000, v1
	v_add_co_ci_u32_e32 v36, vcc_lo, 0, v2, vcc_lo
	global_load_u16 v35, v[35:36], off offset:2048
.LBB99_31:                              ;   in Loop: Header=BB99_6 Depth=1
	s_or_b32 exec_lo, exec_lo, s1
	s_delay_alu instid0(SALU_CYCLE_1)
	s_mov_b32 s1, exec_lo
	v_cmpx_gt_u32_e64 s8, v13
	s_cbranch_execz .LBB99_33
; %bb.32:                               ;   in Loop: Header=BB99_6 Depth=1
	v_add_co_u32 v36, vcc_lo, 0x2000, v1
	v_add_co_ci_u32_e32 v37, vcc_lo, 0, v2, vcc_lo
	global_load_u16 v34, v[36:37], off offset:3072
.LBB99_33:                              ;   in Loop: Header=BB99_6 Depth=1
	;; [unrolled: 40-line block ×3, first 2 shown]
	s_or_b32 exec_lo, exec_lo, s1
	s_waitcnt vmcnt(0)
	v_add_f16_e32 v24, v25, v24
	s_mov_b32 s1, exec_lo
	s_barrier
	buffer_gl0_inv
	v_add_f16_e32 v24, v24, v27
	s_delay_alu instid0(VALU_DEP_1) | instskip(NEXT) | instid1(VALU_DEP_1)
	v_add_f16_e32 v24, v24, v26
	v_add_f16_e32 v24, v24, v29
	s_delay_alu instid0(VALU_DEP_1) | instskip(NEXT) | instid1(VALU_DEP_1)
	v_add_f16_e32 v24, v24, v28
	;; [unrolled: 3-line block ×7, first 2 shown]
	v_and_b32_e32 v25, 0xffff, v24
	s_delay_alu instid0(VALU_DEP_1) | instskip(NEXT) | instid1(VALU_DEP_1)
	v_mov_b32_dpp v25, v25 quad_perm:[1,0,3,2] row_mask:0xf bank_mask:0xf
	v_add_f16_e32 v24, v24, v25
	s_delay_alu instid0(VALU_DEP_1) | instskip(NEXT) | instid1(VALU_DEP_1)
	v_and_b32_e32 v25, 0xffff, v24
	v_mov_b32_dpp v25, v25 quad_perm:[2,3,0,1] row_mask:0xf bank_mask:0xf
	s_delay_alu instid0(VALU_DEP_1) | instskip(NEXT) | instid1(VALU_DEP_1)
	v_add_f16_e32 v24, v24, v25
	v_and_b32_e32 v25, 0xffff, v24
	s_delay_alu instid0(VALU_DEP_1) | instskip(NEXT) | instid1(VALU_DEP_1)
	v_mov_b32_dpp v25, v25 row_ror:4 row_mask:0xf bank_mask:0xf
	v_add_f16_e32 v24, v24, v25
	s_delay_alu instid0(VALU_DEP_1) | instskip(NEXT) | instid1(VALU_DEP_1)
	v_and_b32_e32 v25, 0xffff, v24
	v_mov_b32_dpp v25, v25 row_ror:8 row_mask:0xf bank_mask:0xf
	s_delay_alu instid0(VALU_DEP_1) | instskip(NEXT) | instid1(VALU_DEP_1)
	v_add_f16_e32 v24, v24, v25
	v_and_b32_e32 v25, 0xffff, v24
	ds_swizzle_b32 v25, v25 offset:swizzle(BROADCAST,32,15)
	s_waitcnt lgkmcnt(0)
	v_add_f16_e32 v24, v24, v25
	s_delay_alu instid0(VALU_DEP_1)
	v_and_b32_e32 v24, 0xffff, v24
	ds_bpermute_b32 v24, v21, v24 offset:124
	v_cmpx_eq_u32_e32 0, v20
	s_cbranch_execz .LBB99_43
; %bb.42:                               ;   in Loop: Header=BB99_6 Depth=1
	s_waitcnt lgkmcnt(0)
	ds_store_b16 v19, v24
.LBB99_43:                              ;   in Loop: Header=BB99_6 Depth=1
	s_or_b32 exec_lo, exec_lo, s1
	s_waitcnt lgkmcnt(0)
	s_barrier
	buffer_gl0_inv
	s_and_saveexec_b32 s1, s0
	s_cbranch_execz .LBB99_45
; %bb.44:                               ;   in Loop: Header=BB99_6 Depth=1
	ds_load_u16 v24, v23
	v_cmp_ne_u32_e32 vcc_lo, 15, v22
	v_add_co_ci_u32_e32 v25, vcc_lo, 0, v20, vcc_lo
	v_cmp_gt_u32_e32 vcc_lo, 14, v22
	s_delay_alu instid0(VALU_DEP_2)
	v_lshlrev_b32_e32 v25, 2, v25
	s_waitcnt lgkmcnt(0)
	v_and_b32_e32 v26, 0xffff, v24
	ds_bpermute_b32 v25, v25, v26
	v_cndmask_b32_e64 v26, 0, 1, vcc_lo
	v_cmp_gt_u32_e32 vcc_lo, 12, v22
	s_delay_alu instid0(VALU_DEP_2) | instskip(SKIP_2) | instid1(VALU_DEP_2)
	v_lshlrev_b32_e32 v26, 1, v26
	s_waitcnt lgkmcnt(0)
	v_add_f16_e32 v24, v24, v25
	v_add_lshl_u32 v25, v26, v20, 2
	s_delay_alu instid0(VALU_DEP_2) | instskip(SKIP_3) | instid1(VALU_DEP_2)
	v_and_b32_e32 v26, 0xffff, v24
	ds_bpermute_b32 v25, v25, v26
	v_cndmask_b32_e64 v26, 0, 1, vcc_lo
	v_cmp_gt_u32_e32 vcc_lo, 8, v22
	v_lshlrev_b32_e32 v26, 2, v26
	s_waitcnt lgkmcnt(0)
	v_add_f16_e32 v24, v24, v25
	s_delay_alu instid0(VALU_DEP_2) | instskip(NEXT) | instid1(VALU_DEP_2)
	v_add_lshl_u32 v25, v26, v20, 2
	v_and_b32_e32 v26, 0xffff, v24
	ds_bpermute_b32 v25, v25, v26
	v_cndmask_b32_e64 v26, 0, 1, vcc_lo
	s_waitcnt lgkmcnt(0)
	v_add_f16_e32 v24, v24, v25
	s_delay_alu instid0(VALU_DEP_2) | instskip(NEXT) | instid1(VALU_DEP_2)
	v_lshlrev_b32_e32 v25, 3, v26
	v_and_b32_e32 v26, 0xffff, v24
	s_delay_alu instid0(VALU_DEP_2)
	v_add_lshl_u32 v25, v25, v20, 2
	ds_bpermute_b32 v25, v25, v26
	s_waitcnt lgkmcnt(0)
	v_add_f16_e32 v24, v24, v25
.LBB99_45:                              ;   in Loop: Header=BB99_6 Depth=1
	s_or_b32 exec_lo, exec_lo, s1
	s_branch .LBB99_8
.LBB99_46:                              ;   in Loop: Header=BB99_6 Depth=1
	s_clause 0x3
	global_load_u16 v28, v[1:2], off
	global_load_u16 v29, v[1:2], off offset:1024
	global_load_u16 v30, v[1:2], off offset:2048
	;; [unrolled: 1-line block ×3, first 2 shown]
	v_add_co_u32 v24, vcc_lo, v1, 0x2000
	v_add_co_ci_u32_e32 v25, vcc_lo, 0, v2, vcc_lo
	v_add_co_u32 v26, vcc_lo, 0x1000, v1
	v_add_co_ci_u32_e32 v27, vcc_lo, 0, v2, vcc_lo
	s_clause 0x3
	global_load_u16 v32, v[24:25], off offset:-4096
	global_load_u16 v33, v[26:27], off offset:1024
	global_load_u16 v34, v[26:27], off offset:2048
	;; [unrolled: 1-line block ×3, first 2 shown]
	v_add_co_u32 v26, vcc_lo, 0x2000, v1
	v_add_co_ci_u32_e32 v27, vcc_lo, 0, v2, vcc_lo
	s_clause 0x2
	global_load_u16 v36, v[24:25], off
	global_load_u16 v37, v[26:27], off offset:1024
	global_load_u16 v38, v[26:27], off offset:2048
	v_add_co_u32 v24, vcc_lo, 0x3000, v1
	v_add_co_ci_u32_e32 v25, vcc_lo, 0, v2, vcc_lo
	s_clause 0x4
	global_load_u16 v26, v[26:27], off offset:3072
	global_load_u16 v27, v[24:25], off
	global_load_u16 v39, v[24:25], off offset:1024
	global_load_u16 v40, v[24:25], off offset:2048
	global_load_u16 v24, v[24:25], off offset:3072
	s_mov_b32 s1, exec_lo
	s_waitcnt vmcnt(0)
	s_barrier
	buffer_gl0_inv
	v_add_f16_e32 v25, v28, v29
	s_delay_alu instid0(VALU_DEP_1) | instskip(NEXT) | instid1(VALU_DEP_1)
	v_add_f16_e32 v25, v25, v30
	v_add_f16_e32 v25, v25, v31
	s_delay_alu instid0(VALU_DEP_1) | instskip(NEXT) | instid1(VALU_DEP_1)
	v_add_f16_e32 v25, v25, v32
	;; [unrolled: 3-line block ×7, first 2 shown]
	v_add_f16_e32 v24, v25, v24
	s_delay_alu instid0(VALU_DEP_1) | instskip(NEXT) | instid1(VALU_DEP_1)
	v_and_b32_e32 v25, 0xffff, v24
	v_mov_b32_dpp v25, v25 quad_perm:[1,0,3,2] row_mask:0xf bank_mask:0xf
	s_delay_alu instid0(VALU_DEP_1) | instskip(NEXT) | instid1(VALU_DEP_1)
	v_add_f16_e32 v24, v24, v25
	v_and_b32_e32 v25, 0xffff, v24
	s_delay_alu instid0(VALU_DEP_1) | instskip(NEXT) | instid1(VALU_DEP_1)
	v_mov_b32_dpp v25, v25 quad_perm:[2,3,0,1] row_mask:0xf bank_mask:0xf
	v_add_f16_e32 v24, v24, v25
	s_delay_alu instid0(VALU_DEP_1) | instskip(NEXT) | instid1(VALU_DEP_1)
	v_and_b32_e32 v25, 0xffff, v24
	v_mov_b32_dpp v25, v25 row_ror:4 row_mask:0xf bank_mask:0xf
	s_delay_alu instid0(VALU_DEP_1) | instskip(NEXT) | instid1(VALU_DEP_1)
	v_add_f16_e32 v24, v24, v25
	v_and_b32_e32 v25, 0xffff, v24
	s_delay_alu instid0(VALU_DEP_1) | instskip(NEXT) | instid1(VALU_DEP_1)
	v_mov_b32_dpp v25, v25 row_ror:8 row_mask:0xf bank_mask:0xf
	v_add_f16_e32 v24, v24, v25
	s_delay_alu instid0(VALU_DEP_1) | instskip(SKIP_3) | instid1(VALU_DEP_1)
	v_and_b32_e32 v25, 0xffff, v24
	ds_swizzle_b32 v25, v25 offset:swizzle(BROADCAST,32,15)
	s_waitcnt lgkmcnt(0)
	v_add_f16_e32 v24, v24, v25
	v_and_b32_e32 v24, 0xffff, v24
	ds_bpermute_b32 v24, v21, v24 offset:124
	v_cmpx_eq_u32_e32 0, v20
	s_cbranch_execz .LBB99_48
; %bb.47:                               ;   in Loop: Header=BB99_6 Depth=1
	s_waitcnt lgkmcnt(0)
	ds_store_b16 v19, v24
.LBB99_48:                              ;   in Loop: Header=BB99_6 Depth=1
	s_or_b32 exec_lo, exec_lo, s1
	s_waitcnt lgkmcnt(0)
	s_barrier
	buffer_gl0_inv
	s_and_saveexec_b32 s1, s0
	s_cbranch_execz .LBB99_50
; %bb.49:                               ;   in Loop: Header=BB99_6 Depth=1
	ds_load_u16 v24, v23
	v_cmp_ne_u32_e32 vcc_lo, 15, v22
	v_add_co_ci_u32_e32 v25, vcc_lo, 0, v20, vcc_lo
	v_cmp_gt_u32_e32 vcc_lo, 14, v22
	s_delay_alu instid0(VALU_DEP_2)
	v_lshlrev_b32_e32 v25, 2, v25
	s_waitcnt lgkmcnt(0)
	v_and_b32_e32 v26, 0xffff, v24
	ds_bpermute_b32 v25, v25, v26
	v_cndmask_b32_e64 v26, 0, 1, vcc_lo
	v_cmp_gt_u32_e32 vcc_lo, 12, v22
	s_delay_alu instid0(VALU_DEP_2) | instskip(SKIP_2) | instid1(VALU_DEP_2)
	v_lshlrev_b32_e32 v26, 1, v26
	s_waitcnt lgkmcnt(0)
	v_add_f16_e32 v24, v24, v25
	v_add_lshl_u32 v25, v26, v20, 2
	s_delay_alu instid0(VALU_DEP_2) | instskip(SKIP_3) | instid1(VALU_DEP_2)
	v_and_b32_e32 v26, 0xffff, v24
	ds_bpermute_b32 v25, v25, v26
	v_cndmask_b32_e64 v26, 0, 1, vcc_lo
	v_cmp_gt_u32_e32 vcc_lo, 8, v22
	v_lshlrev_b32_e32 v26, 2, v26
	s_waitcnt lgkmcnt(0)
	v_add_f16_e32 v24, v24, v25
	s_delay_alu instid0(VALU_DEP_2) | instskip(NEXT) | instid1(VALU_DEP_2)
	v_add_lshl_u32 v25, v26, v20, 2
	v_and_b32_e32 v26, 0xffff, v24
	ds_bpermute_b32 v25, v25, v26
	v_cndmask_b32_e64 v26, 0, 1, vcc_lo
	s_waitcnt lgkmcnt(0)
	v_add_f16_e32 v24, v24, v25
	s_delay_alu instid0(VALU_DEP_2) | instskip(NEXT) | instid1(VALU_DEP_2)
	v_lshlrev_b32_e32 v25, 3, v26
	v_and_b32_e32 v26, 0xffff, v24
	s_delay_alu instid0(VALU_DEP_2)
	v_add_lshl_u32 v25, v25, v20, 2
	ds_bpermute_b32 v25, v25, v26
	s_waitcnt lgkmcnt(0)
	v_add_f16_e32 v24, v24, v25
.LBB99_50:                              ;   in Loop: Header=BB99_6 Depth=1
	s_or_b32 exec_lo, exec_lo, s1
	v_cmp_gt_i64_e64 s1, 0x2001, s[8:9]
	s_delay_alu instid0(VALU_DEP_1)
	s_and_b32 vcc_lo, exec_lo, s1
	s_cbranch_vccz .LBB99_5
.LBB99_51:
	s_mov_b32 s1, -1
                                        ; implicit-def: $sgpr8_sgpr9
                                        ; implicit-def: $sgpr12
                                        ; implicit-def: $vgpr1_vgpr2
                                        ; implicit-def: $vgpr16
.LBB99_52:
	s_delay_alu instid0(SALU_CYCLE_1)
	s_xor_b32 s0, s1, -1
.LBB99_53:
	s_delay_alu instid0(SALU_CYCLE_1)
	s_and_b32 vcc_lo, exec_lo, s0
	s_cbranch_vccz .LBB99_56
; %bb.54:
	s_mov_b32 s0, exec_lo
	v_cmpx_eq_u32_e32 0, v0
	s_cbranch_execz .LBB99_56
; %bb.55:
	s_lshl_b64 s[0:1], s[2:3], 1
	v_mov_b32_e32 v0, 0
	s_waitcnt lgkmcnt(0)
	s_add_u32 s0, s6, s0
	s_addc_u32 s1, s7, s1
	global_store_b16 v0, v16, s[0:1]
.LBB99_56:
	s_nop 0
	s_sendmsg sendmsg(MSG_DEALLOC_VGPRS)
	s_endpgm
	.section	.rodata,"a",@progbits
	.p2align	6, 0x0
	.amdhsa_kernel _ZN2at4cuda3cub15calc_block_sumsILi512ELi16ELb0EN3c104HalfES4_EEvPKT2_PT3_li
		.amdhsa_group_segment_fixed_size 32
		.amdhsa_private_segment_fixed_size 0
		.amdhsa_kernarg_size 28
		.amdhsa_user_sgpr_count 15
		.amdhsa_user_sgpr_dispatch_ptr 0
		.amdhsa_user_sgpr_queue_ptr 0
		.amdhsa_user_sgpr_kernarg_segment_ptr 1
		.amdhsa_user_sgpr_dispatch_id 0
		.amdhsa_user_sgpr_private_segment_size 0
		.amdhsa_wavefront_size32 1
		.amdhsa_uses_dynamic_stack 0
		.amdhsa_enable_private_segment 0
		.amdhsa_system_sgpr_workgroup_id_x 1
		.amdhsa_system_sgpr_workgroup_id_y 0
		.amdhsa_system_sgpr_workgroup_id_z 0
		.amdhsa_system_sgpr_workgroup_info 0
		.amdhsa_system_vgpr_workitem_id 0
		.amdhsa_next_free_vgpr 42
		.amdhsa_next_free_sgpr 16
		.amdhsa_reserve_vcc 1
		.amdhsa_float_round_mode_32 0
		.amdhsa_float_round_mode_16_64 0
		.amdhsa_float_denorm_mode_32 3
		.amdhsa_float_denorm_mode_16_64 3
		.amdhsa_dx10_clamp 1
		.amdhsa_ieee_mode 1
		.amdhsa_fp16_overflow 0
		.amdhsa_workgroup_processor_mode 1
		.amdhsa_memory_ordered 1
		.amdhsa_forward_progress 0
		.amdhsa_shared_vgpr_count 0
		.amdhsa_exception_fp_ieee_invalid_op 0
		.amdhsa_exception_fp_denorm_src 0
		.amdhsa_exception_fp_ieee_div_zero 0
		.amdhsa_exception_fp_ieee_overflow 0
		.amdhsa_exception_fp_ieee_underflow 0
		.amdhsa_exception_fp_ieee_inexact 0
		.amdhsa_exception_int_div_zero 0
	.end_amdhsa_kernel
	.section	.text._ZN2at4cuda3cub15calc_block_sumsILi512ELi16ELb0EN3c104HalfES4_EEvPKT2_PT3_li,"axG",@progbits,_ZN2at4cuda3cub15calc_block_sumsILi512ELi16ELb0EN3c104HalfES4_EEvPKT2_PT3_li,comdat
.Lfunc_end99:
	.size	_ZN2at4cuda3cub15calc_block_sumsILi512ELi16ELb0EN3c104HalfES4_EEvPKT2_PT3_li, .Lfunc_end99-_ZN2at4cuda3cub15calc_block_sumsILi512ELi16ELb0EN3c104HalfES4_EEvPKT2_PT3_li
                                        ; -- End function
	.section	.AMDGPU.csdata,"",@progbits
; Kernel info:
; codeLenInByte = 2576
; NumSgprs: 18
; NumVgprs: 42
; ScratchSize: 0
; MemoryBound: 0
; FloatMode: 240
; IeeeMode: 1
; LDSByteSize: 32 bytes/workgroup (compile time only)
; SGPRBlocks: 2
; VGPRBlocks: 5
; NumSGPRsForWavesPerEU: 18
; NumVGPRsForWavesPerEU: 42
; Occupancy: 16
; WaveLimiterHint : 1
; COMPUTE_PGM_RSRC2:SCRATCH_EN: 0
; COMPUTE_PGM_RSRC2:USER_SGPR: 15
; COMPUTE_PGM_RSRC2:TRAP_HANDLER: 0
; COMPUTE_PGM_RSRC2:TGID_X_EN: 1
; COMPUTE_PGM_RSRC2:TGID_Y_EN: 0
; COMPUTE_PGM_RSRC2:TGID_Z_EN: 0
; COMPUTE_PGM_RSRC2:TIDIG_COMP_CNT: 0
	.section	.text._ZN2at4cuda3cub17final_scan_kernelILi512ELi16EN3c104HalfEEEvPKT1_PS5_S8_li,"axG",@progbits,_ZN2at4cuda3cub17final_scan_kernelILi512ELi16EN3c104HalfEEEvPKT1_PS5_S8_li,comdat
	.protected	_ZN2at4cuda3cub17final_scan_kernelILi512ELi16EN3c104HalfEEEvPKT1_PS5_S8_li ; -- Begin function _ZN2at4cuda3cub17final_scan_kernelILi512ELi16EN3c104HalfEEEvPKT1_PS5_S8_li
	.globl	_ZN2at4cuda3cub17final_scan_kernelILi512ELi16EN3c104HalfEEEvPKT1_PS5_S8_li
	.p2align	8
	.type	_ZN2at4cuda3cub17final_scan_kernelILi512ELi16EN3c104HalfEEEvPKT1_PS5_S8_li,@function
_ZN2at4cuda3cub17final_scan_kernelILi512ELi16EN3c104HalfEEEvPKT1_PS5_S8_li: ; @_ZN2at4cuda3cub17final_scan_kernelILi512ELi16EN3c104HalfEEEvPKT1_PS5_S8_li
; %bb.0:
	s_clause 0x1
	s_load_b32 s14, s[0:1], 0x20
	s_load_b256 s[16:23], s[0:1], 0x0
	s_waitcnt lgkmcnt(0)
	s_lshl_b32 s2, s14, 13
	s_delay_alu instid0(SALU_CYCLE_1)
	s_ashr_i32 s3, s2, 31
	s_mul_hi_u32 s4, s2, s15
	s_mul_i32 s3, s3, s15
	s_mul_i32 s24, s2, s15
	s_add_i32 s25, s4, s3
	s_sub_u32 s12, s22, s24
	s_subb_u32 s13, s23, s25
	s_delay_alu instid0(SALU_CYCLE_1) | instskip(NEXT) | instid1(VALU_DEP_1)
	v_cmp_lt_i64_e64 s2, s[12:13], 1
	s_and_b32 vcc_lo, exec_lo, s2
	s_cbranch_vccnz .LBB100_98
; %bb.1:
	v_dual_mov_b32 v3, 0 :: v_dual_lshlrev_b32 v14, 1, v0
	s_mov_b32 s2, exec_lo
	v_cmpx_gt_u32_e64 s15, v0
	s_cbranch_execz .LBB100_3
; %bb.2:
	global_load_u16 v3, v14, s[20:21]
.LBB100_3:
	s_or_b32 exec_lo, exec_lo, s2
	s_load_b32 s0, s[0:1], 0x34
	s_waitcnt lgkmcnt(0)
	s_and_b32 s1, s0, 0xffff
	s_mov_b32 s0, exec_lo
	v_add_nc_u32_e32 v1, s1, v0
	s_delay_alu instid0(VALU_DEP_1)
	v_cmpx_gt_u32_e64 s15, v1
	s_cbranch_execz .LBB100_7
; %bb.4:
	v_mov_b32_e32 v2, 0
	s_mov_b32 s2, 0
.LBB100_5:                              ; =>This Inner Loop Header: Depth=1
	s_delay_alu instid0(VALU_DEP_1) | instskip(SKIP_1) | instid1(VALU_DEP_2)
	v_lshlrev_b64 v[4:5], 1, v[1:2]
	v_add_nc_u32_e32 v1, s1, v1
	v_add_co_u32 v4, vcc_lo, s20, v4
	s_delay_alu instid0(VALU_DEP_3) | instskip(NEXT) | instid1(VALU_DEP_3)
	v_add_co_ci_u32_e32 v5, vcc_lo, s21, v5, vcc_lo
	v_cmp_le_u32_e32 vcc_lo, s15, v1
	global_load_u16 v4, v[4:5], off
	s_or_b32 s2, vcc_lo, s2
	s_waitcnt vmcnt(0)
	v_add_f16_e32 v3, v4, v3
	s_and_not1_b32 exec_lo, exec_lo, s2
	s_cbranch_execnz .LBB100_5
; %bb.6:
	s_or_b32 exec_lo, exec_lo, s2
.LBB100_7:
	s_delay_alu instid0(SALU_CYCLE_1) | instskip(SKIP_2) | instid1(VALU_DEP_1)
	s_or_b32 exec_lo, exec_lo, s0
	s_waitcnt vmcnt(0)
	v_and_b32_e32 v1, 0xffff, v3
	v_mov_b32_dpp v1, v1 quad_perm:[1,0,3,2] row_mask:0xf bank_mask:0xf
	s_delay_alu instid0(VALU_DEP_1) | instskip(NEXT) | instid1(VALU_DEP_1)
	v_add_f16_e32 v1, v3, v1
	v_and_b32_e32 v2, 0xffff, v1
	s_delay_alu instid0(VALU_DEP_1) | instskip(NEXT) | instid1(VALU_DEP_1)
	v_mov_b32_dpp v2, v2 quad_perm:[2,3,0,1] row_mask:0xf bank_mask:0xf
	v_add_f16_e32 v1, v1, v2
	s_delay_alu instid0(VALU_DEP_1) | instskip(NEXT) | instid1(VALU_DEP_1)
	v_and_b32_e32 v2, 0xffff, v1
	v_mov_b32_dpp v2, v2 row_ror:4 row_mask:0xf bank_mask:0xf
	s_delay_alu instid0(VALU_DEP_1) | instskip(NEXT) | instid1(VALU_DEP_1)
	v_add_f16_e32 v1, v1, v2
	v_and_b32_e32 v2, 0xffff, v1
	s_delay_alu instid0(VALU_DEP_1) | instskip(NEXT) | instid1(VALU_DEP_1)
	v_mov_b32_dpp v2, v2 row_ror:8 row_mask:0xf bank_mask:0xf
	v_add_f16_e32 v1, v1, v2
	s_delay_alu instid0(VALU_DEP_1) | instskip(SKIP_3) | instid1(VALU_DEP_1)
	v_and_b32_e32 v2, 0xffff, v1
	ds_swizzle_b32 v2, v2 offset:swizzle(BROADCAST,32,15)
	s_waitcnt lgkmcnt(0)
	v_add_f16_e32 v1, v1, v2
	v_dual_mov_b32 v2, 0 :: v_dual_and_b32 v1, 0xffff, v1
	ds_bpermute_b32 v15, v2, v1 offset:124
	v_mbcnt_lo_u32_b32 v1, -1, 0
	s_delay_alu instid0(VALU_DEP_1) | instskip(NEXT) | instid1(VALU_DEP_1)
	v_cmp_eq_u32_e64 s0, 0, v1
	s_and_saveexec_b32 s1, s0
	s_cbranch_execz .LBB100_9
; %bb.8:
	v_lshrrev_b32_e32 v2, 4, v0
	s_delay_alu instid0(VALU_DEP_1)
	v_and_b32_e32 v2, 62, v2
	s_waitcnt lgkmcnt(0)
	ds_store_b16 v2, v15
.LBB100_9:
	s_or_b32 exec_lo, exec_lo, s1
	v_cmp_lt_u32_e64 s1, 31, v0
	v_cmp_gt_u32_e64 s2, 32, v0
	v_and_b32_e32 v2, 15, v1
	s_waitcnt lgkmcnt(0)
	s_barrier
	buffer_gl0_inv
	s_and_saveexec_b32 s3, s2
	s_cbranch_execz .LBB100_11
; %bb.10:
	v_lshlrev_b32_e32 v3, 1, v2
	v_cmp_ne_u32_e32 vcc_lo, 15, v2
	ds_load_u16 v3, v3
	v_add_co_ci_u32_e32 v4, vcc_lo, 0, v1, vcc_lo
	v_cmp_gt_u32_e32 vcc_lo, 14, v2
	s_delay_alu instid0(VALU_DEP_2)
	v_lshlrev_b32_e32 v4, 2, v4
	s_waitcnt lgkmcnt(0)
	v_and_b32_e32 v5, 0xffff, v3
	ds_bpermute_b32 v4, v4, v5
	v_cndmask_b32_e64 v5, 0, 1, vcc_lo
	v_cmp_gt_u32_e32 vcc_lo, 12, v2
	s_delay_alu instid0(VALU_DEP_2) | instskip(SKIP_2) | instid1(VALU_DEP_2)
	v_lshlrev_b32_e32 v5, 1, v5
	s_waitcnt lgkmcnt(0)
	v_add_f16_e32 v3, v3, v4
	v_add_lshl_u32 v4, v5, v1, 2
	s_delay_alu instid0(VALU_DEP_2) | instskip(SKIP_3) | instid1(VALU_DEP_2)
	v_and_b32_e32 v5, 0xffff, v3
	ds_bpermute_b32 v4, v4, v5
	v_cndmask_b32_e64 v5, 0, 1, vcc_lo
	v_cmp_gt_u32_e32 vcc_lo, 8, v2
	v_lshlrev_b32_e32 v5, 2, v5
	s_waitcnt lgkmcnt(0)
	v_add_f16_e32 v3, v3, v4
	s_delay_alu instid0(VALU_DEP_2) | instskip(NEXT) | instid1(VALU_DEP_2)
	v_add_lshl_u32 v4, v5, v1, 2
	v_and_b32_e32 v5, 0xffff, v3
	ds_bpermute_b32 v4, v4, v5
	v_cndmask_b32_e64 v5, 0, 1, vcc_lo
	s_waitcnt lgkmcnt(0)
	v_add_f16_e32 v3, v3, v4
	s_delay_alu instid0(VALU_DEP_2) | instskip(NEXT) | instid1(VALU_DEP_2)
	v_lshlrev_b32_e32 v4, 3, v5
	v_and_b32_e32 v5, 0xffff, v3
	s_delay_alu instid0(VALU_DEP_2)
	v_add_lshl_u32 v4, v4, v1, 2
	ds_bpermute_b32 v4, v4, v5
	s_waitcnt lgkmcnt(0)
	v_add_f16_e32 v15, v3, v4
.LBB100_11:
	s_or_b32 exec_lo, exec_lo, s3
	s_cmp_lt_i32 s14, 1
	s_barrier
	buffer_gl0_inv
	s_cbranch_scc1 .LBB100_98
; %bb.12:
	v_lshlrev_b32_e32 v3, 4, v0
	v_cmp_eq_u32_e64 s3, 0, v2
	v_cmp_lt_u32_e64 s4, 1, v2
	v_cmp_lt_u32_e64 s5, 3, v2
	;; [unrolled: 1-line block ×3, first 2 shown]
	v_and_b32_e32 v3, 0x3e00, v3
	v_and_b32_e32 v2, 16, v1
	s_lshl_b64 s[20:21], s[24:25], 1
	v_cmp_gt_u32_e64 s9, 16, v0
	v_cmp_eq_u32_e64 s10, 0, v0
	v_or_b32_e32 v16, v1, v3
	v_lshrrev_b32_e32 v3, 5, v3
	v_cmp_eq_u32_e64 s7, 0, v2
	v_lshlrev_b32_e32 v52, 1, v1
	s_mul_i32 s15, s15, s14
	v_or_b32_e32 v17, 32, v16
	v_or_b32_e32 v18, 64, v16
	v_or_b32_e32 v21, 0xa0, v16
	v_or_b32_e32 v23, 0xe0, v16
	v_add_lshl_u32 v32, v3, v16, 1
	v_add_lshl_u32 v33, v3, v17, 1
	v_lshrrev_b32_e32 v3, 5, v18
	v_lshrrev_b32_e32 v5, 5, v21
	v_lshrrev_b32_e32 v7, 5, v23
	v_or_b32_e32 v24, 0x100, v16
	v_or_b32_e32 v27, 0x160, v16
	v_add_lshl_u32 v34, v3, v18, 1
	v_and_b32_e32 v5, 0x1f4, v5
	v_and_b32_e32 v3, 0x1f6, v7
	v_or_b32_e32 v29, 0x1a0, v16
	v_or_b32_e32 v19, 0x60, v16
	;; [unrolled: 1-line block ×3, first 2 shown]
	v_add_lshl_u32 v37, v5, v21, 1
	v_add_lshl_u32 v39, v3, v23, 1
	v_lshrrev_b32_e32 v3, 5, v24
	v_lshrrev_b32_e32 v5, 5, v27
	;; [unrolled: 1-line block ×3, first 2 shown]
	v_or_b32_e32 v22, 0xc0, v16
	v_and_b32_e32 v7, 0x3e0, v0
	v_add_lshl_u32 v40, v3, v24, 1
	v_and_b32_e32 v3, 0x1fa, v5
	v_lshrrev_b32_e32 v5, 5, v29
	v_or_b32_e32 v31, 0x1e0, v16
	v_lshrrev_b32_e32 v8, 5, v22
	v_or_b32_e32 v20, 0x80, v16
	v_add_lshl_u32 v43, v3, v27, 1
	v_and_b32_e32 v5, 0x1fc, v5
	v_lshrrev_b32_e32 v3, 5, v31
	v_add_lshl_u32 v38, v8, v22, 1
	v_or_b32_e32 v26, 0x140, v16
	v_lshrrev_b32_e32 v6, 5, v20
	v_add_lshl_u32 v45, v5, v29, 1
	v_add_nc_u32_e32 v5, -1, v1
	v_and_b32_e32 v3, 0x1fe, v3
	v_or_b32_e32 v30, 0x1c0, v16
	v_or_b32_e32 v28, 0x180, v16
	v_add_lshl_u32 v36, v6, v20, 1
	v_cmp_gt_i32_e32 vcc_lo, 0, v5
	v_and_b32_e32 v4, 0x1f2, v4
	v_add_lshl_u32 v47, v3, v31, 1
	v_mov_b32_e32 v53, 0
	v_min_u32_e32 v3, 0x1e0, v7
	v_cndmask_b32_e32 v5, v5, v1, vcc_lo
	v_add_lshl_u32 v35, v4, v19, 1
	v_lshrrev_b32_e32 v4, 5, v25
	v_lshrrev_b32_e32 v6, 5, v26
	v_or_b32_e32 v3, 31, v3
	v_lshrrev_b32_e32 v9, 5, v30
	v_lshlrev_b32_e32 v51, 2, v5
	v_and_b32_e32 v4, 0x1f8, v4
	v_add_lshl_u32 v42, v6, v26, 1
	v_cmp_eq_u32_e64 s8, v3, v0
	v_lshrrev_b32_e32 v6, 5, v28
	v_add_lshl_u32 v46, v9, v30, 1
	v_add_lshl_u32 v41, v4, v25, 1
	v_or_b32_e32 v4, v1, v7
	s_delay_alu instid0(VALU_DEP_4) | instskip(NEXT) | instid1(VALU_DEP_2)
	v_add_lshl_u32 v44, v6, v28, 1
	v_lshrrev_b16 v8, 1, v4
	v_lshlrev_b32_e32 v4, 4, v4
	s_delay_alu instid0(VALU_DEP_2) | instskip(NEXT) | instid1(VALU_DEP_1)
	v_and_b32_e32 v8, 0x1fe, v8
	v_add_lshl_u32 v48, v8, v4, 1
	v_lshrrev_b32_e32 v4, 5, v0
	s_delay_alu instid0(VALU_DEP_1) | instskip(SKIP_1) | instid1(VALU_DEP_2)
	v_lshlrev_b32_e32 v2, 10, v4
	v_lshlrev_b32_e32 v49, 1, v4
	v_add_co_u32 v0, s11, s20, v2
	s_delay_alu instid0(VALU_DEP_1) | instskip(NEXT) | instid1(VALU_DEP_3)
	v_add_co_ci_u32_e64 v1, null, s21, 0, s11
	v_add_nc_u32_e32 v50, -2, v49
	s_delay_alu instid0(VALU_DEP_3) | instskip(NEXT) | instid1(VALU_DEP_3)
	v_add_co_u32 v8, vcc_lo, s16, v0
	v_add_co_ci_u32_e32 v9, vcc_lo, s17, v1, vcc_lo
	v_add_co_u32 v10, vcc_lo, s18, v0
	v_add_co_ci_u32_e32 v11, vcc_lo, s19, v1, vcc_lo
	s_lshl_b32 s11, s15, 13
	s_delay_alu instid0(SALU_CYCLE_1)
	s_sub_i32 s15, s22, s11
	s_branch .LBB100_14
.LBB100_13:                             ;   in Loop: Header=BB100_14 Depth=1
	v_add_co_u32 v8, vcc_lo, 0x4000, v8
	v_add_co_ci_u32_e32 v9, vcc_lo, 0, v9, vcc_lo
	s_add_u32 s12, s12, 0xffffe000
	v_add_co_u32 v10, vcc_lo, 0x4000, v10
	s_addc_u32 s13, s13, -1
	s_add_i32 s14, s14, -1
	s_addk_i32 s15, 0xe000
	v_add_co_ci_u32_e32 v11, vcc_lo, 0, v11, vcc_lo
	s_cmp_eq_u32 s14, 0
	s_waitcnt lgkmcnt(0)
	s_waitcnt_vscnt null, 0x0
	s_cselect_b32 s11, -1, 0
	s_barrier
	buffer_gl0_inv
	s_and_not1_b32 vcc_lo, exec_lo, s11
	s_cbranch_vccz .LBB100_98
.LBB100_14:                             ; =>This Inner Loop Header: Depth=1
	v_cmp_lt_i64_e64 s11, 0x1fff, s[12:13]
	v_cmp_gt_i64_e64 s16, 0x2000, s[12:13]
	s_mov_b32 s17, -1
	s_delay_alu instid0(VALU_DEP_2)
	s_and_b32 vcc_lo, exec_lo, s11
	v_cmp_gt_u32_e64 s11, s15, v16
	s_cbranch_vccnz .LBB100_48
; %bb.15:                               ;   in Loop: Header=BB100_14 Depth=1
	v_add_co_u32 v0, vcc_lo, v8, v52
	v_add_co_ci_u32_e32 v1, vcc_lo, 0, v9, vcc_lo
	v_dual_mov_b32 v2, 0 :: v_dual_mov_b32 v3, 0
	s_and_saveexec_b32 s17, s11
	s_cbranch_execz .LBB100_17
; %bb.16:                               ;   in Loop: Header=BB100_14 Depth=1
	global_load_u16 v3, v[0:1], off
.LBB100_17:                             ;   in Loop: Header=BB100_14 Depth=1
	s_or_b32 exec_lo, exec_lo, s17
	s_delay_alu instid0(SALU_CYCLE_1)
	s_mov_b32 s11, exec_lo
	v_cmpx_gt_u32_e64 s15, v17
	s_cbranch_execz .LBB100_19
; %bb.18:                               ;   in Loop: Header=BB100_14 Depth=1
	global_load_u16 v2, v[0:1], off offset:64
.LBB100_19:                             ;   in Loop: Header=BB100_14 Depth=1
	s_or_b32 exec_lo, exec_lo, s11
	v_dual_mov_b32 v4, 0 :: v_dual_mov_b32 v5, 0
	s_mov_b32 s11, exec_lo
	v_cmpx_gt_u32_e64 s15, v18
	s_cbranch_execz .LBB100_21
; %bb.20:                               ;   in Loop: Header=BB100_14 Depth=1
	global_load_u16 v5, v[0:1], off offset:128
.LBB100_21:                             ;   in Loop: Header=BB100_14 Depth=1
	s_or_b32 exec_lo, exec_lo, s11
	s_delay_alu instid0(SALU_CYCLE_1)
	s_mov_b32 s11, exec_lo
	v_cmpx_gt_u32_e64 s15, v19
	s_cbranch_execz .LBB100_23
; %bb.22:                               ;   in Loop: Header=BB100_14 Depth=1
	global_load_u16 v4, v[0:1], off offset:192
.LBB100_23:                             ;   in Loop: Header=BB100_14 Depth=1
	s_or_b32 exec_lo, exec_lo, s11
	v_dual_mov_b32 v6, 0 :: v_dual_mov_b32 v7, 0
	s_mov_b32 s11, exec_lo
	v_cmpx_gt_u32_e64 s15, v20
	s_cbranch_execz .LBB100_25
; %bb.24:                               ;   in Loop: Header=BB100_14 Depth=1
	global_load_u16 v7, v[0:1], off offset:256
.LBB100_25:                             ;   in Loop: Header=BB100_14 Depth=1
	;; [unrolled: 16-line block ×3, first 2 shown]
	s_or_b32 exec_lo, exec_lo, s11
	s_delay_alu instid0(SALU_CYCLE_1)
	s_mov_b32 s11, exec_lo
	v_cmpx_gt_u32_e64 s15, v23
	s_cbranch_execz .LBB100_31
; %bb.30:                               ;   in Loop: Header=BB100_14 Depth=1
	global_load_u16 v12, v[0:1], off offset:448
.LBB100_31:                             ;   in Loop: Header=BB100_14 Depth=1
	s_or_b32 exec_lo, exec_lo, s11
	s_waitcnt lgkmcnt(0)
	v_dual_mov_b32 v54, 0 :: v_dual_mov_b32 v55, 0
	s_mov_b32 s11, exec_lo
	v_cmpx_gt_u32_e64 s15, v24
	s_cbranch_execz .LBB100_33
; %bb.32:                               ;   in Loop: Header=BB100_14 Depth=1
	global_load_u16 v55, v[0:1], off offset:512
.LBB100_33:                             ;   in Loop: Header=BB100_14 Depth=1
	s_or_b32 exec_lo, exec_lo, s11
	s_delay_alu instid0(SALU_CYCLE_1)
	s_mov_b32 s11, exec_lo
	v_cmpx_gt_u32_e64 s15, v25
	s_cbranch_execz .LBB100_35
; %bb.34:                               ;   in Loop: Header=BB100_14 Depth=1
	global_load_u16 v54, v[0:1], off offset:576
.LBB100_35:                             ;   in Loop: Header=BB100_14 Depth=1
	s_or_b32 exec_lo, exec_lo, s11
	v_dual_mov_b32 v56, 0 :: v_dual_mov_b32 v57, 0
	s_mov_b32 s11, exec_lo
	v_cmpx_gt_u32_e64 s15, v26
	s_cbranch_execz .LBB100_37
; %bb.36:                               ;   in Loop: Header=BB100_14 Depth=1
	global_load_u16 v57, v[0:1], off offset:640
.LBB100_37:                             ;   in Loop: Header=BB100_14 Depth=1
	s_or_b32 exec_lo, exec_lo, s11
	s_delay_alu instid0(SALU_CYCLE_1)
	s_mov_b32 s11, exec_lo
	v_cmpx_gt_u32_e64 s15, v27
	s_cbranch_execz .LBB100_39
; %bb.38:                               ;   in Loop: Header=BB100_14 Depth=1
	global_load_u16 v56, v[0:1], off offset:704
.LBB100_39:                             ;   in Loop: Header=BB100_14 Depth=1
	s_or_b32 exec_lo, exec_lo, s11
	;; [unrolled: 16-line block ×4, first 2 shown]
	s_mov_b32 s17, 0
	s_waitcnt vmcnt(0)
	ds_store_b16 v32, v3
	ds_store_b16 v33, v2
	;; [unrolled: 1-line block ×16, first 2 shown]
	; wave barrier
.LBB100_48:                             ;   in Loop: Header=BB100_14 Depth=1
	s_and_b32 vcc_lo, exec_lo, s17
	s_cbranch_vccz .LBB100_50
; %bb.49:                               ;   in Loop: Header=BB100_14 Depth=1
	v_add_co_u32 v0, vcc_lo, v8, v52
	v_add_co_ci_u32_e32 v1, vcc_lo, 0, v9, vcc_lo
	s_clause 0x7
	global_load_u16 v2, v[0:1], off
	global_load_u16 v3, v[0:1], off offset:64
	global_load_u16 v4, v[0:1], off offset:128
	;; [unrolled: 1-line block ×7, first 2 shown]
	s_waitcnt lgkmcnt(0)
	s_clause 0x7
	global_load_u16 v54, v[0:1], off offset:512
	global_load_u16 v55, v[0:1], off offset:576
	;; [unrolled: 1-line block ×8, first 2 shown]
	s_waitcnt vmcnt(15)
	ds_store_b16 v32, v2
	s_waitcnt vmcnt(14)
	ds_store_b16 v33, v3
	;; [unrolled: 2-line block ×16, first 2 shown]
	; wave barrier
.LBB100_50:                             ;   in Loop: Header=BB100_14 Depth=1
	ds_load_b128 v[4:7], v48
	ds_load_b128 v[0:3], v48 offset:16
	s_waitcnt lgkmcnt(0)
	s_waitcnt_vscnt null, 0x0
	s_barrier
	buffer_gl0_inv
	v_lshrrev_b32_e32 v12, 16, v4
	v_lshrrev_b32_e32 v54, 16, v5
	;; [unrolled: 1-line block ×5, first 2 shown]
	v_add_f16_e32 v13, v4, v12
	v_lshrrev_b32_e32 v58, 16, v1
	v_lshrrev_b32_e32 v59, 16, v2
	s_delay_alu instid0(VALU_DEP_3) | instskip(NEXT) | instid1(VALU_DEP_1)
	v_add_f16_e32 v13, v13, v5
	v_add_f16_e32 v13, v13, v54
	s_delay_alu instid0(VALU_DEP_1) | instskip(NEXT) | instid1(VALU_DEP_1)
	v_add_f16_e32 v13, v13, v6
	v_add_f16_e32 v13, v13, v55
	s_delay_alu instid0(VALU_DEP_1) | instskip(NEXT) | instid1(VALU_DEP_1)
	;; [unrolled: 3-line block ×5, first 2 shown]
	v_add_f16_e32 v13, v13, v2
	v_add_f16_e32 v60, v13, v59
	v_lshrrev_b32_e32 v13, 16, v3
	s_delay_alu instid0(VALU_DEP_2) | instskip(NEXT) | instid1(VALU_DEP_1)
	v_add_f16_e32 v60, v60, v3
	v_add_f16_e32 v60, v60, v13
	s_delay_alu instid0(VALU_DEP_1) | instskip(NEXT) | instid1(VALU_DEP_1)
	v_and_b32_e32 v61, 0xffff, v60
	v_mov_b32_dpp v61, v61 row_shr:1 row_mask:0xf bank_mask:0xf
	s_delay_alu instid0(VALU_DEP_1) | instskip(NEXT) | instid1(VALU_DEP_1)
	v_add_f16_e32 v61, v60, v61
	v_cndmask_b32_e64 v60, v61, v60, s3
	s_delay_alu instid0(VALU_DEP_1) | instskip(NEXT) | instid1(VALU_DEP_1)
	v_and_b32_e32 v61, 0xffff, v60
	v_mov_b32_dpp v61, v61 row_shr:2 row_mask:0xf bank_mask:0xf
	s_delay_alu instid0(VALU_DEP_1) | instskip(NEXT) | instid1(VALU_DEP_1)
	v_add_f16_e32 v61, v60, v61
	v_cndmask_b32_e64 v60, v60, v61, s4
	;; [unrolled: 6-line block ×4, first 2 shown]
	s_delay_alu instid0(VALU_DEP_1) | instskip(SKIP_3) | instid1(VALU_DEP_1)
	v_and_b32_e32 v61, 0xffff, v60
	ds_swizzle_b32 v61, v61 offset:swizzle(BROADCAST,32,15)
	s_waitcnt lgkmcnt(0)
	v_add_f16_e32 v61, v60, v61
	v_cndmask_b32_e64 v60, v61, v60, s7
	s_and_saveexec_b32 s11, s8
	s_cbranch_execz .LBB100_52
; %bb.51:                               ;   in Loop: Header=BB100_14 Depth=1
	ds_store_b16 v49, v60
.LBB100_52:                             ;   in Loop: Header=BB100_14 Depth=1
	s_or_b32 exec_lo, exec_lo, s11
	s_waitcnt lgkmcnt(0)
	s_barrier
	buffer_gl0_inv
	s_and_saveexec_b32 s11, s9
	s_cbranch_execz .LBB100_54
; %bb.53:                               ;   in Loop: Header=BB100_14 Depth=1
	ds_load_u16 v61, v14
	s_waitcnt lgkmcnt(0)
	v_and_b32_e32 v62, 0xffff, v61
	s_delay_alu instid0(VALU_DEP_1) | instskip(NEXT) | instid1(VALU_DEP_1)
	v_mov_b32_dpp v62, v62 row_shr:1 row_mask:0xf bank_mask:0xf
	v_add_f16_e32 v62, v61, v62
	s_delay_alu instid0(VALU_DEP_1) | instskip(NEXT) | instid1(VALU_DEP_1)
	v_cndmask_b32_e64 v61, v62, v61, s3
	v_and_b32_e32 v62, 0xffff, v61
	s_delay_alu instid0(VALU_DEP_1) | instskip(NEXT) | instid1(VALU_DEP_1)
	v_mov_b32_dpp v62, v62 row_shr:2 row_mask:0xf bank_mask:0xf
	v_add_f16_e32 v62, v61, v62
	s_delay_alu instid0(VALU_DEP_1) | instskip(NEXT) | instid1(VALU_DEP_1)
	v_cndmask_b32_e64 v61, v61, v62, s4
	;; [unrolled: 6-line block ×3, first 2 shown]
	v_and_b32_e32 v62, 0xffff, v61
	s_delay_alu instid0(VALU_DEP_1) | instskip(NEXT) | instid1(VALU_DEP_1)
	v_mov_b32_dpp v62, v62 row_shr:8 row_mask:0xf bank_mask:0xf
	v_add_f16_e32 v62, v61, v62
	s_delay_alu instid0(VALU_DEP_1)
	v_cndmask_b32_e64 v61, v61, v62, s6
	ds_store_b16 v14, v61
.LBB100_54:                             ;   in Loop: Header=BB100_14 Depth=1
	s_or_b32 exec_lo, exec_lo, s11
	s_waitcnt lgkmcnt(0)
	s_barrier
	buffer_gl0_inv
                                        ; implicit-def: $vgpr61
	s_and_saveexec_b32 s11, s1
	s_cbranch_execz .LBB100_56
; %bb.55:                               ;   in Loop: Header=BB100_14 Depth=1
	ds_load_u16 v61, v50
	s_waitcnt lgkmcnt(0)
	v_add_f16_e32 v60, v60, v61
.LBB100_56:                             ;   in Loop: Header=BB100_14 Depth=1
	s_or_b32 exec_lo, exec_lo, s11
	s_delay_alu instid0(VALU_DEP_1)
	v_and_b32_e32 v60, 0xffff, v60
	ds_bpermute_b32 v60, v51, v60
	s_and_saveexec_b32 s11, s2
	s_cbranch_execz .LBB100_60
; %bb.57:                               ;   in Loop: Header=BB100_14 Depth=1
	ds_load_u16 v62, v53 offset:30
	s_and_saveexec_b32 s17, s10
	s_cbranch_execz .LBB100_59
; %bb.58:                               ;   in Loop: Header=BB100_14 Depth=1
	ds_store_b16 v53, v15 offset:30
.LBB100_59:                             ;   in Loop: Header=BB100_14 Depth=1
	s_or_b32 exec_lo, exec_lo, s17
	s_waitcnt lgkmcnt(0)
	v_add_f16_e32 v15, v62, v15
.LBB100_60:                             ;   in Loop: Header=BB100_14 Depth=1
	s_or_b32 exec_lo, exec_lo, s11
	s_waitcnt lgkmcnt(0)
	s_barrier
	buffer_gl0_inv
	ds_load_u16 v62, v53 offset:30
	v_cndmask_b32_e64 v60, v60, v61, s0
	s_and_b32 vcc_lo, exec_lo, s16
	s_waitcnt lgkmcnt(0)
	s_barrier
	buffer_gl0_inv
	v_add_f16_e32 v60, v4, v60
	s_delay_alu instid0(VALU_DEP_1) | instskip(NEXT) | instid1(VALU_DEP_1)
	v_cndmask_b32_e64 v4, v60, v4, s10
	v_add_f16_e32 v4, v62, v4
	s_delay_alu instid0(VALU_DEP_1) | instskip(NEXT) | instid1(VALU_DEP_1)
	v_add_f16_e32 v12, v12, v4
	v_add_f16_e32 v5, v12, v5
	s_delay_alu instid0(VALU_DEP_1) | instskip(NEXT) | instid1(VALU_DEP_1)
	v_add_f16_e32 v54, v5, v54
	;; [unrolled: 3-line block ×4, first 2 shown]
	v_add_f16_e32 v60, v56, v0
	v_perm_b32 v0, v12, v4, 0x5040100
	s_delay_alu instid0(VALU_DEP_2) | instskip(NEXT) | instid1(VALU_DEP_1)
	v_add_f16_e32 v57, v60, v57
	v_add_f16_e32 v61, v57, v1
	v_perm_b32 v1, v54, v5, 0x5040100
	s_delay_alu instid0(VALU_DEP_2) | instskip(NEXT) | instid1(VALU_DEP_1)
	v_add_f16_e32 v58, v61, v58
	v_add_f16_e32 v62, v58, v2
	v_perm_b32 v2, v55, v6, 0x5040100
	v_perm_b32 v5, v58, v61, 0x5040100
	s_delay_alu instid0(VALU_DEP_3) | instskip(NEXT) | instid1(VALU_DEP_1)
	v_add_f16_e32 v59, v62, v59
	v_add_f16_e32 v63, v59, v3
	v_perm_b32 v3, v56, v7, 0x5040100
	v_perm_b32 v6, v59, v62, 0x5040100
	s_delay_alu instid0(VALU_DEP_3) | instskip(NEXT) | instid1(VALU_DEP_1)
	v_add_f16_e32 v4, v63, v13
	v_perm_b32 v7, v4, v63, 0x5040100
	v_perm_b32 v4, v57, v60, 0x5040100
	s_cbranch_vccz .LBB100_81
; %bb.61:                               ;   in Loop: Header=BB100_14 Depth=1
	ds_store_b128 v48, v[0:3]
	ds_store_b128 v48, v[4:7] offset:16
	; wave barrier
	ds_load_u16 v68, v33
	ds_load_u16 v67, v34
	;; [unrolled: 1-line block ×15, first 2 shown]
	v_add_co_u32 v12, vcc_lo, v10, v52
	v_add_co_ci_u32_e32 v13, vcc_lo, 0, v11, vcc_lo
	s_mov_b32 s11, exec_lo
	v_cmpx_gt_u32_e64 s15, v16
	s_cbranch_execnz .LBB100_84
; %bb.62:                               ;   in Loop: Header=BB100_14 Depth=1
	s_or_b32 exec_lo, exec_lo, s11
	s_delay_alu instid0(SALU_CYCLE_1)
	s_mov_b32 s11, exec_lo
	v_cmpx_gt_u32_e64 s15, v17
	s_cbranch_execnz .LBB100_85
.LBB100_63:                             ;   in Loop: Header=BB100_14 Depth=1
	s_or_b32 exec_lo, exec_lo, s11
	s_delay_alu instid0(SALU_CYCLE_1)
	s_mov_b32 s11, exec_lo
	v_cmpx_gt_u32_e64 s15, v18
	s_cbranch_execnz .LBB100_86
.LBB100_64:                             ;   in Loop: Header=BB100_14 Depth=1
	s_or_b32 exec_lo, exec_lo, s11
	s_delay_alu instid0(SALU_CYCLE_1)
	s_mov_b32 s11, exec_lo
	v_cmpx_gt_u32_e64 s15, v19
	s_cbranch_execnz .LBB100_87
.LBB100_65:                             ;   in Loop: Header=BB100_14 Depth=1
	s_or_b32 exec_lo, exec_lo, s11
	s_delay_alu instid0(SALU_CYCLE_1)
	s_mov_b32 s11, exec_lo
	v_cmpx_gt_u32_e64 s15, v20
	s_cbranch_execnz .LBB100_88
.LBB100_66:                             ;   in Loop: Header=BB100_14 Depth=1
	s_or_b32 exec_lo, exec_lo, s11
	s_delay_alu instid0(SALU_CYCLE_1)
	s_mov_b32 s11, exec_lo
	v_cmpx_gt_u32_e64 s15, v21
	s_cbranch_execnz .LBB100_89
.LBB100_67:                             ;   in Loop: Header=BB100_14 Depth=1
	s_or_b32 exec_lo, exec_lo, s11
	s_delay_alu instid0(SALU_CYCLE_1)
	s_mov_b32 s11, exec_lo
	v_cmpx_gt_u32_e64 s15, v22
	s_cbranch_execnz .LBB100_90
.LBB100_68:                             ;   in Loop: Header=BB100_14 Depth=1
	s_or_b32 exec_lo, exec_lo, s11
	s_delay_alu instid0(SALU_CYCLE_1)
	s_mov_b32 s11, exec_lo
	v_cmpx_gt_u32_e64 s15, v23
	s_cbranch_execnz .LBB100_91
.LBB100_69:                             ;   in Loop: Header=BB100_14 Depth=1
	s_or_b32 exec_lo, exec_lo, s11
	s_delay_alu instid0(SALU_CYCLE_1)
	s_mov_b32 s11, exec_lo
	v_cmpx_gt_u32_e64 s15, v24
	s_cbranch_execnz .LBB100_92
.LBB100_70:                             ;   in Loop: Header=BB100_14 Depth=1
	s_or_b32 exec_lo, exec_lo, s11
	s_delay_alu instid0(SALU_CYCLE_1)
	s_mov_b32 s11, exec_lo
	v_cmpx_gt_u32_e64 s15, v25
	s_cbranch_execnz .LBB100_93
.LBB100_71:                             ;   in Loop: Header=BB100_14 Depth=1
	s_or_b32 exec_lo, exec_lo, s11
	s_delay_alu instid0(SALU_CYCLE_1)
	s_mov_b32 s11, exec_lo
	v_cmpx_gt_u32_e64 s15, v26
	s_cbranch_execnz .LBB100_94
.LBB100_72:                             ;   in Loop: Header=BB100_14 Depth=1
	s_or_b32 exec_lo, exec_lo, s11
	s_delay_alu instid0(SALU_CYCLE_1)
	s_mov_b32 s11, exec_lo
	v_cmpx_gt_u32_e64 s15, v27
	s_cbranch_execnz .LBB100_95
.LBB100_73:                             ;   in Loop: Header=BB100_14 Depth=1
	s_or_b32 exec_lo, exec_lo, s11
	s_delay_alu instid0(SALU_CYCLE_1)
	s_mov_b32 s11, exec_lo
	v_cmpx_gt_u32_e64 s15, v28
	s_cbranch_execnz .LBB100_96
.LBB100_74:                             ;   in Loop: Header=BB100_14 Depth=1
	s_or_b32 exec_lo, exec_lo, s11
	s_delay_alu instid0(SALU_CYCLE_1)
	s_mov_b32 s11, exec_lo
	v_cmpx_gt_u32_e64 s15, v29
	s_cbranch_execnz .LBB100_97
.LBB100_75:                             ;   in Loop: Header=BB100_14 Depth=1
	s_or_b32 exec_lo, exec_lo, s11
	s_delay_alu instid0(SALU_CYCLE_1)
	s_mov_b32 s11, exec_lo
	v_cmpx_gt_u32_e64 s15, v30
	s_cbranch_execz .LBB100_77
.LBB100_76:                             ;   in Loop: Header=BB100_14 Depth=1
	s_waitcnt lgkmcnt(1)
	global_store_b16 v[12:13], v55, off offset:896
.LBB100_77:                             ;   in Loop: Header=BB100_14 Depth=1
	s_or_b32 exec_lo, exec_lo, s11
	v_cmp_gt_u32_e64 s11, s15, v31
	s_branch .LBB100_79
.LBB100_78:                             ;   in Loop: Header=BB100_14 Depth=1
	ds_store_b128 v48, v[0:3]
	ds_store_b128 v48, v[4:7] offset:16
	; wave barrier
	ds_load_u16 v2, v32
	ds_load_u16 v3, v33
	;; [unrolled: 1-line block ×8, first 2 shown]
	s_waitcnt lgkmcnt(11)
	ds_load_u16 v55, v40
	ds_load_u16 v56, v41
	;; [unrolled: 1-line block ×7, first 2 shown]
	s_waitcnt lgkmcnt(17)
	ds_load_u16 v54, v47
	v_add_co_u32 v0, vcc_lo, v10, v52
	v_add_co_ci_u32_e32 v1, vcc_lo, 0, v11, vcc_lo
	s_or_b32 s11, s11, exec_lo
	s_waitcnt lgkmcnt(15)
	global_store_b16 v[0:1], v2, off
	s_waitcnt lgkmcnt(14)
	global_store_b16 v[0:1], v3, off offset:64
	s_waitcnt lgkmcnt(13)
	global_store_b16 v[0:1], v4, off offset:128
	;; [unrolled: 2-line block ×14, first 2 shown]
.LBB100_79:                             ;   in Loop: Header=BB100_14 Depth=1
	s_delay_alu instid0(VALU_DEP_1)
	s_and_saveexec_b32 s16, s11
	s_cbranch_execnz .LBB100_82
; %bb.80:                               ;   in Loop: Header=BB100_14 Depth=1
	s_or_b32 exec_lo, exec_lo, s16
	v_cmp_gt_i64_e64 s11, 0x2001, s[12:13]
	s_delay_alu instid0(VALU_DEP_1)
	s_and_b32 vcc_lo, exec_lo, s11
	s_cbranch_vccz .LBB100_13
	s_branch .LBB100_83
.LBB100_81:                             ;   in Loop: Header=BB100_14 Depth=1
	s_mov_b32 s11, 0
                                        ; implicit-def: $vgpr54
	s_cbranch_execnz .LBB100_78
	s_branch .LBB100_79
.LBB100_82:                             ;   in Loop: Header=BB100_14 Depth=1
	v_add_co_u32 v0, vcc_lo, v10, v52
	v_add_co_ci_u32_e32 v1, vcc_lo, 0, v11, vcc_lo
	s_waitcnt lgkmcnt(0)
	global_store_b16 v[0:1], v54, off offset:960
	s_or_b32 exec_lo, exec_lo, s16
	v_cmp_gt_i64_e64 s11, 0x2001, s[12:13]
	s_delay_alu instid0(VALU_DEP_1)
	s_and_b32 vcc_lo, exec_lo, s11
	s_cbranch_vccz .LBB100_13
.LBB100_83:
                                        ; implicit-def: $vgpr15
                                        ; implicit-def: $sgpr12_sgpr13
                                        ; implicit-def: $sgpr14
                                        ; implicit-def: $vgpr8_vgpr9
                                        ; implicit-def: $sgpr15
                                        ; implicit-def: $vgpr10_vgpr11
	s_branch .LBB100_98
.LBB100_84:                             ;   in Loop: Header=BB100_14 Depth=1
	ds_load_u16 v69, v32
	s_waitcnt lgkmcnt(0)
	global_store_b16 v[12:13], v69, off
	s_or_b32 exec_lo, exec_lo, s11
	s_delay_alu instid0(SALU_CYCLE_1)
	s_mov_b32 s11, exec_lo
	v_cmpx_gt_u32_e64 s15, v17
	s_cbranch_execz .LBB100_63
.LBB100_85:                             ;   in Loop: Header=BB100_14 Depth=1
	s_waitcnt lgkmcnt(14)
	global_store_b16 v[12:13], v68, off offset:64
	s_or_b32 exec_lo, exec_lo, s11
	s_delay_alu instid0(SALU_CYCLE_1)
	s_mov_b32 s11, exec_lo
	v_cmpx_gt_u32_e64 s15, v18
	s_cbranch_execz .LBB100_64
.LBB100_86:                             ;   in Loop: Header=BB100_14 Depth=1
	s_waitcnt lgkmcnt(13)
	global_store_b16 v[12:13], v67, off offset:128
	s_or_b32 exec_lo, exec_lo, s11
	s_delay_alu instid0(SALU_CYCLE_1)
	s_mov_b32 s11, exec_lo
	v_cmpx_gt_u32_e64 s15, v19
	s_cbranch_execz .LBB100_65
.LBB100_87:                             ;   in Loop: Header=BB100_14 Depth=1
	s_waitcnt lgkmcnt(12)
	global_store_b16 v[12:13], v66, off offset:192
	s_or_b32 exec_lo, exec_lo, s11
	s_delay_alu instid0(SALU_CYCLE_1)
	s_mov_b32 s11, exec_lo
	v_cmpx_gt_u32_e64 s15, v20
	s_cbranch_execz .LBB100_66
.LBB100_88:                             ;   in Loop: Header=BB100_14 Depth=1
	s_waitcnt lgkmcnt(11)
	global_store_b16 v[12:13], v65, off offset:256
	s_or_b32 exec_lo, exec_lo, s11
	s_delay_alu instid0(SALU_CYCLE_1)
	s_mov_b32 s11, exec_lo
	v_cmpx_gt_u32_e64 s15, v21
	s_cbranch_execz .LBB100_67
.LBB100_89:                             ;   in Loop: Header=BB100_14 Depth=1
	s_waitcnt lgkmcnt(10)
	global_store_b16 v[12:13], v64, off offset:320
	s_or_b32 exec_lo, exec_lo, s11
	s_delay_alu instid0(SALU_CYCLE_1)
	s_mov_b32 s11, exec_lo
	v_cmpx_gt_u32_e64 s15, v22
	s_cbranch_execz .LBB100_68
.LBB100_90:                             ;   in Loop: Header=BB100_14 Depth=1
	s_waitcnt lgkmcnt(9)
	global_store_b16 v[12:13], v63, off offset:384
	s_or_b32 exec_lo, exec_lo, s11
	s_delay_alu instid0(SALU_CYCLE_1)
	s_mov_b32 s11, exec_lo
	v_cmpx_gt_u32_e64 s15, v23
	s_cbranch_execz .LBB100_69
.LBB100_91:                             ;   in Loop: Header=BB100_14 Depth=1
	s_waitcnt lgkmcnt(8)
	global_store_b16 v[12:13], v62, off offset:448
	s_or_b32 exec_lo, exec_lo, s11
	s_delay_alu instid0(SALU_CYCLE_1)
	s_mov_b32 s11, exec_lo
	v_cmpx_gt_u32_e64 s15, v24
	s_cbranch_execz .LBB100_70
.LBB100_92:                             ;   in Loop: Header=BB100_14 Depth=1
	s_waitcnt lgkmcnt(7)
	global_store_b16 v[12:13], v61, off offset:512
	s_or_b32 exec_lo, exec_lo, s11
	s_delay_alu instid0(SALU_CYCLE_1)
	s_mov_b32 s11, exec_lo
	v_cmpx_gt_u32_e64 s15, v25
	s_cbranch_execz .LBB100_71
.LBB100_93:                             ;   in Loop: Header=BB100_14 Depth=1
	s_waitcnt lgkmcnt(6)
	global_store_b16 v[12:13], v60, off offset:576
	s_or_b32 exec_lo, exec_lo, s11
	s_delay_alu instid0(SALU_CYCLE_1)
	s_mov_b32 s11, exec_lo
	v_cmpx_gt_u32_e64 s15, v26
	s_cbranch_execz .LBB100_72
.LBB100_94:                             ;   in Loop: Header=BB100_14 Depth=1
	s_waitcnt lgkmcnt(5)
	global_store_b16 v[12:13], v59, off offset:640
	s_or_b32 exec_lo, exec_lo, s11
	s_delay_alu instid0(SALU_CYCLE_1)
	s_mov_b32 s11, exec_lo
	v_cmpx_gt_u32_e64 s15, v27
	s_cbranch_execz .LBB100_73
.LBB100_95:                             ;   in Loop: Header=BB100_14 Depth=1
	s_waitcnt lgkmcnt(4)
	global_store_b16 v[12:13], v58, off offset:704
	s_or_b32 exec_lo, exec_lo, s11
	s_delay_alu instid0(SALU_CYCLE_1)
	s_mov_b32 s11, exec_lo
	v_cmpx_gt_u32_e64 s15, v28
	s_cbranch_execz .LBB100_74
.LBB100_96:                             ;   in Loop: Header=BB100_14 Depth=1
	s_waitcnt lgkmcnt(3)
	global_store_b16 v[12:13], v57, off offset:768
	s_or_b32 exec_lo, exec_lo, s11
	s_delay_alu instid0(SALU_CYCLE_1)
	s_mov_b32 s11, exec_lo
	v_cmpx_gt_u32_e64 s15, v29
	s_cbranch_execz .LBB100_75
.LBB100_97:                             ;   in Loop: Header=BB100_14 Depth=1
	s_waitcnt lgkmcnt(2)
	global_store_b16 v[12:13], v56, off offset:832
	s_or_b32 exec_lo, exec_lo, s11
	s_delay_alu instid0(SALU_CYCLE_1)
	s_mov_b32 s11, exec_lo
	v_cmpx_gt_u32_e64 s15, v30
	s_cbranch_execnz .LBB100_76
	s_branch .LBB100_77
.LBB100_98:
	s_nop 0
	s_sendmsg sendmsg(MSG_DEALLOC_VGPRS)
	s_endpgm
	.section	.rodata,"a",@progbits
	.p2align	6, 0x0
	.amdhsa_kernel _ZN2at4cuda3cub17final_scan_kernelILi512ELi16EN3c104HalfEEEvPKT1_PS5_S8_li
		.amdhsa_group_segment_fixed_size 16896
		.amdhsa_private_segment_fixed_size 0
		.amdhsa_kernarg_size 296
		.amdhsa_user_sgpr_count 15
		.amdhsa_user_sgpr_dispatch_ptr 0
		.amdhsa_user_sgpr_queue_ptr 0
		.amdhsa_user_sgpr_kernarg_segment_ptr 1
		.amdhsa_user_sgpr_dispatch_id 0
		.amdhsa_user_sgpr_private_segment_size 0
		.amdhsa_wavefront_size32 1
		.amdhsa_uses_dynamic_stack 0
		.amdhsa_enable_private_segment 0
		.amdhsa_system_sgpr_workgroup_id_x 1
		.amdhsa_system_sgpr_workgroup_id_y 0
		.amdhsa_system_sgpr_workgroup_id_z 0
		.amdhsa_system_sgpr_workgroup_info 0
		.amdhsa_system_vgpr_workitem_id 0
		.amdhsa_next_free_vgpr 70
		.amdhsa_next_free_sgpr 26
		.amdhsa_reserve_vcc 1
		.amdhsa_float_round_mode_32 0
		.amdhsa_float_round_mode_16_64 0
		.amdhsa_float_denorm_mode_32 3
		.amdhsa_float_denorm_mode_16_64 3
		.amdhsa_dx10_clamp 1
		.amdhsa_ieee_mode 1
		.amdhsa_fp16_overflow 0
		.amdhsa_workgroup_processor_mode 1
		.amdhsa_memory_ordered 1
		.amdhsa_forward_progress 0
		.amdhsa_shared_vgpr_count 0
		.amdhsa_exception_fp_ieee_invalid_op 0
		.amdhsa_exception_fp_denorm_src 0
		.amdhsa_exception_fp_ieee_div_zero 0
		.amdhsa_exception_fp_ieee_overflow 0
		.amdhsa_exception_fp_ieee_underflow 0
		.amdhsa_exception_fp_ieee_inexact 0
		.amdhsa_exception_int_div_zero 0
	.end_amdhsa_kernel
	.section	.text._ZN2at4cuda3cub17final_scan_kernelILi512ELi16EN3c104HalfEEEvPKT1_PS5_S8_li,"axG",@progbits,_ZN2at4cuda3cub17final_scan_kernelILi512ELi16EN3c104HalfEEEvPKT1_PS5_S8_li,comdat
.Lfunc_end100:
	.size	_ZN2at4cuda3cub17final_scan_kernelILi512ELi16EN3c104HalfEEEvPKT1_PS5_S8_li, .Lfunc_end100-_ZN2at4cuda3cub17final_scan_kernelILi512ELi16EN3c104HalfEEEvPKT1_PS5_S8_li
                                        ; -- End function
	.section	.AMDGPU.csdata,"",@progbits
; Kernel info:
; codeLenInByte = 4972
; NumSgprs: 28
; NumVgprs: 70
; ScratchSize: 0
; MemoryBound: 0
; FloatMode: 240
; IeeeMode: 1
; LDSByteSize: 16896 bytes/workgroup (compile time only)
; SGPRBlocks: 3
; VGPRBlocks: 8
; NumSGPRsForWavesPerEU: 28
; NumVGPRsForWavesPerEU: 70
; Occupancy: 16
; WaveLimiterHint : 0
; COMPUTE_PGM_RSRC2:SCRATCH_EN: 0
; COMPUTE_PGM_RSRC2:USER_SGPR: 15
; COMPUTE_PGM_RSRC2:TRAP_HANDLER: 0
; COMPUTE_PGM_RSRC2:TGID_X_EN: 1
; COMPUTE_PGM_RSRC2:TGID_Y_EN: 0
; COMPUTE_PGM_RSRC2:TGID_Z_EN: 0
; COMPUTE_PGM_RSRC2:TIDIG_COMP_CNT: 0
	.section	.text._ZN7rocprim17ROCPRIM_304000_NS6detail31init_lookback_scan_state_kernelINS1_19lookback_scan_stateIN3c104HalfELb1ELb1EEEEEvT_jjPNS7_10value_typeE,"axG",@progbits,_ZN7rocprim17ROCPRIM_304000_NS6detail31init_lookback_scan_state_kernelINS1_19lookback_scan_stateIN3c104HalfELb1ELb1EEEEEvT_jjPNS7_10value_typeE,comdat
	.protected	_ZN7rocprim17ROCPRIM_304000_NS6detail31init_lookback_scan_state_kernelINS1_19lookback_scan_stateIN3c104HalfELb1ELb1EEEEEvT_jjPNS7_10value_typeE ; -- Begin function _ZN7rocprim17ROCPRIM_304000_NS6detail31init_lookback_scan_state_kernelINS1_19lookback_scan_stateIN3c104HalfELb1ELb1EEEEEvT_jjPNS7_10value_typeE
	.globl	_ZN7rocprim17ROCPRIM_304000_NS6detail31init_lookback_scan_state_kernelINS1_19lookback_scan_stateIN3c104HalfELb1ELb1EEEEEvT_jjPNS7_10value_typeE
	.p2align	8
	.type	_ZN7rocprim17ROCPRIM_304000_NS6detail31init_lookback_scan_state_kernelINS1_19lookback_scan_stateIN3c104HalfELb1ELb1EEEEEvT_jjPNS7_10value_typeE,@function
_ZN7rocprim17ROCPRIM_304000_NS6detail31init_lookback_scan_state_kernelINS1_19lookback_scan_stateIN3c104HalfELb1ELb1EEEEEvT_jjPNS7_10value_typeE: ; @_ZN7rocprim17ROCPRIM_304000_NS6detail31init_lookback_scan_state_kernelINS1_19lookback_scan_stateIN3c104HalfELb1ELb1EEEEEvT_jjPNS7_10value_typeE
; %bb.0:
	s_clause 0x2
	s_load_b32 s6, s[0:1], 0x24
	s_load_b64 s[4:5], s[0:1], 0x10
	s_load_b128 s[0:3], s[0:1], 0x0
	s_waitcnt lgkmcnt(0)
	s_and_b32 s6, s6, 0xffff
	s_cmp_eq_u64 s[4:5], 0
	v_mad_u64_u32 v[1:2], null, s15, s6, v[0:1]
	s_cbranch_scc1 .LBB101_9
; %bb.1:
	s_cmp_lt_u32 s3, s2
	s_mov_b32 s7, 0
	s_cselect_b32 s6, s3, 0
	s_mov_b32 s8, exec_lo
	s_delay_alu instid0(VALU_DEP_1)
	v_cmpx_eq_u32_e64 s6, v1
	s_cbranch_execz .LBB101_8
; %bb.2:
	s_add_i32 s6, s3, 32
	v_mov_b32_e32 v0, 0
	s_lshl_b64 s[6:7], s[6:7], 2
	s_delay_alu instid0(SALU_CYCLE_1) | instskip(SKIP_4) | instid1(VALU_DEP_1)
	s_add_u32 s6, s0, s6
	s_addc_u32 s7, s1, s7
	global_load_b32 v2, v0, s[6:7] glc
	s_waitcnt vmcnt(0)
	v_and_b32_e32 v3, 0xff0000, v2
	v_cmp_ne_u32_e32 vcc_lo, 0, v3
	s_cbranch_vccnz .LBB101_7
; %bb.3:
	s_mov_b32 s3, 1
.LBB101_4:                              ; =>This Loop Header: Depth=1
                                        ;     Child Loop BB101_5 Depth 2
	s_delay_alu instid0(SALU_CYCLE_1)
	s_max_u32 s9, s3, 1
.LBB101_5:                              ;   Parent Loop BB101_4 Depth=1
                                        ; =>  This Inner Loop Header: Depth=2
	s_delay_alu instid0(SALU_CYCLE_1)
	s_add_i32 s9, s9, -1
	s_sleep 1
	s_cmp_eq_u32 s9, 0
	s_cbranch_scc0 .LBB101_5
; %bb.6:                                ;   in Loop: Header=BB101_4 Depth=1
	global_load_b32 v2, v0, s[6:7] glc
	s_cmp_lt_u32 s3, 32
	s_cselect_b32 s9, -1, 0
	s_delay_alu instid0(SALU_CYCLE_1) | instskip(SKIP_3) | instid1(VALU_DEP_1)
	s_cmp_lg_u32 s9, 0
	s_addc_u32 s3, s3, 0
	s_waitcnt vmcnt(0)
	v_and_b32_e32 v3, 0xff0000, v2
	v_cmp_ne_u32_e32 vcc_lo, 0, v3
	s_cbranch_vccz .LBB101_4
.LBB101_7:
	v_mov_b32_e32 v0, 0
	global_store_b16 v0, v2, s[4:5]
.LBB101_8:
	s_or_b32 exec_lo, exec_lo, s8
.LBB101_9:
	s_delay_alu instid0(VALU_DEP_1)
	v_cmp_gt_u32_e32 vcc_lo, s2, v1
	s_and_saveexec_b32 s2, vcc_lo
	s_cbranch_execz .LBB101_11
; %bb.10:
	v_dual_mov_b32 v3, 0 :: v_dual_add_nc_u32 v2, 32, v1
	s_delay_alu instid0(VALU_DEP_1) | instskip(NEXT) | instid1(VALU_DEP_1)
	v_lshlrev_b64 v[4:5], 2, v[2:3]
	v_add_co_u32 v4, vcc_lo, s0, v4
	s_delay_alu instid0(VALU_DEP_2)
	v_add_co_ci_u32_e32 v5, vcc_lo, s1, v5, vcc_lo
	global_store_b32 v[4:5], v3, off
.LBB101_11:
	s_or_b32 exec_lo, exec_lo, s2
	s_delay_alu instid0(SALU_CYCLE_1)
	s_mov_b32 s2, exec_lo
	v_cmpx_gt_u32_e32 32, v1
	s_cbranch_execz .LBB101_13
; %bb.12:
	v_mov_b32_e32 v2, 0
	s_delay_alu instid0(VALU_DEP_1) | instskip(SKIP_1) | instid1(VALU_DEP_2)
	v_lshlrev_b64 v[0:1], 2, v[1:2]
	v_mov_b32_e32 v2, 0xff0000
	v_add_co_u32 v0, vcc_lo, s0, v0
	s_delay_alu instid0(VALU_DEP_3)
	v_add_co_ci_u32_e32 v1, vcc_lo, s1, v1, vcc_lo
	global_store_b32 v[0:1], v2, off
.LBB101_13:
	s_nop 0
	s_sendmsg sendmsg(MSG_DEALLOC_VGPRS)
	s_endpgm
	.section	.rodata,"a",@progbits
	.p2align	6, 0x0
	.amdhsa_kernel _ZN7rocprim17ROCPRIM_304000_NS6detail31init_lookback_scan_state_kernelINS1_19lookback_scan_stateIN3c104HalfELb1ELb1EEEEEvT_jjPNS7_10value_typeE
		.amdhsa_group_segment_fixed_size 0
		.amdhsa_private_segment_fixed_size 0
		.amdhsa_kernarg_size 280
		.amdhsa_user_sgpr_count 15
		.amdhsa_user_sgpr_dispatch_ptr 0
		.amdhsa_user_sgpr_queue_ptr 0
		.amdhsa_user_sgpr_kernarg_segment_ptr 1
		.amdhsa_user_sgpr_dispatch_id 0
		.amdhsa_user_sgpr_private_segment_size 0
		.amdhsa_wavefront_size32 1
		.amdhsa_uses_dynamic_stack 0
		.amdhsa_enable_private_segment 0
		.amdhsa_system_sgpr_workgroup_id_x 1
		.amdhsa_system_sgpr_workgroup_id_y 0
		.amdhsa_system_sgpr_workgroup_id_z 0
		.amdhsa_system_sgpr_workgroup_info 0
		.amdhsa_system_vgpr_workitem_id 0
		.amdhsa_next_free_vgpr 6
		.amdhsa_next_free_sgpr 16
		.amdhsa_reserve_vcc 1
		.amdhsa_float_round_mode_32 0
		.amdhsa_float_round_mode_16_64 0
		.amdhsa_float_denorm_mode_32 3
		.amdhsa_float_denorm_mode_16_64 3
		.amdhsa_dx10_clamp 1
		.amdhsa_ieee_mode 1
		.amdhsa_fp16_overflow 0
		.amdhsa_workgroup_processor_mode 1
		.amdhsa_memory_ordered 1
		.amdhsa_forward_progress 0
		.amdhsa_shared_vgpr_count 0
		.amdhsa_exception_fp_ieee_invalid_op 0
		.amdhsa_exception_fp_denorm_src 0
		.amdhsa_exception_fp_ieee_div_zero 0
		.amdhsa_exception_fp_ieee_overflow 0
		.amdhsa_exception_fp_ieee_underflow 0
		.amdhsa_exception_fp_ieee_inexact 0
		.amdhsa_exception_int_div_zero 0
	.end_amdhsa_kernel
	.section	.text._ZN7rocprim17ROCPRIM_304000_NS6detail31init_lookback_scan_state_kernelINS1_19lookback_scan_stateIN3c104HalfELb1ELb1EEEEEvT_jjPNS7_10value_typeE,"axG",@progbits,_ZN7rocprim17ROCPRIM_304000_NS6detail31init_lookback_scan_state_kernelINS1_19lookback_scan_stateIN3c104HalfELb1ELb1EEEEEvT_jjPNS7_10value_typeE,comdat
.Lfunc_end101:
	.size	_ZN7rocprim17ROCPRIM_304000_NS6detail31init_lookback_scan_state_kernelINS1_19lookback_scan_stateIN3c104HalfELb1ELb1EEEEEvT_jjPNS7_10value_typeE, .Lfunc_end101-_ZN7rocprim17ROCPRIM_304000_NS6detail31init_lookback_scan_state_kernelINS1_19lookback_scan_stateIN3c104HalfELb1ELb1EEEEEvT_jjPNS7_10value_typeE
                                        ; -- End function
	.section	.AMDGPU.csdata,"",@progbits
; Kernel info:
; codeLenInByte = 376
; NumSgprs: 18
; NumVgprs: 6
; ScratchSize: 0
; MemoryBound: 0
; FloatMode: 240
; IeeeMode: 1
; LDSByteSize: 0 bytes/workgroup (compile time only)
; SGPRBlocks: 2
; VGPRBlocks: 0
; NumSGPRsForWavesPerEU: 18
; NumVGPRsForWavesPerEU: 6
; Occupancy: 16
; WaveLimiterHint : 0
; COMPUTE_PGM_RSRC2:SCRATCH_EN: 0
; COMPUTE_PGM_RSRC2:USER_SGPR: 15
; COMPUTE_PGM_RSRC2:TRAP_HANDLER: 0
; COMPUTE_PGM_RSRC2:TGID_X_EN: 1
; COMPUTE_PGM_RSRC2:TGID_Y_EN: 0
; COMPUTE_PGM_RSRC2:TGID_Z_EN: 0
; COMPUTE_PGM_RSRC2:TIDIG_COMP_CNT: 0
	.section	.text._ZN7rocprim17ROCPRIM_304000_NS6detail31init_lookback_scan_state_kernelINS1_19lookback_scan_stateIN3c104HalfELb0ELb1EEEEEvT_jjPNS7_10value_typeE,"axG",@progbits,_ZN7rocprim17ROCPRIM_304000_NS6detail31init_lookback_scan_state_kernelINS1_19lookback_scan_stateIN3c104HalfELb0ELb1EEEEEvT_jjPNS7_10value_typeE,comdat
	.protected	_ZN7rocprim17ROCPRIM_304000_NS6detail31init_lookback_scan_state_kernelINS1_19lookback_scan_stateIN3c104HalfELb0ELb1EEEEEvT_jjPNS7_10value_typeE ; -- Begin function _ZN7rocprim17ROCPRIM_304000_NS6detail31init_lookback_scan_state_kernelINS1_19lookback_scan_stateIN3c104HalfELb0ELb1EEEEEvT_jjPNS7_10value_typeE
	.globl	_ZN7rocprim17ROCPRIM_304000_NS6detail31init_lookback_scan_state_kernelINS1_19lookback_scan_stateIN3c104HalfELb0ELb1EEEEEvT_jjPNS7_10value_typeE
	.p2align	8
	.type	_ZN7rocprim17ROCPRIM_304000_NS6detail31init_lookback_scan_state_kernelINS1_19lookback_scan_stateIN3c104HalfELb0ELb1EEEEEvT_jjPNS7_10value_typeE,@function
_ZN7rocprim17ROCPRIM_304000_NS6detail31init_lookback_scan_state_kernelINS1_19lookback_scan_stateIN3c104HalfELb0ELb1EEEEEvT_jjPNS7_10value_typeE: ; @_ZN7rocprim17ROCPRIM_304000_NS6detail31init_lookback_scan_state_kernelINS1_19lookback_scan_stateIN3c104HalfELb0ELb1EEEEEvT_jjPNS7_10value_typeE
; %bb.0:
	s_clause 0x2
	s_load_b32 s6, s[0:1], 0x24
	s_load_b64 s[4:5], s[0:1], 0x10
	s_load_b128 s[0:3], s[0:1], 0x0
	s_waitcnt lgkmcnt(0)
	s_and_b32 s6, s6, 0xffff
	s_cmp_eq_u64 s[4:5], 0
	v_mad_u64_u32 v[1:2], null, s15, s6, v[0:1]
	s_cbranch_scc1 .LBB102_6
; %bb.1:
	s_cmp_lt_u32 s3, s2
	s_mov_b32 s7, 0
	s_cselect_b32 s6, s3, 0
	s_mov_b32 s8, exec_lo
	s_delay_alu instid0(VALU_DEP_1)
	v_cmpx_eq_u32_e64 s6, v1
	s_cbranch_execz .LBB102_5
; %bb.2:
	s_add_i32 s6, s3, 32
	v_mov_b32_e32 v2, 0
	s_lshl_b64 s[6:7], s[6:7], 2
	s_delay_alu instid0(SALU_CYCLE_1) | instskip(SKIP_4) | instid1(VALU_DEP_1)
	s_add_u32 s6, s0, s6
	s_addc_u32 s7, s1, s7
	global_load_b32 v0, v2, s[6:7] glc
	s_waitcnt vmcnt(0)
	v_and_b32_e32 v3, 0xff0000, v0
	v_cmp_ne_u32_e32 vcc_lo, 0, v3
	s_cbranch_vccnz .LBB102_4
.LBB102_3:                              ; =>This Inner Loop Header: Depth=1
	global_load_b32 v0, v2, s[6:7] glc
	s_waitcnt vmcnt(0)
	v_and_b32_e32 v3, 0xff0000, v0
	s_delay_alu instid0(VALU_DEP_1)
	v_cmp_eq_u32_e32 vcc_lo, 0, v3
	s_cbranch_vccnz .LBB102_3
.LBB102_4:
	v_mov_b32_e32 v2, 0
	global_store_b16 v2, v0, s[4:5]
.LBB102_5:
	s_or_b32 exec_lo, exec_lo, s8
.LBB102_6:
	s_delay_alu instid0(VALU_DEP_1)
	v_cmp_gt_u32_e32 vcc_lo, s2, v1
	s_and_saveexec_b32 s2, vcc_lo
	s_cbranch_execz .LBB102_8
; %bb.7:
	v_dual_mov_b32 v3, 0 :: v_dual_add_nc_u32 v2, 32, v1
	s_delay_alu instid0(VALU_DEP_1) | instskip(NEXT) | instid1(VALU_DEP_1)
	v_lshlrev_b64 v[4:5], 2, v[2:3]
	v_add_co_u32 v4, vcc_lo, s0, v4
	s_delay_alu instid0(VALU_DEP_2)
	v_add_co_ci_u32_e32 v5, vcc_lo, s1, v5, vcc_lo
	global_store_b32 v[4:5], v3, off
.LBB102_8:
	s_or_b32 exec_lo, exec_lo, s2
	s_delay_alu instid0(SALU_CYCLE_1)
	s_mov_b32 s2, exec_lo
	v_cmpx_gt_u32_e32 32, v1
	s_cbranch_execz .LBB102_10
; %bb.9:
	v_mov_b32_e32 v2, 0
	s_delay_alu instid0(VALU_DEP_1) | instskip(SKIP_1) | instid1(VALU_DEP_2)
	v_lshlrev_b64 v[0:1], 2, v[1:2]
	v_mov_b32_e32 v2, 0xff0000
	v_add_co_u32 v0, vcc_lo, s0, v0
	s_delay_alu instid0(VALU_DEP_3)
	v_add_co_ci_u32_e32 v1, vcc_lo, s1, v1, vcc_lo
	global_store_b32 v[0:1], v2, off
.LBB102_10:
	s_nop 0
	s_sendmsg sendmsg(MSG_DEALLOC_VGPRS)
	s_endpgm
	.section	.rodata,"a",@progbits
	.p2align	6, 0x0
	.amdhsa_kernel _ZN7rocprim17ROCPRIM_304000_NS6detail31init_lookback_scan_state_kernelINS1_19lookback_scan_stateIN3c104HalfELb0ELb1EEEEEvT_jjPNS7_10value_typeE
		.amdhsa_group_segment_fixed_size 0
		.amdhsa_private_segment_fixed_size 0
		.amdhsa_kernarg_size 280
		.amdhsa_user_sgpr_count 15
		.amdhsa_user_sgpr_dispatch_ptr 0
		.amdhsa_user_sgpr_queue_ptr 0
		.amdhsa_user_sgpr_kernarg_segment_ptr 1
		.amdhsa_user_sgpr_dispatch_id 0
		.amdhsa_user_sgpr_private_segment_size 0
		.amdhsa_wavefront_size32 1
		.amdhsa_uses_dynamic_stack 0
		.amdhsa_enable_private_segment 0
		.amdhsa_system_sgpr_workgroup_id_x 1
		.amdhsa_system_sgpr_workgroup_id_y 0
		.amdhsa_system_sgpr_workgroup_id_z 0
		.amdhsa_system_sgpr_workgroup_info 0
		.amdhsa_system_vgpr_workitem_id 0
		.amdhsa_next_free_vgpr 6
		.amdhsa_next_free_sgpr 16
		.amdhsa_reserve_vcc 1
		.amdhsa_float_round_mode_32 0
		.amdhsa_float_round_mode_16_64 0
		.amdhsa_float_denorm_mode_32 3
		.amdhsa_float_denorm_mode_16_64 3
		.amdhsa_dx10_clamp 1
		.amdhsa_ieee_mode 1
		.amdhsa_fp16_overflow 0
		.amdhsa_workgroup_processor_mode 1
		.amdhsa_memory_ordered 1
		.amdhsa_forward_progress 0
		.amdhsa_shared_vgpr_count 0
		.amdhsa_exception_fp_ieee_invalid_op 0
		.amdhsa_exception_fp_denorm_src 0
		.amdhsa_exception_fp_ieee_div_zero 0
		.amdhsa_exception_fp_ieee_overflow 0
		.amdhsa_exception_fp_ieee_underflow 0
		.amdhsa_exception_fp_ieee_inexact 0
		.amdhsa_exception_int_div_zero 0
	.end_amdhsa_kernel
	.section	.text._ZN7rocprim17ROCPRIM_304000_NS6detail31init_lookback_scan_state_kernelINS1_19lookback_scan_stateIN3c104HalfELb0ELb1EEEEEvT_jjPNS7_10value_typeE,"axG",@progbits,_ZN7rocprim17ROCPRIM_304000_NS6detail31init_lookback_scan_state_kernelINS1_19lookback_scan_stateIN3c104HalfELb0ELb1EEEEEvT_jjPNS7_10value_typeE,comdat
.Lfunc_end102:
	.size	_ZN7rocprim17ROCPRIM_304000_NS6detail31init_lookback_scan_state_kernelINS1_19lookback_scan_stateIN3c104HalfELb0ELb1EEEEEvT_jjPNS7_10value_typeE, .Lfunc_end102-_ZN7rocprim17ROCPRIM_304000_NS6detail31init_lookback_scan_state_kernelINS1_19lookback_scan_stateIN3c104HalfELb0ELb1EEEEEvT_jjPNS7_10value_typeE
                                        ; -- End function
	.section	.AMDGPU.csdata,"",@progbits
; Kernel info:
; codeLenInByte = 328
; NumSgprs: 18
; NumVgprs: 6
; ScratchSize: 0
; MemoryBound: 0
; FloatMode: 240
; IeeeMode: 1
; LDSByteSize: 0 bytes/workgroup (compile time only)
; SGPRBlocks: 2
; VGPRBlocks: 0
; NumSGPRsForWavesPerEU: 18
; NumVGPRsForWavesPerEU: 6
; Occupancy: 16
; WaveLimiterHint : 0
; COMPUTE_PGM_RSRC2:SCRATCH_EN: 0
; COMPUTE_PGM_RSRC2:USER_SGPR: 15
; COMPUTE_PGM_RSRC2:TRAP_HANDLER: 0
; COMPUTE_PGM_RSRC2:TGID_X_EN: 1
; COMPUTE_PGM_RSRC2:TGID_Y_EN: 0
; COMPUTE_PGM_RSRC2:TGID_Z_EN: 0
; COMPUTE_PGM_RSRC2:TIDIG_COMP_CNT: 0
	.section	.text._ZN7rocprim17ROCPRIM_304000_NS6detail20lookback_scan_kernelILNS1_25lookback_scan_determinismE0ELb0ENS1_19wrapped_scan_configINS0_14default_configEN3c104HalfEEEPKS7_PS7_St4plusIS7_ES7_S7_NS1_19lookback_scan_stateIS7_Lb1ELb1EEEEEvT2_T3_mT5_T4_T7_jPT6_SM_bb,"axG",@progbits,_ZN7rocprim17ROCPRIM_304000_NS6detail20lookback_scan_kernelILNS1_25lookback_scan_determinismE0ELb0ENS1_19wrapped_scan_configINS0_14default_configEN3c104HalfEEEPKS7_PS7_St4plusIS7_ES7_S7_NS1_19lookback_scan_stateIS7_Lb1ELb1EEEEEvT2_T3_mT5_T4_T7_jPT6_SM_bb,comdat
	.protected	_ZN7rocprim17ROCPRIM_304000_NS6detail20lookback_scan_kernelILNS1_25lookback_scan_determinismE0ELb0ENS1_19wrapped_scan_configINS0_14default_configEN3c104HalfEEEPKS7_PS7_St4plusIS7_ES7_S7_NS1_19lookback_scan_stateIS7_Lb1ELb1EEEEEvT2_T3_mT5_T4_T7_jPT6_SM_bb ; -- Begin function _ZN7rocprim17ROCPRIM_304000_NS6detail20lookback_scan_kernelILNS1_25lookback_scan_determinismE0ELb0ENS1_19wrapped_scan_configINS0_14default_configEN3c104HalfEEEPKS7_PS7_St4plusIS7_ES7_S7_NS1_19lookback_scan_stateIS7_Lb1ELb1EEEEEvT2_T3_mT5_T4_T7_jPT6_SM_bb
	.globl	_ZN7rocprim17ROCPRIM_304000_NS6detail20lookback_scan_kernelILNS1_25lookback_scan_determinismE0ELb0ENS1_19wrapped_scan_configINS0_14default_configEN3c104HalfEEEPKS7_PS7_St4plusIS7_ES7_S7_NS1_19lookback_scan_stateIS7_Lb1ELb1EEEEEvT2_T3_mT5_T4_T7_jPT6_SM_bb
	.p2align	8
	.type	_ZN7rocprim17ROCPRIM_304000_NS6detail20lookback_scan_kernelILNS1_25lookback_scan_determinismE0ELb0ENS1_19wrapped_scan_configINS0_14default_configEN3c104HalfEEEPKS7_PS7_St4plusIS7_ES7_S7_NS1_19lookback_scan_stateIS7_Lb1ELb1EEEEEvT2_T3_mT5_T4_T7_jPT6_SM_bb,@function
_ZN7rocprim17ROCPRIM_304000_NS6detail20lookback_scan_kernelILNS1_25lookback_scan_determinismE0ELb0ENS1_19wrapped_scan_configINS0_14default_configEN3c104HalfEEEPKS7_PS7_St4plusIS7_ES7_S7_NS1_19lookback_scan_stateIS7_Lb1ELb1EEEEEvT2_T3_mT5_T4_T7_jPT6_SM_bb: ; @_ZN7rocprim17ROCPRIM_304000_NS6detail20lookback_scan_kernelILNS1_25lookback_scan_determinismE0ELb0ENS1_19wrapped_scan_configINS0_14default_configEN3c104HalfEEEPKS7_PS7_St4plusIS7_ES7_S7_NS1_19lookback_scan_stateIS7_Lb1ELb1EEEEEvT2_T3_mT5_T4_T7_jPT6_SM_bb
; %bb.0:
	s_endpgm
	.section	.rodata,"a",@progbits
	.p2align	6, 0x0
	.amdhsa_kernel _ZN7rocprim17ROCPRIM_304000_NS6detail20lookback_scan_kernelILNS1_25lookback_scan_determinismE0ELb0ENS1_19wrapped_scan_configINS0_14default_configEN3c104HalfEEEPKS7_PS7_St4plusIS7_ES7_S7_NS1_19lookback_scan_stateIS7_Lb1ELb1EEEEEvT2_T3_mT5_T4_T7_jPT6_SM_bb
		.amdhsa_group_segment_fixed_size 0
		.amdhsa_private_segment_fixed_size 0
		.amdhsa_kernarg_size 68
		.amdhsa_user_sgpr_count 15
		.amdhsa_user_sgpr_dispatch_ptr 0
		.amdhsa_user_sgpr_queue_ptr 0
		.amdhsa_user_sgpr_kernarg_segment_ptr 1
		.amdhsa_user_sgpr_dispatch_id 0
		.amdhsa_user_sgpr_private_segment_size 0
		.amdhsa_wavefront_size32 1
		.amdhsa_uses_dynamic_stack 0
		.amdhsa_enable_private_segment 0
		.amdhsa_system_sgpr_workgroup_id_x 1
		.amdhsa_system_sgpr_workgroup_id_y 0
		.amdhsa_system_sgpr_workgroup_id_z 0
		.amdhsa_system_sgpr_workgroup_info 0
		.amdhsa_system_vgpr_workitem_id 0
		.amdhsa_next_free_vgpr 1
		.amdhsa_next_free_sgpr 1
		.amdhsa_reserve_vcc 0
		.amdhsa_float_round_mode_32 0
		.amdhsa_float_round_mode_16_64 0
		.amdhsa_float_denorm_mode_32 3
		.amdhsa_float_denorm_mode_16_64 3
		.amdhsa_dx10_clamp 1
		.amdhsa_ieee_mode 1
		.amdhsa_fp16_overflow 0
		.amdhsa_workgroup_processor_mode 1
		.amdhsa_memory_ordered 1
		.amdhsa_forward_progress 0
		.amdhsa_shared_vgpr_count 0
		.amdhsa_exception_fp_ieee_invalid_op 0
		.amdhsa_exception_fp_denorm_src 0
		.amdhsa_exception_fp_ieee_div_zero 0
		.amdhsa_exception_fp_ieee_overflow 0
		.amdhsa_exception_fp_ieee_underflow 0
		.amdhsa_exception_fp_ieee_inexact 0
		.amdhsa_exception_int_div_zero 0
	.end_amdhsa_kernel
	.section	.text._ZN7rocprim17ROCPRIM_304000_NS6detail20lookback_scan_kernelILNS1_25lookback_scan_determinismE0ELb0ENS1_19wrapped_scan_configINS0_14default_configEN3c104HalfEEEPKS7_PS7_St4plusIS7_ES7_S7_NS1_19lookback_scan_stateIS7_Lb1ELb1EEEEEvT2_T3_mT5_T4_T7_jPT6_SM_bb,"axG",@progbits,_ZN7rocprim17ROCPRIM_304000_NS6detail20lookback_scan_kernelILNS1_25lookback_scan_determinismE0ELb0ENS1_19wrapped_scan_configINS0_14default_configEN3c104HalfEEEPKS7_PS7_St4plusIS7_ES7_S7_NS1_19lookback_scan_stateIS7_Lb1ELb1EEEEEvT2_T3_mT5_T4_T7_jPT6_SM_bb,comdat
.Lfunc_end103:
	.size	_ZN7rocprim17ROCPRIM_304000_NS6detail20lookback_scan_kernelILNS1_25lookback_scan_determinismE0ELb0ENS1_19wrapped_scan_configINS0_14default_configEN3c104HalfEEEPKS7_PS7_St4plusIS7_ES7_S7_NS1_19lookback_scan_stateIS7_Lb1ELb1EEEEEvT2_T3_mT5_T4_T7_jPT6_SM_bb, .Lfunc_end103-_ZN7rocprim17ROCPRIM_304000_NS6detail20lookback_scan_kernelILNS1_25lookback_scan_determinismE0ELb0ENS1_19wrapped_scan_configINS0_14default_configEN3c104HalfEEEPKS7_PS7_St4plusIS7_ES7_S7_NS1_19lookback_scan_stateIS7_Lb1ELb1EEEEEvT2_T3_mT5_T4_T7_jPT6_SM_bb
                                        ; -- End function
	.section	.AMDGPU.csdata,"",@progbits
; Kernel info:
; codeLenInByte = 4
; NumSgprs: 0
; NumVgprs: 0
; ScratchSize: 0
; MemoryBound: 0
; FloatMode: 240
; IeeeMode: 1
; LDSByteSize: 0 bytes/workgroup (compile time only)
; SGPRBlocks: 0
; VGPRBlocks: 0
; NumSGPRsForWavesPerEU: 1
; NumVGPRsForWavesPerEU: 1
; Occupancy: 16
; WaveLimiterHint : 0
; COMPUTE_PGM_RSRC2:SCRATCH_EN: 0
; COMPUTE_PGM_RSRC2:USER_SGPR: 15
; COMPUTE_PGM_RSRC2:TRAP_HANDLER: 0
; COMPUTE_PGM_RSRC2:TGID_X_EN: 1
; COMPUTE_PGM_RSRC2:TGID_Y_EN: 0
; COMPUTE_PGM_RSRC2:TGID_Z_EN: 0
; COMPUTE_PGM_RSRC2:TIDIG_COMP_CNT: 0
	.section	.text._ZN7rocprim17ROCPRIM_304000_NS6detail20lookback_scan_kernelILNS1_25lookback_scan_determinismE0ELb0ENS1_19wrapped_scan_configINS0_14default_configEN3c104HalfEEEPKS7_PS7_St4plusIS7_ES7_S7_NS1_19lookback_scan_stateIS7_Lb0ELb1EEEEEvT2_T3_mT5_T4_T7_jPT6_SM_bb,"axG",@progbits,_ZN7rocprim17ROCPRIM_304000_NS6detail20lookback_scan_kernelILNS1_25lookback_scan_determinismE0ELb0ENS1_19wrapped_scan_configINS0_14default_configEN3c104HalfEEEPKS7_PS7_St4plusIS7_ES7_S7_NS1_19lookback_scan_stateIS7_Lb0ELb1EEEEEvT2_T3_mT5_T4_T7_jPT6_SM_bb,comdat
	.protected	_ZN7rocprim17ROCPRIM_304000_NS6detail20lookback_scan_kernelILNS1_25lookback_scan_determinismE0ELb0ENS1_19wrapped_scan_configINS0_14default_configEN3c104HalfEEEPKS7_PS7_St4plusIS7_ES7_S7_NS1_19lookback_scan_stateIS7_Lb0ELb1EEEEEvT2_T3_mT5_T4_T7_jPT6_SM_bb ; -- Begin function _ZN7rocprim17ROCPRIM_304000_NS6detail20lookback_scan_kernelILNS1_25lookback_scan_determinismE0ELb0ENS1_19wrapped_scan_configINS0_14default_configEN3c104HalfEEEPKS7_PS7_St4plusIS7_ES7_S7_NS1_19lookback_scan_stateIS7_Lb0ELb1EEEEEvT2_T3_mT5_T4_T7_jPT6_SM_bb
	.globl	_ZN7rocprim17ROCPRIM_304000_NS6detail20lookback_scan_kernelILNS1_25lookback_scan_determinismE0ELb0ENS1_19wrapped_scan_configINS0_14default_configEN3c104HalfEEEPKS7_PS7_St4plusIS7_ES7_S7_NS1_19lookback_scan_stateIS7_Lb0ELb1EEEEEvT2_T3_mT5_T4_T7_jPT6_SM_bb
	.p2align	8
	.type	_ZN7rocprim17ROCPRIM_304000_NS6detail20lookback_scan_kernelILNS1_25lookback_scan_determinismE0ELb0ENS1_19wrapped_scan_configINS0_14default_configEN3c104HalfEEEPKS7_PS7_St4plusIS7_ES7_S7_NS1_19lookback_scan_stateIS7_Lb0ELb1EEEEEvT2_T3_mT5_T4_T7_jPT6_SM_bb,@function
_ZN7rocprim17ROCPRIM_304000_NS6detail20lookback_scan_kernelILNS1_25lookback_scan_determinismE0ELb0ENS1_19wrapped_scan_configINS0_14default_configEN3c104HalfEEEPKS7_PS7_St4plusIS7_ES7_S7_NS1_19lookback_scan_stateIS7_Lb0ELb1EEEEEvT2_T3_mT5_T4_T7_jPT6_SM_bb: ; @_ZN7rocprim17ROCPRIM_304000_NS6detail20lookback_scan_kernelILNS1_25lookback_scan_determinismE0ELb0ENS1_19wrapped_scan_configINS0_14default_configEN3c104HalfEEEPKS7_PS7_St4plusIS7_ES7_S7_NS1_19lookback_scan_stateIS7_Lb0ELb1EEEEEvT2_T3_mT5_T4_T7_jPT6_SM_bb
; %bb.0:
	s_clause 0x2
	s_load_b32 s4, s[0:1], 0x28
	s_load_b64 s[2:3], s[0:1], 0x10
	s_load_b128 s[8:11], s[0:1], 0x0
	s_mov_b32 s5, 0
	v_lshlrev_b32_e32 v15, 1, v0
	s_waitcnt lgkmcnt(0)
	s_add_i32 s4, s4, -1
	s_delay_alu instid0(SALU_CYCLE_1) | instskip(NEXT) | instid1(SALU_CYCLE_1)
	s_mul_i32 s6, s4, 0x580
	s_sub_u32 s14, s2, s6
	s_subb_u32 s16, s3, 0
	s_cmp_lg_u32 s15, s4
	s_mul_i32 s4, s15, 0x580
	s_cselect_b32 s17, -1, 0
	s_lshl_b64 s[12:13], s[4:5], 1
	s_mov_b32 s3, -1
	s_add_u32 s4, s8, s12
	s_addc_u32 s5, s9, s13
	s_and_b32 vcc_lo, exec_lo, s17
	s_cbranch_vccz .LBB104_2
; %bb.1:
	s_clause 0x15
	global_load_u16 v1, v15, s[4:5]
	global_load_u16 v2, v15, s[4:5] offset:128
	global_load_u16 v3, v15, s[4:5] offset:256
	;; [unrolled: 1-line block ×21, first 2 shown]
	s_mov_b32 s3, 0
	s_waitcnt vmcnt(21)
	ds_store_b16 v15, v1
	s_waitcnt vmcnt(20)
	ds_store_b16 v15, v2 offset:128
	s_waitcnt vmcnt(19)
	ds_store_b16 v15, v3 offset:256
	;; [unrolled: 2-line block ×21, first 2 shown]
	s_waitcnt lgkmcnt(0)
	s_barrier
.LBB104_2:
	v_cmp_gt_u32_e64 s2, s14, v0
	s_and_not1_b32 vcc_lo, exec_lo, s3
	s_cbranch_vccnz .LBB104_48
; %bb.3:
	v_mov_b32_e32 v1, 0
	global_load_u16 v3, v1, s[4:5]
	v_add_co_u32 v1, s3, s4, v15
	s_delay_alu instid0(VALU_DEP_1)
	v_add_co_ci_u32_e64 v2, null, s5, 0, s3
	s_waitcnt vmcnt(0)
	v_mov_b32_e32 v4, v3
	s_and_saveexec_b32 s3, s2
	s_cbranch_execz .LBB104_5
; %bb.4:
	global_load_u16 v4, v[1:2], off
.LBB104_5:
	s_or_b32 exec_lo, exec_lo, s3
	v_or_b32_e32 v5, 64, v0
	s_delay_alu instid0(VALU_DEP_1)
	v_cmp_gt_u32_e32 vcc_lo, s14, v5
	v_mov_b32_e32 v5, v3
	s_and_saveexec_b32 s2, vcc_lo
	s_cbranch_execz .LBB104_7
; %bb.6:
	global_load_u16 v5, v[1:2], off offset:128
.LBB104_7:
	s_or_b32 exec_lo, exec_lo, s2
	v_or_b32_e32 v6, 0x80, v0
	s_delay_alu instid0(VALU_DEP_1)
	v_cmp_gt_u32_e32 vcc_lo, s14, v6
	v_mov_b32_e32 v6, v3
	s_and_saveexec_b32 s2, vcc_lo
	s_cbranch_execz .LBB104_9
; %bb.8:
	global_load_u16 v6, v[1:2], off offset:256
.LBB104_9:
	;; [unrolled: 10-line block ×20, first 2 shown]
	s_or_b32 exec_lo, exec_lo, s2
	v_or_b32_e32 v26, 0x540, v0
	s_mov_b32 s2, exec_lo
	s_delay_alu instid0(VALU_DEP_1)
	v_cmpx_gt_u32_e64 s14, v26
	s_cbranch_execz .LBB104_47
; %bb.46:
	global_load_u16 v3, v[1:2], off offset:2688
.LBB104_47:
	s_or_b32 exec_lo, exec_lo, s2
	s_waitcnt vmcnt(0)
	ds_store_b16 v15, v4
	ds_store_b16 v15, v5 offset:128
	ds_store_b16 v15, v6 offset:256
	;; [unrolled: 1-line block ×21, first 2 shown]
	s_waitcnt lgkmcnt(0)
	s_barrier
.LBB104_48:
	v_mul_u32_u24_e32 v16, 22, v0
	buffer_gl0_inv
	s_load_b64 s[8:9], s[0:1], 0x20
	v_lshrrev_b32_e32 v30, 5, v0
	v_cmp_gt_u32_e32 vcc_lo, 32, v0
	v_lshlrev_b32_e32 v17, 1, v16
	s_cmp_lg_u32 s15, 0
	ds_load_2addr_b32 v[1:2], v17 offset1:1
	ds_load_2addr_b32 v[9:10], v17 offset0:2 offset1:3
	ds_load_2addr_b32 v[7:8], v17 offset0:4 offset1:5
	;; [unrolled: 1-line block ×4, first 2 shown]
	ds_load_b32 v18, v17 offset:40
	s_waitcnt lgkmcnt(0)
	s_barrier
	buffer_gl0_inv
	v_lshrrev_b32_e32 v29, 16, v1
	v_lshrrev_b32_e32 v28, 16, v2
	v_lshrrev_b32_e32 v27, 16, v9
	v_lshrrev_b32_e32 v26, 16, v10
	v_lshrrev_b32_e32 v25, 16, v7
	v_lshrrev_b32_e32 v24, 16, v8
	v_lshrrev_b32_e32 v23, 16, v5
	v_lshrrev_b32_e32 v22, 16, v6
	v_lshrrev_b32_e32 v21, 16, v3
	v_lshrrev_b32_e32 v20, 16, v4
	v_lshrrev_b32_e32 v19, 16, v18
	s_cbranch_scc0 .LBB104_77
; %bb.49:
	v_add_f16_e32 v11, v1, v29
	v_add_lshl_u32 v12, v30, v0, 1
	s_delay_alu instid0(VALU_DEP_2) | instskip(NEXT) | instid1(VALU_DEP_1)
	v_add_f16_e32 v11, v11, v2
	v_add_f16_e32 v11, v11, v28
	s_delay_alu instid0(VALU_DEP_1) | instskip(NEXT) | instid1(VALU_DEP_1)
	v_add_f16_e32 v11, v11, v9
	v_add_f16_e32 v11, v11, v27
	s_delay_alu instid0(VALU_DEP_1) | instskip(NEXT) | instid1(VALU_DEP_1)
	;; [unrolled: 3-line block ×9, first 2 shown]
	v_add_f16_e32 v11, v11, v18
	v_add_f16_e32 v31, v11, v19
	ds_store_b16 v12, v31
	s_waitcnt lgkmcnt(0)
	s_barrier
	buffer_gl0_inv
	s_and_saveexec_b32 s3, vcc_lo
	s_cbranch_execz .LBB104_51
; %bb.50:
	v_lshrrev_b32_e32 v11, 3, v0
	v_mbcnt_lo_u32_b32 v33, -1, 0
	s_delay_alu instid0(VALU_DEP_2) | instskip(NEXT) | instid1(VALU_DEP_2)
	v_and_b32_e32 v11, 6, v11
	v_and_b32_e32 v34, 15, v33
	v_add_nc_u32_e32 v35, -1, v33
	s_delay_alu instid0(VALU_DEP_3) | instskip(NEXT) | instid1(VALU_DEP_3)
	v_lshl_or_b32 v11, v0, 2, v11
	v_cmp_eq_u32_e64 s2, 0, v34
	ds_load_u16 v12, v11
	ds_load_u16 v13, v11 offset:2
	s_waitcnt lgkmcnt(0)
	v_add_f16_e32 v14, v12, v13
	s_delay_alu instid0(VALU_DEP_1) | instskip(NEXT) | instid1(VALU_DEP_1)
	v_and_b32_e32 v32, 0xffff, v14
	v_mov_b32_dpp v32, v32 row_shr:1 row_mask:0xf bank_mask:0xf
	s_delay_alu instid0(VALU_DEP_1) | instskip(NEXT) | instid1(VALU_DEP_1)
	v_add_f16_e32 v32, v14, v32
	v_cndmask_b32_e64 v14, v32, v14, s2
	v_cmp_lt_u32_e64 s2, 1, v34
	s_delay_alu instid0(VALU_DEP_2) | instskip(NEXT) | instid1(VALU_DEP_1)
	v_and_b32_e32 v32, 0xffff, v14
	v_mov_b32_dpp v32, v32 row_shr:2 row_mask:0xf bank_mask:0xf
	s_delay_alu instid0(VALU_DEP_1) | instskip(NEXT) | instid1(VALU_DEP_1)
	v_add_f16_e32 v32, v14, v32
	v_cndmask_b32_e64 v14, v14, v32, s2
	v_cmp_lt_u32_e64 s2, 3, v34
	s_delay_alu instid0(VALU_DEP_2) | instskip(NEXT) | instid1(VALU_DEP_1)
	v_and_b32_e32 v32, 0xffff, v14
	v_mov_b32_dpp v32, v32 row_shr:4 row_mask:0xf bank_mask:0xf
	s_delay_alu instid0(VALU_DEP_1) | instskip(NEXT) | instid1(VALU_DEP_1)
	v_add_f16_e32 v32, v14, v32
	v_cndmask_b32_e64 v14, v14, v32, s2
	v_cmp_lt_u32_e64 s2, 7, v34
	v_and_b32_e32 v34, 16, v33
	s_delay_alu instid0(VALU_DEP_3) | instskip(NEXT) | instid1(VALU_DEP_1)
	v_and_b32_e32 v32, 0xffff, v14
	v_mov_b32_dpp v32, v32 row_shr:8 row_mask:0xf bank_mask:0xf
	s_delay_alu instid0(VALU_DEP_1) | instskip(NEXT) | instid1(VALU_DEP_1)
	v_add_f16_e32 v32, v14, v32
	v_cndmask_b32_e64 v14, v14, v32, s2
	v_cmp_eq_u32_e64 s2, 0, v34
	s_delay_alu instid0(VALU_DEP_2) | instskip(SKIP_3) | instid1(VALU_DEP_1)
	v_and_b32_e32 v32, 0xffff, v14
	ds_swizzle_b32 v32, v32 offset:swizzle(BROADCAST,32,15)
	s_waitcnt lgkmcnt(0)
	v_add_f16_e32 v32, v14, v32
	v_cndmask_b32_e64 v14, v32, v14, s2
	v_cmp_gt_i32_e64 s2, 0, v35
	s_delay_alu instid0(VALU_DEP_2) | instskip(NEXT) | instid1(VALU_DEP_2)
	v_and_b32_e32 v14, 0xffff, v14
	v_cndmask_b32_e64 v32, v35, v33, s2
	v_cmp_eq_u32_e64 s2, 0, v0
	s_delay_alu instid0(VALU_DEP_2) | instskip(SKIP_3) | instid1(VALU_DEP_1)
	v_lshlrev_b32_e32 v32, 2, v32
	ds_bpermute_b32 v14, v32, v14
	s_waitcnt lgkmcnt(0)
	v_add_f16_e32 v12, v12, v14
	v_cndmask_b32_e64 v12, v12, v31, s2
	s_delay_alu instid0(VALU_DEP_1)
	v_add_f16_e32 v13, v13, v12
	ds_store_b16 v11, v12
	ds_store_b16 v11, v13 offset:2
.LBB104_51:
	s_or_b32 exec_lo, exec_lo, s3
	v_cmp_eq_u32_e64 s2, 0, v0
	s_mov_b32 s4, exec_lo
	s_waitcnt lgkmcnt(0)
	s_barrier
	buffer_gl0_inv
	v_cmpx_ne_u32_e32 0, v0
	s_cbranch_execz .LBB104_53
; %bb.52:
	v_add_nc_u32_e32 v11, -1, v0
	s_delay_alu instid0(VALU_DEP_1) | instskip(NEXT) | instid1(VALU_DEP_1)
	v_lshrrev_b32_e32 v12, 5, v11
	v_add_lshl_u32 v11, v12, v11, 1
	ds_load_u16 v31, v11
.LBB104_53:
	s_or_b32 exec_lo, exec_lo, s4
	s_and_saveexec_b32 s7, vcc_lo
	s_cbranch_execz .LBB104_76
; %bb.54:
	v_mov_b32_e32 v13, 0
	v_mbcnt_lo_u32_b32 v44, -1, 0
	s_mov_b32 s5, 0
	ds_load_u16 v32, v13 offset:128
	v_cmp_eq_u32_e64 s3, 0, v44
	s_delay_alu instid0(VALU_DEP_1)
	s_and_saveexec_b32 s6, s3
	s_cbranch_execz .LBB104_56
; %bb.55:
	s_add_i32 s4, s15, 32
	s_waitcnt lgkmcnt(0)
	v_or_b32_e32 v11, 0x10000, v32
	s_lshl_b64 s[4:5], s[4:5], 2
	s_delay_alu instid0(SALU_CYCLE_1)
	s_add_u32 s4, s8, s4
	s_addc_u32 s5, s9, s5
	global_store_b32 v13, v11, s[4:5]
.LBB104_56:
	s_or_b32 exec_lo, exec_lo, s6
	v_xad_u32 v11, v44, -1, s15
	s_mov_b32 s4, exec_lo
	s_delay_alu instid0(VALU_DEP_1) | instskip(NEXT) | instid1(VALU_DEP_1)
	v_add_nc_u32_e32 v12, 32, v11
	v_lshlrev_b64 v[12:13], 2, v[12:13]
	s_delay_alu instid0(VALU_DEP_1) | instskip(NEXT) | instid1(VALU_DEP_2)
	v_add_co_u32 v12, vcc_lo, s8, v12
	v_add_co_ci_u32_e32 v13, vcc_lo, s9, v13, vcc_lo
	global_load_b32 v14, v[12:13], off glc
	s_waitcnt vmcnt(0)
	v_lshrrev_b32_e32 v33, 16, v14
	s_delay_alu instid0(VALU_DEP_1) | instskip(NEXT) | instid1(VALU_DEP_1)
	v_and_b32_e32 v34, 0xff, v33
	v_cmpx_eq_u16_e32 0, v34
	s_cbranch_execz .LBB104_60
; %bb.57:
	s_mov_b32 s5, 0
.LBB104_58:                             ; =>This Inner Loop Header: Depth=1
	global_load_b32 v14, v[12:13], off glc
	s_waitcnt vmcnt(0)
	v_lshrrev_b32_e32 v33, 16, v14
	s_delay_alu instid0(VALU_DEP_1) | instskip(NEXT) | instid1(VALU_DEP_1)
	v_and_b32_e32 v34, 0xff, v33
	v_cmp_ne_u16_e32 vcc_lo, 0, v34
	s_or_b32 s5, vcc_lo, s5
	s_delay_alu instid0(SALU_CYCLE_1)
	s_and_not1_b32 exec_lo, exec_lo, s5
	s_cbranch_execnz .LBB104_58
; %bb.59:
	s_or_b32 exec_lo, exec_lo, s5
.LBB104_60:
	s_delay_alu instid0(SALU_CYCLE_1)
	s_or_b32 exec_lo, exec_lo, s4
	v_cmp_ne_u32_e32 vcc_lo, 31, v44
	v_and_b32_e32 v13, 0xffff, v14
	v_and_b32_e32 v36, 0xff, v33
	v_lshlrev_b32_e64 v35, v44, -1
	v_cmp_gt_u32_e64 s4, 30, v44
	v_add_co_ci_u32_e32 v12, vcc_lo, 0, v44, vcc_lo
	s_delay_alu instid0(VALU_DEP_4) | instskip(SKIP_1) | instid1(VALU_DEP_4)
	v_cmp_eq_u16_e32 vcc_lo, 2, v36
	v_add_nc_u32_e32 v36, 1, v44
	v_cndmask_b32_e64 v37, 0, 1, s4
	s_delay_alu instid0(VALU_DEP_4)
	v_lshlrev_b32_e32 v34, 2, v12
	v_cmp_gt_u32_e64 s4, 24, v44
	v_and_or_b32 v38, vcc_lo, v35, 0x80000000
	v_cmp_gt_u32_e32 vcc_lo, 28, v44
	v_cmp_gt_u32_e64 s5, 16, v44
	ds_bpermute_b32 v12, v34, v13
	v_ctz_i32_b32_e32 v49, v38
	s_delay_alu instid0(VALU_DEP_1) | instskip(SKIP_2) | instid1(VALU_DEP_1)
	v_cmp_le_u32_e64 s6, v36, v49
	s_waitcnt lgkmcnt(0)
	v_add_f16_e32 v12, v14, v12
	v_and_b32_e32 v38, 0xffff, v12
	s_delay_alu instid0(VALU_DEP_3) | instskip(NEXT) | instid1(VALU_DEP_2)
	v_cndmask_b32_e64 v41, v14, v12, s6
	v_cndmask_b32_e64 v40, v13, v38, s6
	v_cndmask_b32_e64 v38, 0, 1, vcc_lo
	s_delay_alu instid0(VALU_DEP_1) | instskip(SKIP_1) | instid1(VALU_DEP_2)
	v_lshlrev_b32_e32 v39, 2, v38
	v_add_nc_u32_e32 v38, 2, v44
	v_add_lshl_u32 v39, v39, v44, 2
	s_delay_alu instid0(VALU_DEP_2) | instskip(SKIP_2) | instid1(VALU_DEP_1)
	v_cmp_le_u32_e32 vcc_lo, v38, v49
	v_lshlrev_b32_e32 v37, 1, v37
	s_or_b32 s18, s6, vcc_lo
	v_add_lshl_u32 v37, v37, v44, 2
	ds_bpermute_b32 v13, v37, v40
	s_waitcnt lgkmcnt(0)
	v_add_f16_e32 v13, v13, v41
	s_delay_alu instid0(VALU_DEP_1) | instskip(SKIP_2) | instid1(VALU_DEP_1)
	v_and_b32_e32 v42, 0xffff, v13
	v_cndmask_b32_e32 v43, v41, v13, vcc_lo
	v_cndmask_b32_e64 v41, 0, 1, s4
	v_dual_cndmask_b32 v42, v40, v42 :: v_dual_lshlrev_b32 v41, 3, v41
	ds_bpermute_b32 v40, v39, v42
	v_add_lshl_u32 v41, v41, v44, 2
	s_waitcnt lgkmcnt(0)
	v_add_f16_e32 v45, v40, v43
	v_add_nc_u32_e32 v40, 4, v44
	s_delay_alu instid0(VALU_DEP_2) | instskip(NEXT) | instid1(VALU_DEP_2)
	v_and_b32_e32 v46, 0xffff, v45
	v_cmp_le_u32_e64 s4, v40, v49
	s_delay_alu instid0(VALU_DEP_1)
	v_cndmask_b32_e64 v48, v42, v46, s4
	v_cndmask_b32_e64 v46, v43, v45, s4
	;; [unrolled: 1-line block ×3, first 2 shown]
	s_or_b32 s18, s4, s18
	ds_bpermute_b32 v42, v41, v48
	v_lshlrev_b32_e32 v43, 4, v43
	s_delay_alu instid0(VALU_DEP_1) | instskip(SKIP_4) | instid1(VALU_DEP_3)
	v_add_lshl_u32 v43, v43, v44, 2
	s_waitcnt lgkmcnt(0)
	v_add_f16_e32 v47, v42, v46
	v_add_nc_u32_e32 v42, 8, v44
	v_add_nc_u32_e32 v44, 16, v44
	v_and_b32_e32 v50, 0xffff, v47
	s_delay_alu instid0(VALU_DEP_3) | instskip(NEXT) | instid1(VALU_DEP_3)
	v_cmp_le_u32_e64 s5, v42, v49
	v_cmp_le_u32_e64 s6, v44, v49
	s_delay_alu instid0(VALU_DEP_2)
	v_cndmask_b32_e64 v48, v48, v50, s5
	s_or_b32 s18, s5, s18
	s_delay_alu instid0(VALU_DEP_2) | instid1(SALU_CYCLE_1)
	s_or_b32 s19, s6, s18
	ds_bpermute_b32 v48, v43, v48
	s_and_saveexec_b32 s18, s19
	s_cbranch_execz .LBB104_62
; %bb.61:
	v_cndmask_b32_e32 v12, v12, v13, vcc_lo
	v_cndmask_b32_e64 v13, v46, v47, s5
	s_delay_alu instid0(VALU_DEP_2) | instskip(SKIP_1) | instid1(VALU_DEP_2)
	v_cndmask_b32_e64 v12, v12, v45, s4
	s_waitcnt lgkmcnt(0)
	v_add_f16_e32 v13, v48, v13
	s_delay_alu instid0(VALU_DEP_2) | instskip(NEXT) | instid1(VALU_DEP_1)
	v_cndmask_b32_e64 v12, v12, v47, s5
	v_cndmask_b32_e64 v14, v12, v13, s6
.LBB104_62:
	s_or_b32 exec_lo, exec_lo, s18
	v_mov_b32_e32 v12, 0
	s_branch .LBB104_64
.LBB104_63:                             ;   in Loop: Header=BB104_64 Depth=1
                                        ; implicit-def: $vgpr14
                                        ; implicit-def: $vgpr33
	s_cbranch_execnz .LBB104_72
.LBB104_64:                             ; =>This Loop Header: Depth=1
                                        ;     Child Loop BB104_67 Depth 2
	v_and_b32_e32 v13, 0xff, v33
	s_delay_alu instid0(VALU_DEP_2) | instskip(NEXT) | instid1(VALU_DEP_2)
	v_mov_b32_e32 v45, v14
	v_cmp_ne_u16_e32 vcc_lo, 2, v13
	v_cndmask_b32_e64 v13, 0, 1, vcc_lo
	;;#ASMSTART
	;;#ASMEND
	s_delay_alu instid0(VALU_DEP_1)
	v_cmp_ne_u32_e32 vcc_lo, 0, v13
	s_cmp_lg_u32 vcc_lo, exec_lo
	s_cbranch_scc1 .LBB104_63
; %bb.65:                               ;   in Loop: Header=BB104_64 Depth=1
	v_lshlrev_b64 v[13:14], 2, v[11:12]
	s_mov_b32 s4, exec_lo
	s_delay_alu instid0(VALU_DEP_1) | instskip(NEXT) | instid1(VALU_DEP_2)
	v_add_co_u32 v13, vcc_lo, s8, v13
	v_add_co_ci_u32_e32 v14, vcc_lo, s9, v14, vcc_lo
	global_load_b32 v46, v[13:14], off glc
	s_waitcnt vmcnt(0)
	v_lshrrev_b32_e32 v33, 16, v46
	s_delay_alu instid0(VALU_DEP_1) | instskip(NEXT) | instid1(VALU_DEP_1)
	v_and_b32_e32 v47, 0xff, v33
	v_cmpx_eq_u16_e32 0, v47
	s_cbranch_execz .LBB104_69
; %bb.66:                               ;   in Loop: Header=BB104_64 Depth=1
	s_mov_b32 s5, 0
.LBB104_67:                             ;   Parent Loop BB104_64 Depth=1
                                        ; =>  This Inner Loop Header: Depth=2
	global_load_b32 v46, v[13:14], off glc
	s_waitcnt vmcnt(0)
	v_lshrrev_b32_e32 v33, 16, v46
	s_delay_alu instid0(VALU_DEP_1) | instskip(NEXT) | instid1(VALU_DEP_1)
	v_and_b32_e32 v47, 0xff, v33
	v_cmp_ne_u16_e32 vcc_lo, 0, v47
	s_or_b32 s5, vcc_lo, s5
	s_delay_alu instid0(SALU_CYCLE_1)
	s_and_not1_b32 exec_lo, exec_lo, s5
	s_cbranch_execnz .LBB104_67
; %bb.68:                               ;   in Loop: Header=BB104_64 Depth=1
	s_or_b32 exec_lo, exec_lo, s5
.LBB104_69:                             ;   in Loop: Header=BB104_64 Depth=1
	s_delay_alu instid0(SALU_CYCLE_1) | instskip(SKIP_1) | instid1(VALU_DEP_1)
	s_or_b32 exec_lo, exec_lo, s4
	v_and_b32_e32 v47, 0xff, v33
	v_cmp_eq_u16_e32 vcc_lo, 2, v47
	v_and_or_b32 v47, vcc_lo, v35, 0x80000000
	s_delay_alu instid0(VALU_DEP_1) | instskip(NEXT) | instid1(VALU_DEP_1)
	v_ctz_i32_b32_e32 v51, v47
	v_cmp_le_u32_e32 vcc_lo, v38, v51
	v_and_b32_e32 v14, 0xffff, v46
	v_cmp_le_u32_e64 s6, v36, v51
	v_cmp_le_u32_e64 s4, v40, v51
	;; [unrolled: 1-line block ×3, first 2 shown]
	ds_bpermute_b32 v13, v34, v14
	s_or_b32 s18, s6, vcc_lo
	s_delay_alu instid0(SALU_CYCLE_1) | instskip(NEXT) | instid1(SALU_CYCLE_1)
	s_or_b32 s18, s4, s18
	s_or_b32 s18, s5, s18
	s_waitcnt lgkmcnt(0)
	v_add_f16_e32 v13, v46, v13
	s_delay_alu instid0(VALU_DEP_1) | instskip(SKIP_1) | instid1(VALU_DEP_2)
	v_and_b32_e32 v47, 0xffff, v13
	v_cndmask_b32_e64 v48, v46, v13, s6
	v_cndmask_b32_e64 v47, v14, v47, s6
	v_cmp_le_u32_e64 s6, v44, v51
	ds_bpermute_b32 v14, v37, v47
	s_or_b32 s19, s6, s18
	s_waitcnt lgkmcnt(0)
	v_add_f16_e32 v14, v14, v48
	s_delay_alu instid0(VALU_DEP_1) | instskip(NEXT) | instid1(VALU_DEP_1)
	v_and_b32_e32 v49, 0xffff, v14
	v_dual_cndmask_b32 v48, v48, v14 :: v_dual_cndmask_b32 v49, v47, v49
	ds_bpermute_b32 v47, v39, v49
	s_waitcnt lgkmcnt(0)
	v_add_f16_e32 v47, v47, v48
	s_delay_alu instid0(VALU_DEP_1) | instskip(SKIP_1) | instid1(VALU_DEP_2)
	v_and_b32_e32 v50, 0xffff, v47
	v_cndmask_b32_e64 v48, v48, v47, s4
	v_cndmask_b32_e64 v50, v49, v50, s4
	ds_bpermute_b32 v49, v41, v50
	s_waitcnt lgkmcnt(0)
	v_add_f16_e32 v49, v49, v48
	s_delay_alu instid0(VALU_DEP_1) | instskip(NEXT) | instid1(VALU_DEP_1)
	v_and_b32_e32 v52, 0xffff, v49
	v_cndmask_b32_e64 v50, v50, v52, s5
	ds_bpermute_b32 v50, v43, v50
	s_and_saveexec_b32 s18, s19
	s_cbranch_execz .LBB104_71
; %bb.70:                               ;   in Loop: Header=BB104_64 Depth=1
	v_cndmask_b32_e32 v13, v13, v14, vcc_lo
	v_cndmask_b32_e64 v14, v48, v49, s5
	s_delay_alu instid0(VALU_DEP_2) | instskip(SKIP_1) | instid1(VALU_DEP_2)
	v_cndmask_b32_e64 v13, v13, v47, s4
	s_waitcnt lgkmcnt(0)
	v_add_f16_e32 v14, v50, v14
	s_delay_alu instid0(VALU_DEP_2) | instskip(NEXT) | instid1(VALU_DEP_1)
	v_cndmask_b32_e64 v13, v13, v49, s5
	v_cndmask_b32_e64 v46, v13, v14, s6
.LBB104_71:                             ;   in Loop: Header=BB104_64 Depth=1
	s_or_b32 exec_lo, exec_lo, s18
	v_subrev_nc_u32_e32 v11, 32, v11
	s_delay_alu instid0(VALU_DEP_2)
	v_add_f16_e32 v14, v46, v45
	s_branch .LBB104_64
.LBB104_72:
	s_and_saveexec_b32 s4, s3
	s_cbranch_execz .LBB104_74
; %bb.73:
	v_add_f16_e32 v11, v32, v45
	s_add_i32 s18, s15, 32
	s_mov_b32 s19, 0
	v_mov_b32_e32 v12, 0
	s_lshl_b64 s[18:19], s[18:19], 2
	v_and_b32_e32 v11, 0xffff, v11
	s_add_u32 s18, s8, s18
	s_addc_u32 s19, s9, s19
	s_delay_alu instid0(VALU_DEP_1)
	v_or_b32_e32 v11, 0x20000, v11
	global_store_b32 v12, v11, s[18:19]
.LBB104_74:
	s_or_b32 exec_lo, exec_lo, s4
	s_delay_alu instid0(SALU_CYCLE_1)
	s_and_b32 exec_lo, exec_lo, s2
	s_cbranch_execz .LBB104_76
; %bb.75:
	v_mov_b32_e32 v11, 0
	ds_store_b16 v11, v45
.LBB104_76:
	s_or_b32 exec_lo, exec_lo, s7
	v_mov_b32_e32 v11, 0
	s_waitcnt lgkmcnt(0)
	s_waitcnt_vscnt null, 0x0
	s_barrier
	buffer_gl0_inv
	v_add_f16_e32 v12, v31, v1
	ds_load_u16 v11, v11
	v_cndmask_b32_e64 v12, v12, v1, s2
	s_waitcnt lgkmcnt(0)
	s_delay_alu instid0(VALU_DEP_1) | instskip(NEXT) | instid1(VALU_DEP_1)
	v_add_f16_e32 v12, v12, v11
	v_add_f16_e32 v11, v12, v29
	s_delay_alu instid0(VALU_DEP_1) | instskip(NEXT) | instid1(VALU_DEP_1)
	v_add_f16_e32 v13, v11, v2
	v_add_f16_e32 v14, v13, v28
	;; [unrolled: 3-line block ×11, first 2 shown]
	s_load_b128 s[4:7], s[0:1], 0x30
	s_branch .LBB104_87
.LBB104_77:
                                        ; implicit-def: $vgpr12
                                        ; implicit-def: $vgpr11
                                        ; implicit-def: $vgpr13
                                        ; implicit-def: $vgpr14
                                        ; implicit-def: $vgpr31
                                        ; implicit-def: $vgpr32
                                        ; implicit-def: $vgpr33
                                        ; implicit-def: $vgpr34
                                        ; implicit-def: $vgpr35
                                        ; implicit-def: $vgpr36
                                        ; implicit-def: $vgpr37
                                        ; implicit-def: $vgpr38
                                        ; implicit-def: $vgpr39
                                        ; implicit-def: $vgpr40
                                        ; implicit-def: $vgpr41
                                        ; implicit-def: $vgpr42
                                        ; implicit-def: $vgpr43
                                        ; implicit-def: $vgpr44
                                        ; implicit-def: $vgpr45
                                        ; implicit-def: $vgpr46
                                        ; implicit-def: $vgpr47
                                        ; implicit-def: $vgpr48
	s_load_b128 s[4:7], s[0:1], 0x30
	s_cbranch_execz .LBB104_87
; %bb.78:
	s_load_b32 s2, s[0:1], 0x40
	v_cmp_eq_u32_e32 vcc_lo, 0, v0
	s_waitcnt lgkmcnt(0)
	s_bitcmp1_b32 s2, 0
	v_cmp_ne_u32_e64 s2, 0, v0
	s_cselect_b32 s3, -1, 0
	s_delay_alu instid0(SALU_CYCLE_1) | instskip(NEXT) | instid1(SALU_CYCLE_1)
	s_and_b32 s15, vcc_lo, s3
	s_and_saveexec_b32 s3, s15
	s_cbranch_execz .LBB104_80
; %bb.79:
	v_mov_b32_e32 v11, 0
	global_load_u16 v11, v11, s[4:5]
	s_waitcnt vmcnt(0)
	v_add_f16_e32 v1, v11, v1
.LBB104_80:
	s_or_b32 exec_lo, exec_lo, s3
	s_delay_alu instid0(VALU_DEP_1) | instskip(SKIP_2) | instid1(VALU_DEP_2)
	v_add_f16_e32 v11, v29, v1
	v_add_lshl_u32 v12, v30, v0, 1
	s_mov_b32 s4, exec_lo
	v_add_f16_e32 v11, v11, v2
	s_delay_alu instid0(VALU_DEP_1) | instskip(NEXT) | instid1(VALU_DEP_1)
	v_add_f16_e32 v11, v11, v28
	v_add_f16_e32 v11, v11, v9
	s_delay_alu instid0(VALU_DEP_1) | instskip(NEXT) | instid1(VALU_DEP_1)
	v_add_f16_e32 v11, v11, v27
	;; [unrolled: 3-line block ×9, first 2 shown]
	v_add_f16_e32 v11, v11, v18
	s_delay_alu instid0(VALU_DEP_1)
	v_add_f16_e32 v11, v11, v19
	ds_store_b16 v12, v11
	s_waitcnt lgkmcnt(0)
	s_barrier
	buffer_gl0_inv
	v_cmpx_gt_u32_e32 32, v0
	s_cbranch_execz .LBB104_82
; %bb.81:
	v_lshrrev_b32_e32 v12, 3, v0
	v_mbcnt_lo_u32_b32 v32, -1, 0
	s_delay_alu instid0(VALU_DEP_2) | instskip(NEXT) | instid1(VALU_DEP_2)
	v_and_b32_e32 v12, 6, v12
	v_and_b32_e32 v33, 15, v32
	v_add_nc_u32_e32 v34, -1, v32
	s_delay_alu instid0(VALU_DEP_3) | instskip(NEXT) | instid1(VALU_DEP_3)
	v_lshl_or_b32 v12, v0, 2, v12
	v_cmp_eq_u32_e64 s3, 0, v33
	ds_load_u16 v13, v12
	ds_load_u16 v14, v12 offset:2
	s_waitcnt lgkmcnt(0)
	v_add_f16_e32 v30, v13, v14
	s_delay_alu instid0(VALU_DEP_1) | instskip(NEXT) | instid1(VALU_DEP_1)
	v_and_b32_e32 v31, 0xffff, v30
	v_mov_b32_dpp v31, v31 row_shr:1 row_mask:0xf bank_mask:0xf
	s_delay_alu instid0(VALU_DEP_1) | instskip(NEXT) | instid1(VALU_DEP_1)
	v_add_f16_e32 v31, v30, v31
	v_cndmask_b32_e64 v30, v31, v30, s3
	v_cmp_lt_u32_e64 s3, 1, v33
	s_delay_alu instid0(VALU_DEP_2) | instskip(NEXT) | instid1(VALU_DEP_1)
	v_and_b32_e32 v31, 0xffff, v30
	v_mov_b32_dpp v31, v31 row_shr:2 row_mask:0xf bank_mask:0xf
	s_delay_alu instid0(VALU_DEP_1) | instskip(NEXT) | instid1(VALU_DEP_1)
	v_add_f16_e32 v31, v30, v31
	v_cndmask_b32_e64 v30, v30, v31, s3
	v_cmp_lt_u32_e64 s3, 3, v33
	s_delay_alu instid0(VALU_DEP_2) | instskip(NEXT) | instid1(VALU_DEP_1)
	v_and_b32_e32 v31, 0xffff, v30
	v_mov_b32_dpp v31, v31 row_shr:4 row_mask:0xf bank_mask:0xf
	s_delay_alu instid0(VALU_DEP_1) | instskip(NEXT) | instid1(VALU_DEP_1)
	v_add_f16_e32 v31, v30, v31
	v_cndmask_b32_e64 v30, v30, v31, s3
	v_cmp_lt_u32_e64 s3, 7, v33
	v_and_b32_e32 v33, 16, v32
	s_delay_alu instid0(VALU_DEP_3) | instskip(NEXT) | instid1(VALU_DEP_1)
	v_and_b32_e32 v31, 0xffff, v30
	v_mov_b32_dpp v31, v31 row_shr:8 row_mask:0xf bank_mask:0xf
	s_delay_alu instid0(VALU_DEP_1) | instskip(NEXT) | instid1(VALU_DEP_1)
	v_add_f16_e32 v31, v30, v31
	v_cndmask_b32_e64 v30, v30, v31, s3
	v_cmp_eq_u32_e64 s3, 0, v33
	s_delay_alu instid0(VALU_DEP_2) | instskip(SKIP_3) | instid1(VALU_DEP_1)
	v_and_b32_e32 v31, 0xffff, v30
	ds_swizzle_b32 v31, v31 offset:swizzle(BROADCAST,32,15)
	s_waitcnt lgkmcnt(0)
	v_add_f16_e32 v31, v30, v31
	v_cndmask_b32_e64 v30, v31, v30, s3
	v_cmp_gt_i32_e64 s3, 0, v34
	s_delay_alu instid0(VALU_DEP_2) | instskip(NEXT) | instid1(VALU_DEP_2)
	v_and_b32_e32 v30, 0xffff, v30
	v_cndmask_b32_e64 v31, v34, v32, s3
	s_delay_alu instid0(VALU_DEP_1) | instskip(SKIP_3) | instid1(VALU_DEP_1)
	v_lshlrev_b32_e32 v31, 2, v31
	ds_bpermute_b32 v30, v31, v30
	s_waitcnt lgkmcnt(0)
	v_add_f16_e32 v13, v13, v30
	v_cndmask_b32_e32 v13, v13, v11, vcc_lo
	s_delay_alu instid0(VALU_DEP_1)
	v_add_f16_e32 v14, v14, v13
	ds_store_b16 v12, v13
	ds_store_b16 v12, v14 offset:2
.LBB104_82:
	s_or_b32 exec_lo, exec_lo, s4
	s_waitcnt lgkmcnt(0)
	s_barrier
	buffer_gl0_inv
	s_and_saveexec_b32 s3, s2
	s_cbranch_execz .LBB104_84
; %bb.83:
	v_add_nc_u32_e32 v11, -1, v0
	s_delay_alu instid0(VALU_DEP_1) | instskip(NEXT) | instid1(VALU_DEP_1)
	v_lshrrev_b32_e32 v12, 5, v11
	v_add_lshl_u32 v11, v12, v11, 1
	ds_load_u16 v11, v11
.LBB104_84:
	s_or_b32 exec_lo, exec_lo, s3
	s_waitcnt lgkmcnt(0)
	v_add_f16_e32 v12, v11, v1
	s_delay_alu instid0(VALU_DEP_1) | instskip(NEXT) | instid1(VALU_DEP_1)
	v_cndmask_b32_e32 v11, v12, v1, vcc_lo
	v_add_f16_e32 v11, v11, v29
	s_delay_alu instid0(VALU_DEP_1) | instskip(NEXT) | instid1(VALU_DEP_1)
	v_add_f16_e32 v13, v11, v2
	v_add_f16_e32 v14, v13, v28
	s_delay_alu instid0(VALU_DEP_1) | instskip(NEXT) | instid1(VALU_DEP_1)
	v_add_f16_e32 v31, v14, v9
	;; [unrolled: 3-line block ×9, first 2 shown]
	v_add_f16_e32 v46, v45, v20
	s_delay_alu instid0(VALU_DEP_1)
	v_add_f16_e32 v47, v46, v18
	s_and_saveexec_b32 s2, vcc_lo
	s_cbranch_execz .LBB104_86
; %bb.85:
	v_mov_b32_e32 v2, 0
	v_mov_b32_e32 v12, v1
	ds_load_u16 v3, v2 offset:128
	s_waitcnt lgkmcnt(0)
	v_or_b32_e32 v3, 0x20000, v3
	global_store_b32 v2, v3, s[8:9] offset:128
.LBB104_86:
	s_or_b32 exec_lo, exec_lo, s2
	s_delay_alu instid0(VALU_DEP_1)
	v_add_f16_e32 v48, v47, v19
.LBB104_87:
	v_perm_b32 v4, v14, v13, 0x5040100
	v_perm_b32 v5, v11, v12, 0x5040100
	;; [unrolled: 1-line block ×11, first 2 shown]
	s_add_u32 s2, s10, s12
	s_addc_u32 s3, s11, s13
	s_and_b32 vcc_lo, exec_lo, s17
	s_waitcnt lgkmcnt(0)
	s_mov_b32 s4, -1
	s_waitcnt_vscnt null, 0x0
	s_barrier
	buffer_gl0_inv
	s_cbranch_vccz .LBB104_89
; %bb.88:
	ds_store_2addr_b32 v17, v5, v4 offset1:1
	ds_store_2addr_b32 v17, v7, v6 offset0:2 offset1:3
	ds_store_2addr_b32 v17, v9, v8 offset0:4 offset1:5
	;; [unrolled: 1-line block ×4, first 2 shown]
	ds_store_b32 v17, v3 offset:40
	s_waitcnt lgkmcnt(0)
	s_barrier
	buffer_gl0_inv
	ds_load_u16 v12, v15
	ds_load_u16 v13, v15 offset:128
	ds_load_u16 v14, v15 offset:256
	;; [unrolled: 1-line block ×21, first 2 shown]
	s_mov_b32 s4, 0
	s_waitcnt lgkmcnt(21)
	global_store_b16 v15, v12, s[2:3]
	s_waitcnt lgkmcnt(20)
	global_store_b16 v15, v13, s[2:3] offset:128
	s_waitcnt lgkmcnt(19)
	global_store_b16 v15, v14, s[2:3] offset:256
	;; [unrolled: 2-line block ×21, first 2 shown]
.LBB104_89:
	s_and_not1_b32 vcc_lo, exec_lo, s4
	s_cbranch_vccnz .LBB104_216
; %bb.90:
	v_mad_i32_i24 v27, 0xffffffd6, v0, v17
	ds_store_2addr_b32 v17, v5, v4 offset1:1
	ds_store_2addr_b32 v17, v7, v6 offset0:2 offset1:3
	ds_store_2addr_b32 v17, v9, v8 offset0:4 offset1:5
	ds_store_2addr_b32 v17, v11, v10 offset0:6 offset1:7
	ds_store_2addr_b32 v17, v2, v1 offset0:8 offset1:9
	ds_store_b32 v17, v3 offset:40
	s_waitcnt lgkmcnt(0)
	s_waitcnt_vscnt null, 0x0
	s_barrier
	buffer_gl0_inv
	ds_load_u16 v5, v27
	ds_load_u16 v4, v27 offset:128
	ds_load_u16 v7, v27 offset:256
	;; [unrolled: 1-line block ×21, first 2 shown]
	v_add_co_u32 v2, s2, s2, v15
	v_mov_b32_e32 v1, 0
	v_add_co_ci_u32_e64 v3, null, s3, 0, s2
	s_mov_b32 s2, exec_lo
	v_cmpx_gt_u32_e64 s14, v0
	s_cbranch_execz .LBB104_92
; %bb.91:
	s_waitcnt lgkmcnt(21)
	global_store_b16 v[2:3], v5, off
.LBB104_92:
	s_or_b32 exec_lo, exec_lo, s2
	v_or_b32_e32 v15, 64, v0
	s_mov_b32 s2, exec_lo
	s_delay_alu instid0(VALU_DEP_1)
	v_cmpx_gt_u32_e64 s14, v15
	s_cbranch_execz .LBB104_94
; %bb.93:
	s_waitcnt lgkmcnt(20)
	global_store_b16 v[2:3], v4, off offset:128
.LBB104_94:
	s_or_b32 exec_lo, exec_lo, s2
	v_or_b32_e32 v15, 0x80, v0
	s_mov_b32 s2, exec_lo
	s_delay_alu instid0(VALU_DEP_1)
	v_cmpx_gt_u32_e64 s14, v15
	s_cbranch_execz .LBB104_96
; %bb.95:
	s_waitcnt lgkmcnt(19)
	global_store_b16 v[2:3], v7, off offset:256
.LBB104_96:
	;; [unrolled: 10-line block ×21, first 2 shown]
	s_or_b32 exec_lo, exec_lo, s2
	s_load_b32 s0, s[0:1], 0x40
	s_waitcnt lgkmcnt(0)
	s_bfe_u32 s0, s0, 0x10008
	s_delay_alu instid0(SALU_CYCLE_1)
	s_cmp_eq_u32 s0, 0
	s_cbranch_scc1 .LBB104_216
; %bb.135:
	s_add_u32 s0, s14, -1
	s_addc_u32 s1, s16, -1
	s_add_u32 s2, 0, 0x2e8b0a00
	s_addc_u32 s3, 0, 42
	s_mul_hi_u32 s5, s2, 0xffffffea
	s_add_i32 s3, s3, 0xba2e890
	s_sub_i32 s5, s5, s2
	s_mul_i32 s8, s3, 0xffffffea
	s_mul_i32 s4, s2, 0xffffffea
	s_add_i32 s5, s5, s8
	s_mul_hi_u32 s9, s3, s4
	s_mul_i32 s8, s3, s4
	s_mul_i32 s10, s2, s5
	s_mul_hi_u32 s4, s2, s4
	s_mul_hi_u32 s11, s2, s5
	s_add_u32 s4, s4, s10
	s_addc_u32 s10, 0, s11
	s_mul_hi_u32 s11, s3, s5
	s_add_u32 s4, s4, s8
	s_addc_u32 s4, s10, s9
	s_mul_i32 s5, s3, s5
	s_addc_u32 s8, s11, 0
	s_add_u32 s4, s4, s5
	s_delay_alu instid0(SALU_CYCLE_1) | instskip(SKIP_2) | instid1(VALU_DEP_1)
	v_add_co_u32 v2, s2, s2, s4
	s_addc_u32 s4, 0, s8
	s_cmp_lg_u32 s2, 0
	v_readfirstlane_b32 s2, v2
	s_addc_u32 s3, s3, s4
	s_delay_alu instid0(SALU_CYCLE_1) | instskip(SKIP_1) | instid1(VALU_DEP_1)
	s_mul_i32 s4, s0, s3
	s_mul_hi_u32 s8, s0, s3
	s_mul_hi_u32 s5, s0, s2
	s_mul_i32 s9, s1, s2
	s_add_u32 s4, s5, s4
	s_addc_u32 s5, 0, s8
	s_mul_hi_u32 s2, s1, s2
	s_mul_hi_u32 s8, s1, s3
	s_add_u32 s4, s4, s9
	s_addc_u32 s2, s5, s2
	s_mul_i32 s3, s1, s3
	s_addc_u32 s4, s8, 0
	s_add_u32 s2, s2, s3
	s_addc_u32 s3, 0, s4
	s_mul_i32 s5, s2, 22
	s_add_u32 s4, s2, 1
	v_sub_co_u32 v2, s5, s0, s5
	s_addc_u32 s8, s3, 0
	s_mul_i32 s10, s3, 22
	s_mul_hi_u32 s12, s2, 22
	s_delay_alu instid0(VALU_DEP_1)
	v_sub_co_u32 v3, s11, v2, 22
	s_add_u32 s9, s2, 2
	s_addc_u32 s13, s3, 0
	s_add_i32 s12, s12, s10
	s_cmp_lg_u32 s5, 0
	v_readfirstlane_b32 s5, v3
	s_subb_u32 s10, s1, s12
	s_cmp_lg_u32 s11, 0
	s_subb_u32 s11, s10, 0
	s_delay_alu instid0(VALU_DEP_1) | instskip(SKIP_4) | instid1(SALU_CYCLE_1)
	s_cmp_gt_u32 s5, 21
	s_cselect_b32 s5, -1, 0
	s_cmp_eq_u32 s11, 0
	v_readfirstlane_b32 s11, v2
	s_cselect_b32 s5, s5, -1
	s_cmp_lg_u32 s5, 0
	s_cselect_b32 s4, s9, s4
	s_cselect_b32 s5, s13, s8
	s_cmp_gt_u32 s11, 21
	s_cselect_b32 s8, -1, 0
	s_cmp_eq_u32 s10, 0
	s_cselect_b32 s8, s8, -1
	s_delay_alu instid0(SALU_CYCLE_1) | instskip(SKIP_2) | instid1(SALU_CYCLE_1)
	s_cmp_lg_u32 s8, 0
	s_cselect_b32 s3, s5, s3
	s_cselect_b32 s2, s4, s2
	v_cmp_eq_u64_e32 vcc_lo, s[2:3], v[0:1]
	s_and_saveexec_b32 s2, vcc_lo
	s_cbranch_execz .LBB104_216
; %bb.136:
	v_mul_hi_u32_u24_e32 v1, 22, v0
	v_sub_co_u32 v0, vcc_lo, s0, v16
	s_mov_b32 s0, 0
	s_mov_b32 s2, 0
	s_delay_alu instid0(VALU_DEP_2) | instskip(SKIP_1) | instid1(VALU_DEP_1)
	v_sub_co_ci_u32_e32 v1, vcc_lo, s1, v1, vcc_lo
	s_mov_b32 s1, exec_lo
	v_cmpx_lt_i64_e32 10, v[0:1]
	s_xor_b32 s1, exec_lo, s1
	s_cbranch_execnz .LBB104_140
; %bb.137:
	s_or_saveexec_b32 s1, s1
	s_mov_b32 s3, 0
	s_xor_b32 exec_lo, exec_lo, s1
	s_cbranch_execnz .LBB104_181
.LBB104_138:
	s_or_b32 exec_lo, exec_lo, s1
	s_and_saveexec_b32 s1, s2
	s_cbranch_execnz .LBB104_192
.LBB104_139:
	s_or_b32 exec_lo, exec_lo, s1
	s_and_saveexec_b32 s1, s0
	s_cbranch_execnz .LBB104_193
	s_branch .LBB104_197
.LBB104_140:
	s_mov_b32 s3, 0
	s_mov_b32 s2, exec_lo
	v_cmpx_lt_i64_e32 15, v[0:1]
	s_xor_b32 s2, exec_lo, s2
	s_cbranch_execz .LBB104_162
; %bb.141:
	s_mov_b32 s4, exec_lo
                                        ; implicit-def: $vgpr12
	v_cmpx_lt_i64_e32 18, v[0:1]
	s_xor_b32 s4, exec_lo, s4
	s_cbranch_execz .LBB104_151
; %bb.142:
	s_mov_b32 s5, 0
	s_mov_b32 s3, exec_lo
                                        ; implicit-def: $vgpr12
	v_cmpx_lt_i64_e32 19, v[0:1]
	s_xor_b32 s3, exec_lo, s3
	s_cbranch_execz .LBB104_148
; %bb.143:
	s_mov_b32 s5, exec_lo
	v_cmpx_lt_i64_e32 20, v[0:1]
	s_xor_b32 s5, exec_lo, s5
	s_cbranch_execz .LBB104_145
; %bb.144:
	v_mov_b32_e32 v2, 0
                                        ; implicit-def: $vgpr21
	global_store_b16 v2, v27, s[6:7]
.LBB104_145:
	s_or_saveexec_b32 s5, s5
	s_mov_b32 s8, 0
	s_xor_b32 exec_lo, exec_lo, s5
; %bb.146:
	s_delay_alu instid0(SALU_CYCLE_1)
	s_mov_b32 s8, exec_lo
; %bb.147:
	s_or_b32 exec_lo, exec_lo, s5
	v_mov_b32_e32 v12, v21
	s_and_b32 s5, s8, exec_lo
                                        ; implicit-def: $vgpr26
.LBB104_148:
	s_and_not1_saveexec_b32 s3, s3
	s_cbranch_execz .LBB104_150
; %bb.149:
	v_mov_b32_e32 v2, 0
                                        ; implicit-def: $vgpr12
	global_store_b16 v2, v26, s[6:7]
.LBB104_150:
	s_or_b32 exec_lo, exec_lo, s3
	s_delay_alu instid0(SALU_CYCLE_1)
	s_and_b32 s3, s5, exec_lo
                                        ; implicit-def: $vgpr23
                                        ; implicit-def: $vgpr20
                                        ; implicit-def: $vgpr25
.LBB104_151:
	s_and_not1_saveexec_b32 s4, s4
	s_cbranch_execz .LBB104_161
; %bb.152:
	s_mov_b32 s5, exec_lo
	v_cmpx_lt_i64_e32 16, v[0:1]
	s_xor_b32 s5, exec_lo, s5
	s_cbranch_execz .LBB104_158
; %bb.153:
	s_mov_b32 s8, exec_lo
	v_cmpx_lt_i64_e32 17, v[0:1]
	s_xor_b32 s8, exec_lo, s8
	s_cbranch_execz .LBB104_155
; %bb.154:
	v_mov_b32_e32 v2, 0
                                        ; implicit-def: $vgpr20
	global_store_b16 v2, v25, s[6:7]
.LBB104_155:
	s_and_not1_saveexec_b32 s8, s8
	s_cbranch_execz .LBB104_157
; %bb.156:
	v_mov_b32_e32 v2, 0
	global_store_b16 v2, v20, s[6:7]
.LBB104_157:
	s_or_b32 exec_lo, exec_lo, s8
                                        ; implicit-def: $vgpr23
.LBB104_158:
	s_and_not1_saveexec_b32 s5, s5
	s_cbranch_execz .LBB104_160
; %bb.159:
	v_mov_b32_e32 v2, 0
	global_store_b16 v2, v23, s[6:7]
.LBB104_160:
	s_or_b32 exec_lo, exec_lo, s5
                                        ; implicit-def: $vgpr12
.LBB104_161:
	s_delay_alu instid0(SALU_CYCLE_1) | instskip(NEXT) | instid1(SALU_CYCLE_1)
	s_or_b32 exec_lo, exec_lo, s4
	s_and_b32 s3, s3, exec_lo
                                        ; implicit-def: $vgpr22
                                        ; implicit-def: $vgpr19
                                        ; implicit-def: $vgpr18
                                        ; implicit-def: $vgpr24
.LBB104_162:
	s_and_not1_saveexec_b32 s2, s2
	s_cbranch_execz .LBB104_180
; %bb.163:
	s_mov_b32 s4, exec_lo
	v_cmpx_lt_i64_e32 12, v[0:1]
	s_xor_b32 s4, exec_lo, s4
	s_cbranch_execz .LBB104_173
; %bb.164:
	s_mov_b32 s5, exec_lo
	v_cmpx_lt_i64_e32 13, v[0:1]
	s_xor_b32 s5, exec_lo, s5
	;; [unrolled: 5-line block ×3, first 2 shown]
	s_cbranch_execz .LBB104_167
; %bb.166:
	v_mov_b32_e32 v2, 0
                                        ; implicit-def: $vgpr18
	global_store_b16 v2, v24, s[6:7]
.LBB104_167:
	s_and_not1_saveexec_b32 s8, s8
	s_cbranch_execz .LBB104_169
; %bb.168:
	v_mov_b32_e32 v2, 0
	global_store_b16 v2, v18, s[6:7]
.LBB104_169:
	s_or_b32 exec_lo, exec_lo, s8
                                        ; implicit-def: $vgpr22
.LBB104_170:
	s_and_not1_saveexec_b32 s5, s5
	s_cbranch_execz .LBB104_172
; %bb.171:
	v_mov_b32_e32 v2, 0
	global_store_b16 v2, v22, s[6:7]
.LBB104_172:
	s_or_b32 exec_lo, exec_lo, s5
                                        ; implicit-def: $vgpr12
                                        ; implicit-def: $vgpr19
.LBB104_173:
	s_or_saveexec_b32 s4, s4
	s_mov_b32 s5, s3
	s_xor_b32 exec_lo, exec_lo, s4
	s_cbranch_execz .LBB104_179
; %bb.174:
	s_mov_b32 s5, exec_lo
	v_cmpx_lt_i64_e32 11, v[0:1]
	s_xor_b32 s5, exec_lo, s5
	s_cbranch_execz .LBB104_176
; %bb.175:
	v_mov_b32_e32 v2, 0
                                        ; implicit-def: $vgpr12
	global_store_b16 v2, v19, s[6:7]
.LBB104_176:
	s_or_saveexec_b32 s5, s5
	s_mov_b32 s8, s3
	s_xor_b32 exec_lo, exec_lo, s5
; %bb.177:
	s_delay_alu instid0(SALU_CYCLE_1)
	s_or_b32 s8, s3, exec_lo
; %bb.178:
	s_or_b32 exec_lo, exec_lo, s5
	s_delay_alu instid0(SALU_CYCLE_1) | instskip(SKIP_1) | instid1(SALU_CYCLE_1)
	s_and_not1_b32 s5, s3, exec_lo
	s_and_b32 s8, s8, exec_lo
	s_or_b32 s5, s5, s8
.LBB104_179:
	s_or_b32 exec_lo, exec_lo, s4
	s_delay_alu instid0(SALU_CYCLE_1) | instskip(SKIP_1) | instid1(SALU_CYCLE_1)
	s_and_not1_b32 s3, s3, exec_lo
	s_and_b32 s4, s5, exec_lo
	s_or_b32 s3, s3, s4
.LBB104_180:
	s_or_b32 exec_lo, exec_lo, s2
	s_delay_alu instid0(SALU_CYCLE_1)
	s_and_b32 s2, s3, exec_lo
                                        ; implicit-def: $vgpr14
                                        ; implicit-def: $vgpr17
                                        ; implicit-def: $vgpr13
	s_or_saveexec_b32 s1, s1
	s_mov_b32 s3, 0
	s_xor_b32 exec_lo, exec_lo, s1
	s_cbranch_execz .LBB104_138
.LBB104_181:
	s_mov_b32 s4, 0
	s_mov_b32 s3, -1
	s_mov_b32 s5, s2
	s_mov_b32 s0, exec_lo
                                        ; implicit-def: $vgpr12
	v_cmpx_lt_i64_e32 5, v[0:1]
	s_cbranch_execz .LBB104_191
; %bb.182:
	s_mov_b32 s4, -1
	s_mov_b32 s5, s2
	s_mov_b32 s3, exec_lo
	v_cmpx_lt_i64_e32 7, v[0:1]
	s_cbranch_execz .LBB104_190
; %bb.183:
	s_mov_b32 s4, exec_lo
	v_cmpx_lt_i64_e32 8, v[0:1]
	s_cbranch_execz .LBB104_189
; %bb.184:
	s_mov_b32 s5, exec_lo
	v_cmpx_lt_i64_e32 9, v[0:1]
	s_xor_b32 s5, exec_lo, s5
; %bb.185:
                                        ; implicit-def: $vgpr17
; %bb.186:
	s_delay_alu instid0(SALU_CYCLE_1)
	s_and_not1_saveexec_b32 s5, s5
; %bb.187:
	v_mov_b32_e32 v13, v17
; %bb.188:
	s_or_b32 exec_lo, exec_lo, s5
	s_delay_alu instid0(VALU_DEP_1)
	v_mov_b32_e32 v14, v13
.LBB104_189:
	s_or_b32 exec_lo, exec_lo, s4
	s_delay_alu instid0(SALU_CYCLE_1)
	s_xor_b32 s4, exec_lo, -1
	s_or_b32 s5, s2, exec_lo
.LBB104_190:
	s_or_b32 exec_lo, exec_lo, s3
	v_mov_b32_e32 v12, v14
	s_and_not1_b32 s8, s2, exec_lo
	s_and_b32 s5, s5, exec_lo
	s_xor_b32 s3, exec_lo, -1
	s_and_b32 s4, s4, exec_lo
	s_or_b32 s5, s8, s5
.LBB104_191:
	s_or_b32 exec_lo, exec_lo, s0
	s_delay_alu instid0(SALU_CYCLE_1)
	s_and_not1_b32 s2, s2, exec_lo
	s_and_b32 s5, s5, exec_lo
	s_and_b32 s3, s3, exec_lo
	;; [unrolled: 1-line block ×3, first 2 shown]
	s_or_b32 s2, s2, s5
	s_or_b32 exec_lo, exec_lo, s1
	s_and_saveexec_b32 s1, s2
	s_cbranch_execz .LBB104_139
.LBB104_192:
	v_mov_b32_e32 v2, 0
	global_store_b16 v2, v12, s[6:7]
	s_or_b32 exec_lo, exec_lo, s1
	s_and_saveexec_b32 s1, s0
	s_cbranch_execz .LBB104_197
.LBB104_193:
	s_mov_b32 s0, exec_lo
	v_cmpx_lt_i64_e32 6, v[0:1]
	s_xor_b32 s0, exec_lo, s0
	s_cbranch_execz .LBB104_195
; %bb.194:
	v_mov_b32_e32 v2, 0
                                        ; implicit-def: $vgpr10
	global_store_b16 v2, v11, s[6:7]
.LBB104_195:
	s_and_not1_saveexec_b32 s0, s0
	s_cbranch_execz .LBB104_197
; %bb.196:
	v_mov_b32_e32 v2, 0
	global_store_b16 v2, v10, s[6:7]
.LBB104_197:
	s_or_b32 exec_lo, exec_lo, s1
	s_delay_alu instid0(SALU_CYCLE_1)
	s_and_b32 exec_lo, exec_lo, s3
	s_cbranch_execz .LBB104_216
; %bb.198:
	s_mov_b32 s0, exec_lo
	v_cmpx_lt_i64_e32 2, v[0:1]
	s_xor_b32 s0, exec_lo, s0
	s_cbranch_execz .LBB104_208
; %bb.199:
	s_mov_b32 s1, exec_lo
	v_cmpx_lt_i64_e32 3, v[0:1]
	s_xor_b32 s1, exec_lo, s1
	;; [unrolled: 5-line block ×3, first 2 shown]
	s_cbranch_execz .LBB104_202
; %bb.201:
	v_mov_b32_e32 v0, 0
                                        ; implicit-def: $vgpr6
	global_store_b16 v0, v9, s[6:7]
.LBB104_202:
	s_and_not1_saveexec_b32 s2, s2
	s_cbranch_execz .LBB104_204
; %bb.203:
	v_mov_b32_e32 v0, 0
	global_store_b16 v0, v6, s[6:7]
.LBB104_204:
	s_or_b32 exec_lo, exec_lo, s2
                                        ; implicit-def: $vgpr8
.LBB104_205:
	s_and_not1_saveexec_b32 s1, s1
	s_cbranch_execz .LBB104_207
; %bb.206:
	v_mov_b32_e32 v0, 0
	global_store_b16 v0, v8, s[6:7]
.LBB104_207:
	s_or_b32 exec_lo, exec_lo, s1
                                        ; implicit-def: $vgpr0_vgpr1
                                        ; implicit-def: $vgpr7
                                        ; implicit-def: $vgpr4
                                        ; implicit-def: $vgpr5
.LBB104_208:
	s_and_not1_saveexec_b32 s0, s0
	s_cbranch_execz .LBB104_216
; %bb.209:
	s_mov_b32 s0, exec_lo
	v_cmpx_lt_i64_e32 1, v[0:1]
	s_xor_b32 s0, exec_lo, s0
	s_cbranch_execz .LBB104_211
; %bb.210:
	v_mov_b32_e32 v0, 0
                                        ; implicit-def: $vgpr4
                                        ; implicit-def: $vgpr5
	global_store_b16 v0, v7, s[6:7]
                                        ; implicit-def: $vgpr0_vgpr1
.LBB104_211:
	s_and_not1_saveexec_b32 s0, s0
	s_cbranch_execz .LBB104_216
; %bb.212:
	s_mov_b32 s0, exec_lo
	v_cmpx_ne_u64_e32 1, v[0:1]
	s_xor_b32 s0, exec_lo, s0
	s_cbranch_execz .LBB104_214
; %bb.213:
	v_mov_b32_e32 v0, 0
                                        ; implicit-def: $vgpr4
	global_store_b16 v0, v5, s[6:7]
.LBB104_214:
	s_and_not1_saveexec_b32 s0, s0
	s_cbranch_execz .LBB104_216
; %bb.215:
	v_mov_b32_e32 v0, 0
	global_store_b16 v0, v4, s[6:7]
.LBB104_216:
	s_nop 0
	s_sendmsg sendmsg(MSG_DEALLOC_VGPRS)
	s_endpgm
	.section	.rodata,"a",@progbits
	.p2align	6, 0x0
	.amdhsa_kernel _ZN7rocprim17ROCPRIM_304000_NS6detail20lookback_scan_kernelILNS1_25lookback_scan_determinismE0ELb0ENS1_19wrapped_scan_configINS0_14default_configEN3c104HalfEEEPKS7_PS7_St4plusIS7_ES7_S7_NS1_19lookback_scan_stateIS7_Lb0ELb1EEEEEvT2_T3_mT5_T4_T7_jPT6_SM_bb
		.amdhsa_group_segment_fixed_size 2816
		.amdhsa_private_segment_fixed_size 0
		.amdhsa_kernarg_size 68
		.amdhsa_user_sgpr_count 15
		.amdhsa_user_sgpr_dispatch_ptr 0
		.amdhsa_user_sgpr_queue_ptr 0
		.amdhsa_user_sgpr_kernarg_segment_ptr 1
		.amdhsa_user_sgpr_dispatch_id 0
		.amdhsa_user_sgpr_private_segment_size 0
		.amdhsa_wavefront_size32 1
		.amdhsa_uses_dynamic_stack 0
		.amdhsa_enable_private_segment 0
		.amdhsa_system_sgpr_workgroup_id_x 1
		.amdhsa_system_sgpr_workgroup_id_y 0
		.amdhsa_system_sgpr_workgroup_id_z 0
		.amdhsa_system_sgpr_workgroup_info 0
		.amdhsa_system_vgpr_workitem_id 0
		.amdhsa_next_free_vgpr 53
		.amdhsa_next_free_sgpr 20
		.amdhsa_reserve_vcc 1
		.amdhsa_float_round_mode_32 0
		.amdhsa_float_round_mode_16_64 0
		.amdhsa_float_denorm_mode_32 3
		.amdhsa_float_denorm_mode_16_64 3
		.amdhsa_dx10_clamp 1
		.amdhsa_ieee_mode 1
		.amdhsa_fp16_overflow 0
		.amdhsa_workgroup_processor_mode 1
		.amdhsa_memory_ordered 1
		.amdhsa_forward_progress 0
		.amdhsa_shared_vgpr_count 0
		.amdhsa_exception_fp_ieee_invalid_op 0
		.amdhsa_exception_fp_denorm_src 0
		.amdhsa_exception_fp_ieee_div_zero 0
		.amdhsa_exception_fp_ieee_overflow 0
		.amdhsa_exception_fp_ieee_underflow 0
		.amdhsa_exception_fp_ieee_inexact 0
		.amdhsa_exception_int_div_zero 0
	.end_amdhsa_kernel
	.section	.text._ZN7rocprim17ROCPRIM_304000_NS6detail20lookback_scan_kernelILNS1_25lookback_scan_determinismE0ELb0ENS1_19wrapped_scan_configINS0_14default_configEN3c104HalfEEEPKS7_PS7_St4plusIS7_ES7_S7_NS1_19lookback_scan_stateIS7_Lb0ELb1EEEEEvT2_T3_mT5_T4_T7_jPT6_SM_bb,"axG",@progbits,_ZN7rocprim17ROCPRIM_304000_NS6detail20lookback_scan_kernelILNS1_25lookback_scan_determinismE0ELb0ENS1_19wrapped_scan_configINS0_14default_configEN3c104HalfEEEPKS7_PS7_St4plusIS7_ES7_S7_NS1_19lookback_scan_stateIS7_Lb0ELb1EEEEEvT2_T3_mT5_T4_T7_jPT6_SM_bb,comdat
.Lfunc_end104:
	.size	_ZN7rocprim17ROCPRIM_304000_NS6detail20lookback_scan_kernelILNS1_25lookback_scan_determinismE0ELb0ENS1_19wrapped_scan_configINS0_14default_configEN3c104HalfEEEPKS7_PS7_St4plusIS7_ES7_S7_NS1_19lookback_scan_stateIS7_Lb0ELb1EEEEEvT2_T3_mT5_T4_T7_jPT6_SM_bb, .Lfunc_end104-_ZN7rocprim17ROCPRIM_304000_NS6detail20lookback_scan_kernelILNS1_25lookback_scan_determinismE0ELb0ENS1_19wrapped_scan_configINS0_14default_configEN3c104HalfEEEPKS7_PS7_St4plusIS7_ES7_S7_NS1_19lookback_scan_stateIS7_Lb0ELb1EEEEEvT2_T3_mT5_T4_T7_jPT6_SM_bb
                                        ; -- End function
	.section	.AMDGPU.csdata,"",@progbits
; Kernel info:
; codeLenInByte = 8232
; NumSgprs: 22
; NumVgprs: 53
; ScratchSize: 0
; MemoryBound: 0
; FloatMode: 240
; IeeeMode: 1
; LDSByteSize: 2816 bytes/workgroup (compile time only)
; SGPRBlocks: 2
; VGPRBlocks: 6
; NumSGPRsForWavesPerEU: 22
; NumVGPRsForWavesPerEU: 53
; Occupancy: 16
; WaveLimiterHint : 1
; COMPUTE_PGM_RSRC2:SCRATCH_EN: 0
; COMPUTE_PGM_RSRC2:USER_SGPR: 15
; COMPUTE_PGM_RSRC2:TRAP_HANDLER: 0
; COMPUTE_PGM_RSRC2:TGID_X_EN: 1
; COMPUTE_PGM_RSRC2:TGID_Y_EN: 0
; COMPUTE_PGM_RSRC2:TGID_Z_EN: 0
; COMPUTE_PGM_RSRC2:TIDIG_COMP_CNT: 0
	.section	.text._ZN7rocprim17ROCPRIM_304000_NS6detail16transform_kernelINS1_24wrapped_transform_configINS0_14default_configEN3c104HalfEEES6_PS6_S8_NS0_8identityIS6_EEEEvT1_mT2_T3_,"axG",@progbits,_ZN7rocprim17ROCPRIM_304000_NS6detail16transform_kernelINS1_24wrapped_transform_configINS0_14default_configEN3c104HalfEEES6_PS6_S8_NS0_8identityIS6_EEEEvT1_mT2_T3_,comdat
	.protected	_ZN7rocprim17ROCPRIM_304000_NS6detail16transform_kernelINS1_24wrapped_transform_configINS0_14default_configEN3c104HalfEEES6_PS6_S8_NS0_8identityIS6_EEEEvT1_mT2_T3_ ; -- Begin function _ZN7rocprim17ROCPRIM_304000_NS6detail16transform_kernelINS1_24wrapped_transform_configINS0_14default_configEN3c104HalfEEES6_PS6_S8_NS0_8identityIS6_EEEEvT1_mT2_T3_
	.globl	_ZN7rocprim17ROCPRIM_304000_NS6detail16transform_kernelINS1_24wrapped_transform_configINS0_14default_configEN3c104HalfEEES6_PS6_S8_NS0_8identityIS6_EEEEvT1_mT2_T3_
	.p2align	8
	.type	_ZN7rocprim17ROCPRIM_304000_NS6detail16transform_kernelINS1_24wrapped_transform_configINS0_14default_configEN3c104HalfEEES6_PS6_S8_NS0_8identityIS6_EEEEvT1_mT2_T3_,@function
_ZN7rocprim17ROCPRIM_304000_NS6detail16transform_kernelINS1_24wrapped_transform_configINS0_14default_configEN3c104HalfEEES6_PS6_S8_NS0_8identityIS6_EEEEvT1_mT2_T3_: ; @_ZN7rocprim17ROCPRIM_304000_NS6detail16transform_kernelINS1_24wrapped_transform_configINS0_14default_configEN3c104HalfEEES6_PS6_S8_NS0_8identityIS6_EEEEvT1_mT2_T3_
; %bb.0:
	s_clause 0x2
	s_load_b32 s10, s[0:1], 0x20
	s_load_b128 s[4:7], s[0:1], 0x0
	s_load_b64 s[0:1], s[0:1], 0x10
	s_mov_b32 s9, 0
	s_lshl_b32 s8, s15, 11
	v_lshlrev_b32_e32 v3, 1, v0
	s_lshl_b64 s[2:3], s[8:9], 1
	s_waitcnt lgkmcnt(0)
	s_add_i32 s10, s10, -1
	s_add_u32 s4, s4, s2
	s_addc_u32 s5, s5, s3
	v_add_co_u32 v1, s4, s4, v3
	s_delay_alu instid0(VALU_DEP_1)
	v_add_co_ci_u32_e64 v2, null, s5, 0, s4
	s_cmp_lg_u32 s15, s10
	s_mov_b32 s4, -1
	s_cbranch_scc0 .LBB105_2
; %bb.1:
	s_clause 0x1
	global_load_u16 v5, v[1:2], off
	global_load_u16 v4, v[1:2], off offset:2048
	s_add_u32 s10, s0, s2
	s_addc_u32 s11, s1, s3
	s_mov_b32 s9, -1
	s_waitcnt vmcnt(1)
	global_store_b16 v3, v5, s[10:11]
	s_cbranch_execz .LBB105_3
	s_branch .LBB105_10
.LBB105_2:
                                        ; implicit-def: $vgpr4
	s_and_not1_b32 vcc_lo, exec_lo, s4
	s_cbranch_vccnz .LBB105_10
.LBB105_3:
	s_sub_i32 s4, s6, s8
                                        ; implicit-def: $vgpr5
	s_delay_alu instid0(SALU_CYCLE_1)
	v_cmp_gt_u32_e32 vcc_lo, s4, v0
	s_and_saveexec_b32 s5, vcc_lo
	s_cbranch_execz .LBB105_5
; %bb.4:
	global_load_u16 v5, v[1:2], off
.LBB105_5:
	s_or_b32 exec_lo, exec_lo, s5
	v_or_b32_e32 v0, 0x400, v0
                                        ; implicit-def: $vgpr4
	s_delay_alu instid0(VALU_DEP_1) | instskip(NEXT) | instid1(VALU_DEP_1)
	v_cmp_gt_u32_e64 s9, s4, v0
	s_and_saveexec_b32 s4, s9
	s_cbranch_execz .LBB105_7
; %bb.6:
	global_load_u16 v4, v[1:2], off offset:2048
.LBB105_7:
	s_or_b32 exec_lo, exec_lo, s4
	s_and_saveexec_b32 s4, vcc_lo
	s_delay_alu instid0(SALU_CYCLE_1)
	s_xor_b32 s4, exec_lo, s4
	s_cbranch_execz .LBB105_9
; %bb.8:
	s_add_u32 s6, s0, s2
	s_addc_u32 s7, s1, s3
	s_waitcnt vmcnt(0)
	global_store_b16 v3, v5, s[6:7]
.LBB105_9:
	s_or_b32 exec_lo, exec_lo, s4
.LBB105_10:
	s_and_saveexec_b32 s4, s9
	s_cbranch_execnz .LBB105_12
; %bb.11:
	s_nop 0
	s_sendmsg sendmsg(MSG_DEALLOC_VGPRS)
	s_endpgm
.LBB105_12:
	s_add_u32 s0, s0, s2
	s_addc_u32 s1, s1, s3
	s_waitcnt vmcnt(0)
	global_store_b16 v3, v4, s[0:1] offset:2048
	s_nop 0
	s_sendmsg sendmsg(MSG_DEALLOC_VGPRS)
	s_endpgm
	.section	.rodata,"a",@progbits
	.p2align	6, 0x0
	.amdhsa_kernel _ZN7rocprim17ROCPRIM_304000_NS6detail16transform_kernelINS1_24wrapped_transform_configINS0_14default_configEN3c104HalfEEES6_PS6_S8_NS0_8identityIS6_EEEEvT1_mT2_T3_
		.amdhsa_group_segment_fixed_size 0
		.amdhsa_private_segment_fixed_size 0
		.amdhsa_kernarg_size 288
		.amdhsa_user_sgpr_count 15
		.amdhsa_user_sgpr_dispatch_ptr 0
		.amdhsa_user_sgpr_queue_ptr 0
		.amdhsa_user_sgpr_kernarg_segment_ptr 1
		.amdhsa_user_sgpr_dispatch_id 0
		.amdhsa_user_sgpr_private_segment_size 0
		.amdhsa_wavefront_size32 1
		.amdhsa_uses_dynamic_stack 0
		.amdhsa_enable_private_segment 0
		.amdhsa_system_sgpr_workgroup_id_x 1
		.amdhsa_system_sgpr_workgroup_id_y 0
		.amdhsa_system_sgpr_workgroup_id_z 0
		.amdhsa_system_sgpr_workgroup_info 0
		.amdhsa_system_vgpr_workitem_id 0
		.amdhsa_next_free_vgpr 6
		.amdhsa_next_free_sgpr 16
		.amdhsa_reserve_vcc 1
		.amdhsa_float_round_mode_32 0
		.amdhsa_float_round_mode_16_64 0
		.amdhsa_float_denorm_mode_32 3
		.amdhsa_float_denorm_mode_16_64 3
		.amdhsa_dx10_clamp 1
		.amdhsa_ieee_mode 1
		.amdhsa_fp16_overflow 0
		.amdhsa_workgroup_processor_mode 1
		.amdhsa_memory_ordered 1
		.amdhsa_forward_progress 0
		.amdhsa_shared_vgpr_count 0
		.amdhsa_exception_fp_ieee_invalid_op 0
		.amdhsa_exception_fp_denorm_src 0
		.amdhsa_exception_fp_ieee_div_zero 0
		.amdhsa_exception_fp_ieee_overflow 0
		.amdhsa_exception_fp_ieee_underflow 0
		.amdhsa_exception_fp_ieee_inexact 0
		.amdhsa_exception_int_div_zero 0
	.end_amdhsa_kernel
	.section	.text._ZN7rocprim17ROCPRIM_304000_NS6detail16transform_kernelINS1_24wrapped_transform_configINS0_14default_configEN3c104HalfEEES6_PS6_S8_NS0_8identityIS6_EEEEvT1_mT2_T3_,"axG",@progbits,_ZN7rocprim17ROCPRIM_304000_NS6detail16transform_kernelINS1_24wrapped_transform_configINS0_14default_configEN3c104HalfEEES6_PS6_S8_NS0_8identityIS6_EEEEvT1_mT2_T3_,comdat
.Lfunc_end105:
	.size	_ZN7rocprim17ROCPRIM_304000_NS6detail16transform_kernelINS1_24wrapped_transform_configINS0_14default_configEN3c104HalfEEES6_PS6_S8_NS0_8identityIS6_EEEEvT1_mT2_T3_, .Lfunc_end105-_ZN7rocprim17ROCPRIM_304000_NS6detail16transform_kernelINS1_24wrapped_transform_configINS0_14default_configEN3c104HalfEEES6_PS6_S8_NS0_8identityIS6_EEEEvT1_mT2_T3_
                                        ; -- End function
	.section	.AMDGPU.csdata,"",@progbits
; Kernel info:
; codeLenInByte = 316
; NumSgprs: 18
; NumVgprs: 6
; ScratchSize: 0
; MemoryBound: 0
; FloatMode: 240
; IeeeMode: 1
; LDSByteSize: 0 bytes/workgroup (compile time only)
; SGPRBlocks: 2
; VGPRBlocks: 0
; NumSGPRsForWavesPerEU: 18
; NumVGPRsForWavesPerEU: 6
; Occupancy: 16
; WaveLimiterHint : 1
; COMPUTE_PGM_RSRC2:SCRATCH_EN: 0
; COMPUTE_PGM_RSRC2:USER_SGPR: 15
; COMPUTE_PGM_RSRC2:TRAP_HANDLER: 0
; COMPUTE_PGM_RSRC2:TGID_X_EN: 1
; COMPUTE_PGM_RSRC2:TGID_Y_EN: 0
; COMPUTE_PGM_RSRC2:TGID_Z_EN: 0
; COMPUTE_PGM_RSRC2:TIDIG_COMP_CNT: 0
	.section	.text._ZN7rocprim17ROCPRIM_304000_NS6detail18single_scan_kernelILb0ENS1_19wrapped_scan_configINS0_14default_configEN3c104HalfEEEPKS6_PS6_St4plusIS6_ES6_S6_EEvT1_mT4_T2_T3_,"axG",@progbits,_ZN7rocprim17ROCPRIM_304000_NS6detail18single_scan_kernelILb0ENS1_19wrapped_scan_configINS0_14default_configEN3c104HalfEEEPKS6_PS6_St4plusIS6_ES6_S6_EEvT1_mT4_T2_T3_,comdat
	.protected	_ZN7rocprim17ROCPRIM_304000_NS6detail18single_scan_kernelILb0ENS1_19wrapped_scan_configINS0_14default_configEN3c104HalfEEEPKS6_PS6_St4plusIS6_ES6_S6_EEvT1_mT4_T2_T3_ ; -- Begin function _ZN7rocprim17ROCPRIM_304000_NS6detail18single_scan_kernelILb0ENS1_19wrapped_scan_configINS0_14default_configEN3c104HalfEEEPKS6_PS6_St4plusIS6_ES6_S6_EEvT1_mT4_T2_T3_
	.globl	_ZN7rocprim17ROCPRIM_304000_NS6detail18single_scan_kernelILb0ENS1_19wrapped_scan_configINS0_14default_configEN3c104HalfEEEPKS6_PS6_St4plusIS6_ES6_S6_EEvT1_mT4_T2_T3_
	.p2align	8
	.type	_ZN7rocprim17ROCPRIM_304000_NS6detail18single_scan_kernelILb0ENS1_19wrapped_scan_configINS0_14default_configEN3c104HalfEEEPKS6_PS6_St4plusIS6_ES6_S6_EEvT1_mT4_T2_T3_,@function
_ZN7rocprim17ROCPRIM_304000_NS6detail18single_scan_kernelILb0ENS1_19wrapped_scan_configINS0_14default_configEN3c104HalfEEEPKS6_PS6_St4plusIS6_ES6_S6_EEvT1_mT4_T2_T3_: ; @_ZN7rocprim17ROCPRIM_304000_NS6detail18single_scan_kernelILb0ENS1_19wrapped_scan_configINS0_14default_configEN3c104HalfEEEPKS6_PS6_St4plusIS6_ES6_S6_EEvT1_mT4_T2_T3_
; %bb.0:
	s_load_b128 s[20:23], s[0:1], 0x0
	v_mov_b32_e32 v1, 0
	v_lshlrev_b32_e32 v11, 1, v0
	s_waitcnt lgkmcnt(0)
	global_load_u16 v3, v1, s[20:21]
	v_add_co_u32 v1, s2, s20, v11
	s_delay_alu instid0(VALU_DEP_1)
	v_add_co_ci_u32_e64 v2, null, s21, 0, s2
	v_cmp_gt_u32_e32 vcc_lo, s22, v0
	s_waitcnt vmcnt(0)
	v_mov_b32_e32 v4, v3
	s_and_saveexec_b32 s2, vcc_lo
	s_cbranch_execz .LBB106_2
; %bb.1:
	global_load_u16 v4, v[1:2], off
.LBB106_2:
	s_or_b32 exec_lo, exec_lo, s2
	v_or_b32_e32 v5, 64, v0
	s_delay_alu instid0(VALU_DEP_1) | instskip(SKIP_1) | instid1(VALU_DEP_2)
	v_cmp_gt_u32_e64 s2, s22, v5
	v_mov_b32_e32 v5, v3
	s_and_saveexec_b32 s3, s2
	s_cbranch_execz .LBB106_4
; %bb.3:
	global_load_u16 v5, v[1:2], off offset:128
.LBB106_4:
	s_or_b32 exec_lo, exec_lo, s3
	v_or_b32_e32 v6, 0x80, v0
	s_delay_alu instid0(VALU_DEP_1) | instskip(SKIP_1) | instid1(VALU_DEP_2)
	v_cmp_gt_u32_e64 s3, s22, v6
	v_mov_b32_e32 v6, v3
	s_and_saveexec_b32 s4, s3
	s_cbranch_execz .LBB106_6
; %bb.5:
	global_load_u16 v6, v[1:2], off offset:256
.LBB106_6:
	;; [unrolled: 10-line block ×20, first 2 shown]
	s_or_b32 exec_lo, exec_lo, s23
	v_or_b32_e32 v26, 0x540, v0
	s_delay_alu instid0(VALU_DEP_1) | instskip(NEXT) | instid1(VALU_DEP_1)
	v_cmp_gt_u32_e64 s22, s22, v26
	s_and_saveexec_b32 s23, s22
	s_cbranch_execz .LBB106_44
; %bb.43:
	global_load_u16 v3, v[1:2], off offset:2688
.LBB106_44:
	s_or_b32 exec_lo, exec_lo, s23
	s_waitcnt vmcnt(0)
	ds_store_b16 v11, v4
	ds_store_b16 v11, v5 offset:128
	ds_store_b16 v11, v6 offset:256
	;; [unrolled: 1-line block ×15, first 2 shown]
	v_mad_u32_u24 v12, v0, 42, v11
	ds_store_b16 v11, v21 offset:2048
	ds_store_b16 v11, v22 offset:2176
	;; [unrolled: 1-line block ×6, first 2 shown]
	s_waitcnt lgkmcnt(0)
	s_barrier
	buffer_gl0_inv
	ds_load_2addr_b32 v[7:8], v12 offset1:1
	ds_load_2addr_b32 v[5:6], v12 offset0:2 offset1:3
	ds_load_2addr_b32 v[3:4], v12 offset0:4 offset1:5
	;; [unrolled: 1-line block ×3, first 2 shown]
	v_lshrrev_b32_e32 v25, 4, v0
	s_mov_b32 s24, exec_lo
	s_delay_alu instid0(VALU_DEP_1) | instskip(NEXT) | instid1(VALU_DEP_1)
	v_and_b32_e32 v25, 2, v25
	v_add_nc_u32_e32 v27, v11, v25
	s_waitcnt lgkmcnt(3)
	v_lshrrev_b32_e32 v15, 16, v7
	v_lshrrev_b32_e32 v16, 16, v8
	s_waitcnt lgkmcnt(2)
	v_lshrrev_b32_e32 v17, 16, v5
	v_lshrrev_b32_e32 v18, 16, v6
	s_waitcnt lgkmcnt(1)
	v_lshrrev_b32_e32 v19, 16, v3
	v_add_f16_e32 v9, v7, v15
	v_lshrrev_b32_e32 v20, 16, v4
	s_waitcnt lgkmcnt(0)
	v_lshrrev_b32_e32 v22, 16, v1
	v_lshrrev_b32_e32 v23, 16, v2
	v_add_f16_e32 v9, v9, v8
	s_delay_alu instid0(VALU_DEP_1) | instskip(NEXT) | instid1(VALU_DEP_1)
	v_add_f16_e32 v9, v9, v16
	v_add_f16_e32 v9, v9, v5
	s_delay_alu instid0(VALU_DEP_1) | instskip(NEXT) | instid1(VALU_DEP_1)
	v_add_f16_e32 v9, v9, v17
	;; [unrolled: 3-line block ×4, first 2 shown]
	v_add_f16_e32 v9, v9, v4
	s_delay_alu instid0(VALU_DEP_1) | instskip(SKIP_2) | instid1(VALU_DEP_1)
	v_add_f16_e32 v13, v9, v20
	ds_load_2addr_b32 v[9:10], v12 offset0:8 offset1:9
	v_add_f16_e32 v13, v13, v1
	v_add_f16_e32 v13, v13, v22
	s_delay_alu instid0(VALU_DEP_1) | instskip(NEXT) | instid1(VALU_DEP_1)
	v_add_f16_e32 v13, v13, v2
	v_add_f16_e32 v14, v13, v23
	ds_load_b32 v13, v12 offset:40
	s_waitcnt lgkmcnt(1)
	v_lshrrev_b32_e32 v24, 16, v9
	v_lshrrev_b32_e32 v21, 16, v10
	s_waitcnt lgkmcnt(0)
	v_add_f16_e32 v14, v14, v9
	s_barrier
	buffer_gl0_inv
	v_add_f16_e32 v14, v14, v24
	s_delay_alu instid0(VALU_DEP_1) | instskip(NEXT) | instid1(VALU_DEP_1)
	v_add_f16_e32 v14, v14, v10
	v_add_f16_e32 v26, v14, v21
	v_lshrrev_b32_e32 v14, 16, v13
	s_delay_alu instid0(VALU_DEP_2) | instskip(NEXT) | instid1(VALU_DEP_1)
	v_add_f16_e32 v26, v26, v13
	v_add_f16_e32 v25, v26, v14
	ds_store_b16 v27, v25
	s_waitcnt lgkmcnt(0)
	s_barrier
	buffer_gl0_inv
	v_cmpx_gt_u32_e32 32, v0
	s_cbranch_execz .LBB106_46
; %bb.45:
	v_lshrrev_b32_e32 v26, 3, v0
	v_mbcnt_lo_u32_b32 v31, -1, 0
	s_delay_alu instid0(VALU_DEP_2) | instskip(NEXT) | instid1(VALU_DEP_2)
	v_and_b32_e32 v26, 6, v26
	v_and_b32_e32 v32, 15, v31
	v_add_nc_u32_e32 v33, -1, v31
	s_delay_alu instid0(VALU_DEP_3) | instskip(NEXT) | instid1(VALU_DEP_3)
	v_lshl_or_b32 v26, v0, 2, v26
	v_cmp_eq_u32_e64 s23, 0, v32
	ds_load_u16 v27, v26
	ds_load_u16 v28, v26 offset:2
	s_waitcnt lgkmcnt(0)
	v_add_f16_e32 v29, v27, v28
	s_delay_alu instid0(VALU_DEP_1) | instskip(NEXT) | instid1(VALU_DEP_1)
	v_and_b32_e32 v30, 0xffff, v29
	v_mov_b32_dpp v30, v30 row_shr:1 row_mask:0xf bank_mask:0xf
	s_delay_alu instid0(VALU_DEP_1) | instskip(NEXT) | instid1(VALU_DEP_1)
	v_add_f16_e32 v30, v29, v30
	v_cndmask_b32_e64 v29, v30, v29, s23
	v_cmp_lt_u32_e64 s23, 1, v32
	s_delay_alu instid0(VALU_DEP_2) | instskip(NEXT) | instid1(VALU_DEP_1)
	v_and_b32_e32 v30, 0xffff, v29
	v_mov_b32_dpp v30, v30 row_shr:2 row_mask:0xf bank_mask:0xf
	s_delay_alu instid0(VALU_DEP_1) | instskip(NEXT) | instid1(VALU_DEP_1)
	v_add_f16_e32 v30, v29, v30
	v_cndmask_b32_e64 v29, v29, v30, s23
	v_cmp_lt_u32_e64 s23, 3, v32
	s_delay_alu instid0(VALU_DEP_2) | instskip(NEXT) | instid1(VALU_DEP_1)
	v_and_b32_e32 v30, 0xffff, v29
	v_mov_b32_dpp v30, v30 row_shr:4 row_mask:0xf bank_mask:0xf
	s_delay_alu instid0(VALU_DEP_1) | instskip(NEXT) | instid1(VALU_DEP_1)
	v_add_f16_e32 v30, v29, v30
	v_cndmask_b32_e64 v29, v29, v30, s23
	v_cmp_lt_u32_e64 s23, 7, v32
	v_and_b32_e32 v32, 16, v31
	s_delay_alu instid0(VALU_DEP_3) | instskip(NEXT) | instid1(VALU_DEP_1)
	v_and_b32_e32 v30, 0xffff, v29
	v_mov_b32_dpp v30, v30 row_shr:8 row_mask:0xf bank_mask:0xf
	s_delay_alu instid0(VALU_DEP_1) | instskip(NEXT) | instid1(VALU_DEP_1)
	v_add_f16_e32 v30, v29, v30
	v_cndmask_b32_e64 v29, v29, v30, s23
	v_cmp_eq_u32_e64 s23, 0, v32
	s_delay_alu instid0(VALU_DEP_2) | instskip(SKIP_3) | instid1(VALU_DEP_1)
	v_and_b32_e32 v30, 0xffff, v29
	ds_swizzle_b32 v30, v30 offset:swizzle(BROADCAST,32,15)
	s_waitcnt lgkmcnt(0)
	v_add_f16_e32 v30, v29, v30
	v_cndmask_b32_e64 v29, v30, v29, s23
	v_cmp_gt_i32_e64 s23, 0, v33
	s_delay_alu instid0(VALU_DEP_2) | instskip(NEXT) | instid1(VALU_DEP_2)
	v_and_b32_e32 v29, 0xffff, v29
	v_cndmask_b32_e64 v30, v33, v31, s23
	v_cmp_eq_u32_e64 s23, 0, v0
	s_delay_alu instid0(VALU_DEP_2) | instskip(SKIP_3) | instid1(VALU_DEP_1)
	v_lshlrev_b32_e32 v30, 2, v30
	ds_bpermute_b32 v29, v30, v29
	s_waitcnt lgkmcnt(0)
	v_add_f16_e32 v27, v27, v29
	v_cndmask_b32_e64 v27, v27, v25, s23
	s_delay_alu instid0(VALU_DEP_1)
	v_add_f16_e32 v28, v28, v27
	ds_store_b16 v26, v27
	ds_store_b16 v26, v28 offset:2
.LBB106_46:
	s_or_b32 exec_lo, exec_lo, s24
	v_cmp_eq_u32_e64 s23, 0, v0
	s_mov_b32 s25, exec_lo
	s_waitcnt lgkmcnt(0)
	s_barrier
	buffer_gl0_inv
	v_cmpx_ne_u32_e32 0, v0
	s_cbranch_execz .LBB106_48
; %bb.47:
	v_add_nc_u32_e32 v25, -1, v0
	s_delay_alu instid0(VALU_DEP_1) | instskip(NEXT) | instid1(VALU_DEP_1)
	v_lshrrev_b32_e32 v26, 5, v25
	v_add_lshl_u32 v25, v26, v25, 1
	ds_load_u16 v25, v25
.LBB106_48:
	s_or_b32 exec_lo, exec_lo, s25
	s_waitcnt lgkmcnt(0)
	v_add_f16_e32 v25, v7, v25
	v_mad_i32_i24 v0, 0xffffffd6, v0, v12
	s_barrier
	buffer_gl0_inv
	v_cndmask_b32_e64 v7, v25, v7, s23
	s_load_b64 s[0:1], s[0:1], 0x18
	s_delay_alu instid0(VALU_DEP_1) | instskip(NEXT) | instid1(VALU_DEP_1)
	v_add_f16_e32 v15, v15, v7
	v_add_f16_e32 v8, v8, v15
	v_perm_b32 v7, v15, v7, 0x5040100
	s_delay_alu instid0(VALU_DEP_2) | instskip(NEXT) | instid1(VALU_DEP_1)
	v_add_f16_e32 v16, v16, v8
	v_add_f16_e32 v5, v5, v16
	v_pack_b32_f16 v8, v8, v16
	s_delay_alu instid0(VALU_DEP_2) | instskip(NEXT) | instid1(VALU_DEP_1)
	v_add_f16_e32 v17, v17, v5
	v_add_f16_e32 v6, v6, v17
	v_pack_b32_f16 v5, v5, v17
	;; [unrolled: 4-line block ×9, first 2 shown]
	s_delay_alu instid0(VALU_DEP_2) | instskip(NEXT) | instid1(VALU_DEP_1)
	v_add_f16_e32 v14, v14, v13
	v_pack_b32_f16 v13, v13, v14
	ds_store_2addr_b32 v12, v7, v8 offset1:1
	ds_store_2addr_b32 v12, v5, v6 offset0:2 offset1:3
	ds_store_2addr_b32 v12, v3, v4 offset0:4 offset1:5
	;; [unrolled: 1-line block ×4, first 2 shown]
	ds_store_b32 v12, v13 offset:40
	s_waitcnt lgkmcnt(0)
	s_barrier
	buffer_gl0_inv
	ds_load_u16 v22, v0 offset:256
	ds_load_u16 v21, v0 offset:384
	;; [unrolled: 1-line block ×21, first 2 shown]
	v_add_co_u32 v0, s0, s0, v11
	s_delay_alu instid0(VALU_DEP_1)
	v_add_co_ci_u32_e64 v1, null, s1, 0, s0
	s_and_saveexec_b32 s0, vcc_lo
	s_cbranch_execnz .LBB106_71
; %bb.49:
	s_or_b32 exec_lo, exec_lo, s0
	s_and_saveexec_b32 s0, s2
	s_cbranch_execnz .LBB106_72
.LBB106_50:
	s_or_b32 exec_lo, exec_lo, s0
	s_and_saveexec_b32 s0, s3
	s_cbranch_execnz .LBB106_73
.LBB106_51:
	s_or_b32 exec_lo, exec_lo, s0
	s_and_saveexec_b32 s0, s4
	s_cbranch_execnz .LBB106_74
.LBB106_52:
	s_or_b32 exec_lo, exec_lo, s0
	s_and_saveexec_b32 s0, s5
	s_cbranch_execnz .LBB106_75
.LBB106_53:
	s_or_b32 exec_lo, exec_lo, s0
	s_and_saveexec_b32 s0, s6
	s_cbranch_execnz .LBB106_76
.LBB106_54:
	s_or_b32 exec_lo, exec_lo, s0
	s_and_saveexec_b32 s0, s7
	s_cbranch_execnz .LBB106_77
.LBB106_55:
	s_or_b32 exec_lo, exec_lo, s0
	s_and_saveexec_b32 s0, s8
	s_cbranch_execnz .LBB106_78
.LBB106_56:
	s_or_b32 exec_lo, exec_lo, s0
	s_and_saveexec_b32 s0, s9
	s_cbranch_execnz .LBB106_79
.LBB106_57:
	s_or_b32 exec_lo, exec_lo, s0
	s_and_saveexec_b32 s0, s10
	s_cbranch_execnz .LBB106_80
.LBB106_58:
	s_or_b32 exec_lo, exec_lo, s0
	s_and_saveexec_b32 s0, s11
	s_cbranch_execnz .LBB106_81
.LBB106_59:
	s_or_b32 exec_lo, exec_lo, s0
	s_and_saveexec_b32 s0, s12
	s_cbranch_execnz .LBB106_82
.LBB106_60:
	s_or_b32 exec_lo, exec_lo, s0
	s_and_saveexec_b32 s0, s13
	s_cbranch_execnz .LBB106_83
.LBB106_61:
	s_or_b32 exec_lo, exec_lo, s0
	s_and_saveexec_b32 s0, s14
	s_cbranch_execnz .LBB106_84
.LBB106_62:
	s_or_b32 exec_lo, exec_lo, s0
	s_and_saveexec_b32 s0, s15
	s_cbranch_execnz .LBB106_85
.LBB106_63:
	s_or_b32 exec_lo, exec_lo, s0
	s_and_saveexec_b32 s0, s16
	s_cbranch_execnz .LBB106_86
.LBB106_64:
	s_or_b32 exec_lo, exec_lo, s0
	s_and_saveexec_b32 s0, s17
	s_cbranch_execnz .LBB106_87
.LBB106_65:
	s_or_b32 exec_lo, exec_lo, s0
	s_and_saveexec_b32 s0, s18
	s_cbranch_execnz .LBB106_88
.LBB106_66:
	s_or_b32 exec_lo, exec_lo, s0
	s_and_saveexec_b32 s0, s19
	s_cbranch_execnz .LBB106_89
.LBB106_67:
	s_or_b32 exec_lo, exec_lo, s0
	s_and_saveexec_b32 s0, s20
	s_cbranch_execnz .LBB106_90
.LBB106_68:
	s_or_b32 exec_lo, exec_lo, s0
	s_and_saveexec_b32 s0, s21
	s_cbranch_execnz .LBB106_91
.LBB106_69:
	s_or_b32 exec_lo, exec_lo, s0
	s_and_saveexec_b32 s0, s22
	s_cbranch_execnz .LBB106_92
.LBB106_70:
	s_nop 0
	s_sendmsg sendmsg(MSG_DEALLOC_VGPRS)
	s_endpgm
.LBB106_71:
	ds_load_u16 v11, v11
	s_waitcnt lgkmcnt(0)
	global_store_b16 v[0:1], v11, off
	s_or_b32 exec_lo, exec_lo, s0
	s_and_saveexec_b32 s0, s2
	s_cbranch_execz .LBB106_50
.LBB106_72:
	s_waitcnt lgkmcnt(6)
	global_store_b16 v[0:1], v23, off offset:128
	s_or_b32 exec_lo, exec_lo, s0
	s_and_saveexec_b32 s0, s3
	s_cbranch_execz .LBB106_51
.LBB106_73:
	s_waitcnt lgkmcnt(20)
	global_store_b16 v[0:1], v22, off offset:256
	s_or_b32 exec_lo, exec_lo, s0
	s_and_saveexec_b32 s0, s4
	s_cbranch_execz .LBB106_52
.LBB106_74:
	s_waitcnt lgkmcnt(19)
	global_store_b16 v[0:1], v21, off offset:384
	s_or_b32 exec_lo, exec_lo, s0
	s_and_saveexec_b32 s0, s5
	s_cbranch_execz .LBB106_53
.LBB106_75:
	s_waitcnt lgkmcnt(18)
	global_store_b16 v[0:1], v20, off offset:512
	s_or_b32 exec_lo, exec_lo, s0
	s_and_saveexec_b32 s0, s6
	s_cbranch_execz .LBB106_54
.LBB106_76:
	s_waitcnt lgkmcnt(17)
	global_store_b16 v[0:1], v19, off offset:640
	s_or_b32 exec_lo, exec_lo, s0
	s_and_saveexec_b32 s0, s7
	s_cbranch_execz .LBB106_55
.LBB106_77:
	s_waitcnt lgkmcnt(16)
	global_store_b16 v[0:1], v18, off offset:768
	s_or_b32 exec_lo, exec_lo, s0
	s_and_saveexec_b32 s0, s8
	s_cbranch_execz .LBB106_56
.LBB106_78:
	s_waitcnt lgkmcnt(15)
	global_store_b16 v[0:1], v17, off offset:896
	s_or_b32 exec_lo, exec_lo, s0
	s_and_saveexec_b32 s0, s9
	s_cbranch_execz .LBB106_57
.LBB106_79:
	s_waitcnt lgkmcnt(14)
	global_store_b16 v[0:1], v16, off offset:1024
	s_or_b32 exec_lo, exec_lo, s0
	s_and_saveexec_b32 s0, s10
	s_cbranch_execz .LBB106_58
.LBB106_80:
	s_waitcnt lgkmcnt(13)
	global_store_b16 v[0:1], v15, off offset:1152
	s_or_b32 exec_lo, exec_lo, s0
	s_and_saveexec_b32 s0, s11
	s_cbranch_execz .LBB106_59
.LBB106_81:
	s_waitcnt lgkmcnt(12)
	global_store_b16 v[0:1], v14, off offset:1280
	s_or_b32 exec_lo, exec_lo, s0
	s_and_saveexec_b32 s0, s12
	s_cbranch_execz .LBB106_60
.LBB106_82:
	s_waitcnt lgkmcnt(11)
	global_store_b16 v[0:1], v13, off offset:1408
	s_or_b32 exec_lo, exec_lo, s0
	s_and_saveexec_b32 s0, s13
	s_cbranch_execz .LBB106_61
.LBB106_83:
	s_waitcnt lgkmcnt(10)
	global_store_b16 v[0:1], v12, off offset:1536
	s_or_b32 exec_lo, exec_lo, s0
	s_and_saveexec_b32 s0, s14
	s_cbranch_execz .LBB106_62
.LBB106_84:
	s_waitcnt lgkmcnt(9)
	global_store_b16 v[0:1], v10, off offset:1664
	s_or_b32 exec_lo, exec_lo, s0
	s_and_saveexec_b32 s0, s15
	s_cbranch_execz .LBB106_63
.LBB106_85:
	s_waitcnt lgkmcnt(8)
	global_store_b16 v[0:1], v9, off offset:1792
	s_or_b32 exec_lo, exec_lo, s0
	s_and_saveexec_b32 s0, s16
	s_cbranch_execz .LBB106_64
.LBB106_86:
	s_waitcnt lgkmcnt(7)
	global_store_b16 v[0:1], v8, off offset:1920
	s_or_b32 exec_lo, exec_lo, s0
	s_and_saveexec_b32 s0, s17
	s_cbranch_execz .LBB106_65
.LBB106_87:
	s_waitcnt lgkmcnt(5)
	global_store_b16 v[0:1], v7, off offset:2048
	s_or_b32 exec_lo, exec_lo, s0
	s_and_saveexec_b32 s0, s18
	s_cbranch_execz .LBB106_66
.LBB106_88:
	s_waitcnt lgkmcnt(4)
	global_store_b16 v[0:1], v6, off offset:2176
	s_or_b32 exec_lo, exec_lo, s0
	s_and_saveexec_b32 s0, s19
	s_cbranch_execz .LBB106_67
.LBB106_89:
	s_waitcnt lgkmcnt(3)
	global_store_b16 v[0:1], v5, off offset:2304
	s_or_b32 exec_lo, exec_lo, s0
	s_and_saveexec_b32 s0, s20
	s_cbranch_execz .LBB106_68
.LBB106_90:
	s_waitcnt lgkmcnt(2)
	global_store_b16 v[0:1], v4, off offset:2432
	s_or_b32 exec_lo, exec_lo, s0
	s_and_saveexec_b32 s0, s21
	s_cbranch_execz .LBB106_69
.LBB106_91:
	s_waitcnt lgkmcnt(1)
	global_store_b16 v[0:1], v3, off offset:2560
	s_or_b32 exec_lo, exec_lo, s0
	s_and_saveexec_b32 s0, s22
	s_cbranch_execz .LBB106_70
.LBB106_92:
	s_waitcnt lgkmcnt(0)
	global_store_b16 v[0:1], v2, off offset:2688
	s_nop 0
	s_sendmsg sendmsg(MSG_DEALLOC_VGPRS)
	s_endpgm
	.section	.rodata,"a",@progbits
	.p2align	6, 0x0
	.amdhsa_kernel _ZN7rocprim17ROCPRIM_304000_NS6detail18single_scan_kernelILb0ENS1_19wrapped_scan_configINS0_14default_configEN3c104HalfEEEPKS6_PS6_St4plusIS6_ES6_S6_EEvT1_mT4_T2_T3_
		.amdhsa_group_segment_fixed_size 2816
		.amdhsa_private_segment_fixed_size 0
		.amdhsa_kernarg_size 36
		.amdhsa_user_sgpr_count 15
		.amdhsa_user_sgpr_dispatch_ptr 0
		.amdhsa_user_sgpr_queue_ptr 0
		.amdhsa_user_sgpr_kernarg_segment_ptr 1
		.amdhsa_user_sgpr_dispatch_id 0
		.amdhsa_user_sgpr_private_segment_size 0
		.amdhsa_wavefront_size32 1
		.amdhsa_uses_dynamic_stack 0
		.amdhsa_enable_private_segment 0
		.amdhsa_system_sgpr_workgroup_id_x 1
		.amdhsa_system_sgpr_workgroup_id_y 0
		.amdhsa_system_sgpr_workgroup_id_z 0
		.amdhsa_system_sgpr_workgroup_info 0
		.amdhsa_system_vgpr_workitem_id 0
		.amdhsa_next_free_vgpr 34
		.amdhsa_next_free_sgpr 26
		.amdhsa_reserve_vcc 1
		.amdhsa_float_round_mode_32 0
		.amdhsa_float_round_mode_16_64 0
		.amdhsa_float_denorm_mode_32 3
		.amdhsa_float_denorm_mode_16_64 3
		.amdhsa_dx10_clamp 1
		.amdhsa_ieee_mode 1
		.amdhsa_fp16_overflow 0
		.amdhsa_workgroup_processor_mode 1
		.amdhsa_memory_ordered 1
		.amdhsa_forward_progress 0
		.amdhsa_shared_vgpr_count 0
		.amdhsa_exception_fp_ieee_invalid_op 0
		.amdhsa_exception_fp_denorm_src 0
		.amdhsa_exception_fp_ieee_div_zero 0
		.amdhsa_exception_fp_ieee_overflow 0
		.amdhsa_exception_fp_ieee_underflow 0
		.amdhsa_exception_fp_ieee_inexact 0
		.amdhsa_exception_int_div_zero 0
	.end_amdhsa_kernel
	.section	.text._ZN7rocprim17ROCPRIM_304000_NS6detail18single_scan_kernelILb0ENS1_19wrapped_scan_configINS0_14default_configEN3c104HalfEEEPKS6_PS6_St4plusIS6_ES6_S6_EEvT1_mT4_T2_T3_,"axG",@progbits,_ZN7rocprim17ROCPRIM_304000_NS6detail18single_scan_kernelILb0ENS1_19wrapped_scan_configINS0_14default_configEN3c104HalfEEEPKS6_PS6_St4plusIS6_ES6_S6_EEvT1_mT4_T2_T3_,comdat
.Lfunc_end106:
	.size	_ZN7rocprim17ROCPRIM_304000_NS6detail18single_scan_kernelILb0ENS1_19wrapped_scan_configINS0_14default_configEN3c104HalfEEEPKS6_PS6_St4plusIS6_ES6_S6_EEvT1_mT4_T2_T3_, .Lfunc_end106-_ZN7rocprim17ROCPRIM_304000_NS6detail18single_scan_kernelILb0ENS1_19wrapped_scan_configINS0_14default_configEN3c104HalfEEEPKS6_PS6_St4plusIS6_ES6_S6_EEvT1_mT4_T2_T3_
                                        ; -- End function
	.section	.AMDGPU.csdata,"",@progbits
; Kernel info:
; codeLenInByte = 3276
; NumSgprs: 28
; NumVgprs: 34
; ScratchSize: 0
; MemoryBound: 0
; FloatMode: 240
; IeeeMode: 1
; LDSByteSize: 2816 bytes/workgroup (compile time only)
; SGPRBlocks: 3
; VGPRBlocks: 4
; NumSGPRsForWavesPerEU: 28
; NumVGPRsForWavesPerEU: 34
; Occupancy: 16
; WaveLimiterHint : 0
; COMPUTE_PGM_RSRC2:SCRATCH_EN: 0
; COMPUTE_PGM_RSRC2:USER_SGPR: 15
; COMPUTE_PGM_RSRC2:TRAP_HANDLER: 0
; COMPUTE_PGM_RSRC2:TGID_X_EN: 1
; COMPUTE_PGM_RSRC2:TGID_Y_EN: 0
; COMPUTE_PGM_RSRC2:TGID_Z_EN: 0
; COMPUTE_PGM_RSRC2:TIDIG_COMP_CNT: 0
	.section	.text._ZN2at6native32tensor_kernel_scan_innermost_dimIN3c104HalfESt4plusIS3_EEEvPT_PKS6_jjjS6_T0_,"axG",@progbits,_ZN2at6native32tensor_kernel_scan_innermost_dimIN3c104HalfESt4plusIS3_EEEvPT_PKS6_jjjS6_T0_,comdat
	.protected	_ZN2at6native32tensor_kernel_scan_innermost_dimIN3c104HalfESt4plusIS3_EEEvPT_PKS6_jjjS6_T0_ ; -- Begin function _ZN2at6native32tensor_kernel_scan_innermost_dimIN3c104HalfESt4plusIS3_EEEvPT_PKS6_jjjS6_T0_
	.globl	_ZN2at6native32tensor_kernel_scan_innermost_dimIN3c104HalfESt4plusIS3_EEEvPT_PKS6_jjjS6_T0_
	.p2align	8
	.type	_ZN2at6native32tensor_kernel_scan_innermost_dimIN3c104HalfESt4plusIS3_EEEvPT_PKS6_jjjS6_T0_,@function
_ZN2at6native32tensor_kernel_scan_innermost_dimIN3c104HalfESt4plusIS3_EEEvPT_PKS6_jjjS6_T0_: ; @_ZN2at6native32tensor_kernel_scan_innermost_dimIN3c104HalfESt4plusIS3_EEEvPT_PKS6_jjjS6_T0_
; %bb.0:
	s_load_b256 s[16:23], s[0:1], 0x0
	v_bfe_u32 v9, v0, 10, 10
	s_waitcnt lgkmcnt(0)
	s_lshl_b32 s5, 2, s22
	s_mul_hi_u32 s2, s20, s21
	s_delay_alu instid0(VALU_DEP_1) | instskip(SKIP_3) | instid1(VALU_DEP_1)
	v_mul_lo_u32 v1, s5, v9
	s_mov_b32 s6, s20
	s_cmp_lg_u32 s2, 0
	s_mov_b32 s2, -1
	v_lshl_add_u32 v10, v1, 1, 0
	s_cbranch_scc1 .LBB107_26
; %bb.1:
	s_load_b32 s4, s[0:1], 0x2c
	s_add_u32 s2, s0, 32
	s_addc_u32 s3, s1, 0
	s_waitcnt lgkmcnt(0)
	s_lshr_b32 s4, s4, 16
	s_delay_alu instid0(SALU_CYCLE_1) | instskip(NEXT) | instid1(SALU_CYCLE_1)
	s_mul_i32 s7, s15, s4
	s_cmp_ge_u32 s7, s20
	s_cbranch_scc1 .LBB107_25
; %bb.2:
	s_load_b32 s10, s[2:3], 0x0
	v_dual_mov_b32 v2, 0 :: v_dual_and_b32 v5, 0x3ff, v0
	v_add_nc_u32_e32 v6, -2, v10
	s_lshl_b32 s8, 1, s22
	s_cmp_lg_u32 s21, 0
	s_delay_alu instid0(VALU_DEP_2)
	v_lshl_add_u32 v7, v5, 1, v10
	v_cmp_eq_u32_e64 s2, 0, v5
	v_lshl_add_u32 v8, s5, 1, v6
	s_cselect_b32 s9, -1, 0
	s_add_i32 s11, s22, 1
	v_lshl_add_u32 v11, s8, 1, v7
	s_waitcnt lgkmcnt(0)
	s_mul_i32 s10, s10, s4
	s_branch .LBB107_4
.LBB107_3:                              ;   in Loop: Header=BB107_4 Depth=1
	s_add_i32 s7, s7, s10
	s_delay_alu instid0(SALU_CYCLE_1)
	s_cmp_ge_u32 s7, s20
	s_cbranch_scc1 .LBB107_25
.LBB107_4:                              ; =>This Loop Header: Depth=1
                                        ;     Child Loop BB107_7 Depth 2
                                        ;       Child Loop BB107_16 Depth 3
	s_and_not1_b32 vcc_lo, exec_lo, s9
	s_cbranch_vccnz .LBB107_3
; %bb.5:                                ;   in Loop: Header=BB107_4 Depth=1
	v_add_nc_u32_e32 v12, s7, v9
	v_mov_b32_e32 v16, s23
	s_mov_b32 s12, 0
	s_delay_alu instid0(VALU_DEP_2) | instskip(SKIP_2) | instid1(VALU_DEP_3)
	v_mul_lo_u32 v1, v12, s21
	v_cmp_gt_u32_e32 vcc_lo, s20, v12
	v_cmp_le_u32_e64 s3, s20, v12
	v_lshlrev_b64 v[3:4], 1, v[1:2]
	s_delay_alu instid0(VALU_DEP_1) | instskip(NEXT) | instid1(VALU_DEP_1)
	v_add_co_u32 v12, s4, s18, v3
	v_add_co_ci_u32_e64 v13, s4, s19, v4, s4
	v_add_co_u32 v14, s4, s16, v3
	s_delay_alu instid0(VALU_DEP_1)
	v_add_co_ci_u32_e64 v15, s4, s17, v4, s4
	s_branch .LBB107_7
.LBB107_6:                              ;   in Loop: Header=BB107_7 Depth=2
	s_or_b32 exec_lo, exec_lo, s13
	ds_load_u16 v16, v8
	s_add_i32 s12, s12, s5
	s_waitcnt lgkmcnt(0)
	s_waitcnt_vscnt null, 0x0
	s_cmp_ge_u32 s12, s21
	s_barrier
	buffer_gl0_inv
	s_cbranch_scc1 .LBB107_3
.LBB107_7:                              ;   Parent Loop BB107_4 Depth=1
                                        ; =>  This Loop Header: Depth=2
                                        ;       Child Loop BB107_16 Depth 3
	v_add_nc_u32_e32 v1, s12, v5
	s_delay_alu instid0(VALU_DEP_1)
	v_add_nc_u32_e32 v3, s8, v1
	s_and_saveexec_b32 s13, vcc_lo
	s_cbranch_execz .LBB107_14
; %bb.8:                                ;   in Loop: Header=BB107_7 Depth=2
	v_mov_b32_e32 v4, s23
	s_mov_b32 s14, exec_lo
	v_cmpx_gt_u32_e64 s21, v1
	s_cbranch_execz .LBB107_10
; %bb.9:                                ;   in Loop: Header=BB107_7 Depth=2
	v_lshlrev_b64 v[17:18], 1, v[1:2]
	s_delay_alu instid0(VALU_DEP_1) | instskip(NEXT) | instid1(VALU_DEP_1)
	v_add_co_u32 v17, s4, v12, v17
	v_add_co_ci_u32_e64 v18, s4, v13, v18, s4
	global_load_u16 v4, v[17:18], off
.LBB107_10:                             ;   in Loop: Header=BB107_7 Depth=2
	s_or_b32 exec_lo, exec_lo, s14
	v_mov_b32_e32 v17, s23
	s_mov_b32 s14, exec_lo
	s_waitcnt vmcnt(0)
	ds_store_b16 v7, v4
	v_cmpx_gt_u32_e64 s21, v3
	s_cbranch_execz .LBB107_12
; %bb.11:                               ;   in Loop: Header=BB107_7 Depth=2
	v_mov_b32_e32 v4, v2
	s_delay_alu instid0(VALU_DEP_1) | instskip(NEXT) | instid1(VALU_DEP_1)
	v_lshlrev_b64 v[17:18], 1, v[3:4]
	v_add_co_u32 v17, s4, v12, v17
	s_delay_alu instid0(VALU_DEP_1)
	v_add_co_ci_u32_e64 v18, s4, v13, v18, s4
	global_load_u16 v17, v[17:18], off
.LBB107_12:                             ;   in Loop: Header=BB107_7 Depth=2
	s_or_b32 exec_lo, exec_lo, s14
	s_waitcnt vmcnt(0)
	ds_store_b16 v11, v17
	s_and_b32 exec_lo, exec_lo, s2
	s_cbranch_execz .LBB107_14
; %bb.13:                               ;   in Loop: Header=BB107_7 Depth=2
	ds_load_u16 v4, v10
	s_waitcnt lgkmcnt(0)
	v_add_f16_e32 v4, v4, v16
	ds_store_b16 v10, v4
.LBB107_14:                             ;   in Loop: Header=BB107_7 Depth=2
	s_or_b32 exec_lo, exec_lo, s13
	v_mov_b32_e32 v4, 0
	s_mov_b32 s13, 0
	s_waitcnt lgkmcnt(0)
	s_barrier
	buffer_gl0_inv
	s_set_inst_prefetch_distance 0x1
	s_branch .LBB107_16
	.p2align	6
.LBB107_15:                             ;   in Loop: Header=BB107_16 Depth=3
	s_or_b32 exec_lo, exec_lo, s4
	s_delay_alu instid0(VALU_DEP_1) | instskip(SKIP_4) | instid1(SALU_CYCLE_1)
	v_cmp_eq_u32_e64 s4, s11, v4
	s_waitcnt lgkmcnt(0)
	s_barrier
	buffer_gl0_inv
	s_or_b32 s13, s4, s13
	s_and_not1_b32 exec_lo, exec_lo, s13
	s_cbranch_execz .LBB107_20
.LBB107_16:                             ;   Parent Loop BB107_4 Depth=1
                                        ;     Parent Loop BB107_7 Depth=2
                                        ; =>    This Inner Loop Header: Depth=3
	v_add_nc_u32_e32 v16, 1, v4
	s_and_saveexec_b32 s4, s3
	s_delay_alu instid0(SALU_CYCLE_1)
	s_xor_b32 s4, exec_lo, s4
; %bb.17:                               ;   in Loop: Header=BB107_16 Depth=3
	v_add_nc_u32_e32 v4, 1, v4
                                        ; implicit-def: $vgpr16
; %bb.18:                               ;   in Loop: Header=BB107_16 Depth=3
	s_and_not1_saveexec_b32 s4, s4
	s_cbranch_execz .LBB107_15
; %bb.19:                               ;   in Loop: Header=BB107_16 Depth=3
	s_delay_alu instid0(VALU_DEP_1) | instskip(SKIP_2) | instid1(VALU_DEP_2)
	v_lshlrev_b32_e64 v17, v4, 1
	v_lshrrev_b32_e32 v18, v4, v5
	v_bfm_b32 v4, v4, 0
	v_lshl_or_b32 v17, v18, v16, v17
	s_delay_alu instid0(VALU_DEP_2) | instskip(NEXT) | instid1(VALU_DEP_2)
	v_and_b32_e32 v4, v4, v5
	v_lshlrev_b32_e32 v17, 1, v17
	s_delay_alu instid0(VALU_DEP_2) | instskip(NEXT) | instid1(VALU_DEP_1)
	v_lshlrev_b32_e32 v4, 1, v4
	v_add3_u32 v18, v10, v17, v4
	v_add_nc_u32_e32 v4, v6, v17
	ds_load_u16 v17, v18
	ds_load_u16 v4, v4
	s_waitcnt lgkmcnt(0)
	v_add_f16_e32 v17, v17, v4
	v_mov_b32_e32 v4, v16
	ds_store_b16 v18, v17
	s_branch .LBB107_15
.LBB107_20:                             ;   in Loop: Header=BB107_7 Depth=2
	s_set_inst_prefetch_distance 0x2
	s_or_b32 exec_lo, exec_lo, s13
	s_and_saveexec_b32 s13, vcc_lo
	s_cbranch_execz .LBB107_6
; %bb.21:                               ;   in Loop: Header=BB107_7 Depth=2
	s_mov_b32 s14, exec_lo
	v_cmpx_gt_u32_e64 s21, v1
	s_cbranch_execz .LBB107_23
; %bb.22:                               ;   in Loop: Header=BB107_7 Depth=2
	ds_load_u16 v4, v7
	v_lshlrev_b64 v[16:17], 1, v[1:2]
	s_delay_alu instid0(VALU_DEP_1) | instskip(NEXT) | instid1(VALU_DEP_1)
	v_add_co_u32 v16, s4, v14, v16
	v_add_co_ci_u32_e64 v17, s4, v15, v17, s4
	s_waitcnt lgkmcnt(0)
	global_store_b16 v[16:17], v4, off
.LBB107_23:                             ;   in Loop: Header=BB107_7 Depth=2
	s_or_b32 exec_lo, exec_lo, s14
	v_cmp_gt_u32_e64 s4, s21, v3
	s_delay_alu instid0(VALU_DEP_1)
	s_and_b32 exec_lo, exec_lo, s4
	s_cbranch_execz .LBB107_6
; %bb.24:                               ;   in Loop: Header=BB107_7 Depth=2
	ds_load_u16 v1, v11
	v_mov_b32_e32 v4, v2
	s_delay_alu instid0(VALU_DEP_1) | instskip(NEXT) | instid1(VALU_DEP_1)
	v_lshlrev_b64 v[3:4], 1, v[3:4]
	v_add_co_u32 v3, s4, v14, v3
	s_delay_alu instid0(VALU_DEP_1)
	v_add_co_ci_u32_e64 v4, s4, v15, v4, s4
	s_waitcnt lgkmcnt(0)
	global_store_b16 v[3:4], v1, off
	s_branch .LBB107_6
.LBB107_25:
	s_mov_b32 s2, 0
.LBB107_26:
	s_delay_alu instid0(SALU_CYCLE_1)
	s_and_not1_b32 vcc_lo, exec_lo, s2
	s_cbranch_vccnz .LBB107_53
; %bb.27:
	s_load_b32 s2, s[0:1], 0x2c
	s_add_u32 s0, s0, 32
	s_addc_u32 s1, s1, 0
	s_mov_b32 s7, 0
	s_waitcnt lgkmcnt(0)
	s_lshr_b32 s2, s2, 16
	s_delay_alu instid0(SALU_CYCLE_1) | instskip(SKIP_1) | instid1(SALU_CYCLE_1)
	s_mul_hi_u32 s5, s2, s15
	s_mul_i32 s4, s2, s15
	v_cmp_ge_u64_e64 s3, s[4:5], s[6:7]
	s_delay_alu instid0(VALU_DEP_1)
	s_and_b32 vcc_lo, exec_lo, s3
	s_cbranch_vccnz .LBB107_53
; %bb.28:
	s_load_b32 s1, s[0:1], 0x0
	v_dual_mov_b32 v1, 0 :: v_dual_and_b32 v0, 0x3ff, v0
	s_lshl_b32 s8, 1, s22
	s_and_b32 s2, 0xffff, s2
	s_ashr_i32 s9, s8, 31
	s_cmp_lg_u32 s21, 0
	v_lshl_add_u32 v11, v0, 1, v10
	s_cselect_b32 s3, -1, 0
	s_lshl_b64 s[12:13], s[8:9], 1
	v_cmp_eq_u32_e64 s0, 0, v0
	s_lshl_b32 s11, s12, 1
	v_lshl_add_u32 v13, s8, 1, v11
	v_add3_u32 v12, v10, s11, -2
	s_mov_b32 s10, s21
	s_mov_b32 s11, s7
	s_add_i32 s21, s22, 1
	s_waitcnt lgkmcnt(0)
	s_mul_i32 s20, s1, s2
	s_branch .LBB107_30
.LBB107_29:                             ;   in Loop: Header=BB107_30 Depth=1
	s_add_u32 s4, s4, s20
	s_addc_u32 s5, s5, 0
	s_delay_alu instid0(SALU_CYCLE_1) | instskip(NEXT) | instid1(VALU_DEP_1)
	v_cmp_ge_u64_e64 s1, s[4:5], s[6:7]
	s_and_b32 vcc_lo, exec_lo, s1
	s_cbranch_vccnz .LBB107_53
.LBB107_30:                             ; =>This Loop Header: Depth=1
                                        ;     Child Loop BB107_33 Depth 2
                                        ;       Child Loop BB107_43 Depth 3
	s_and_not1_b32 vcc_lo, exec_lo, s3
	s_cbranch_vccnz .LBB107_29
; %bb.31:                               ;   in Loop: Header=BB107_30 Depth=1
	v_add_co_u32 v2, s1, s4, v9
	s_delay_alu instid0(VALU_DEP_1) | instskip(SKIP_1) | instid1(VALU_DEP_2)
	v_add_co_ci_u32_e64 v3, null, s5, 0, s1
	s_mov_b64 s[14:15], 0
	v_mad_u64_u32 v[4:5], null, v2, s10, 0
	s_delay_alu instid0(VALU_DEP_2) | instskip(SKIP_1) | instid1(VALU_DEP_3)
	v_cmp_gt_u64_e64 s1, s[6:7], v[2:3]
	v_cmp_le_u64_e64 s2, s[6:7], v[2:3]
	v_mad_u64_u32 v[6:7], null, v3, s10, v[5:6]
	s_delay_alu instid0(VALU_DEP_1) | instskip(NEXT) | instid1(VALU_DEP_1)
	v_dual_mov_b32 v5, v6 :: v_dual_mov_b32 v6, s23
	v_lshlrev_b64 v[4:5], 1, v[4:5]
	s_delay_alu instid0(VALU_DEP_1) | instskip(NEXT) | instid1(VALU_DEP_2)
	v_add_co_u32 v14, vcc_lo, s18, v4
	v_add_co_ci_u32_e32 v15, vcc_lo, s19, v5, vcc_lo
	v_add_co_u32 v16, vcc_lo, s16, v4
	v_add_co_ci_u32_e32 v17, vcc_lo, s17, v5, vcc_lo
	s_branch .LBB107_33
.LBB107_32:                             ;   in Loop: Header=BB107_33 Depth=2
	s_or_b32 exec_lo, exec_lo, s22
	ds_load_u16 v6, v12
	s_add_u32 s14, s14, s12
	s_addc_u32 s15, s15, s13
	s_waitcnt lgkmcnt(0)
	s_waitcnt_vscnt null, 0x0
	v_cmp_ge_u64_e64 s22, s[14:15], s[10:11]
	s_barrier
	buffer_gl0_inv
	s_and_b32 vcc_lo, exec_lo, s22
	s_cbranch_vccnz .LBB107_29
.LBB107_33:                             ;   Parent Loop BB107_30 Depth=1
                                        ; =>  This Loop Header: Depth=2
                                        ;       Child Loop BB107_43 Depth 3
	v_add_co_u32 v4, s22, s14, v0
	s_delay_alu instid0(VALU_DEP_1) | instskip(NEXT) | instid1(VALU_DEP_2)
	v_add_co_ci_u32_e64 v5, null, s15, 0, s22
	v_add_co_u32 v2, vcc_lo, v4, s8
	s_delay_alu instid0(VALU_DEP_2)
	v_add_co_ci_u32_e32 v3, vcc_lo, s9, v5, vcc_lo
	s_and_saveexec_b32 s22, s1
	s_cbranch_execz .LBB107_40
; %bb.34:                               ;   in Loop: Header=BB107_33 Depth=2
	v_mov_b32_e32 v7, s23
	s_mov_b32 s24, exec_lo
	v_cmpx_gt_u64_e64 s[10:11], v[4:5]
	s_cbranch_execz .LBB107_36
; %bb.35:                               ;   in Loop: Header=BB107_33 Depth=2
	v_lshlrev_b64 v[7:8], 1, v[4:5]
	s_delay_alu instid0(VALU_DEP_1) | instskip(NEXT) | instid1(VALU_DEP_2)
	v_add_co_u32 v7, vcc_lo, v14, v7
	v_add_co_ci_u32_e32 v8, vcc_lo, v15, v8, vcc_lo
	global_load_u16 v7, v[7:8], off
.LBB107_36:                             ;   in Loop: Header=BB107_33 Depth=2
	s_or_b32 exec_lo, exec_lo, s24
	v_mov_b32_e32 v8, s23
	s_mov_b32 s24, exec_lo
	s_waitcnt vmcnt(0)
	ds_store_b16 v11, v7
	v_cmpx_gt_u64_e64 s[10:11], v[2:3]
	s_cbranch_execz .LBB107_38
; %bb.37:                               ;   in Loop: Header=BB107_33 Depth=2
	v_lshlrev_b64 v[7:8], 1, v[2:3]
	s_delay_alu instid0(VALU_DEP_1) | instskip(NEXT) | instid1(VALU_DEP_2)
	v_add_co_u32 v7, vcc_lo, v14, v7
	v_add_co_ci_u32_e32 v8, vcc_lo, v15, v8, vcc_lo
	global_load_u16 v8, v[7:8], off
.LBB107_38:                             ;   in Loop: Header=BB107_33 Depth=2
	s_or_b32 exec_lo, exec_lo, s24
	s_waitcnt vmcnt(0)
	ds_store_b16 v13, v8
	s_and_b32 exec_lo, exec_lo, s0
	s_cbranch_execz .LBB107_40
; %bb.39:                               ;   in Loop: Header=BB107_33 Depth=2
	ds_load_u16 v7, v10
	s_waitcnt lgkmcnt(0)
	v_add_f16_e32 v6, v7, v6
	ds_store_b16 v10, v6
.LBB107_40:                             ;   in Loop: Header=BB107_33 Depth=2
	s_or_b32 exec_lo, exec_lo, s22
	v_mov_b32_e32 v19, 0
	s_mov_b32 s22, 0
	s_waitcnt lgkmcnt(0)
	s_barrier
	buffer_gl0_inv
	s_branch .LBB107_43
.LBB107_41:                             ;   in Loop: Header=BB107_43 Depth=3
	s_or_b32 exec_lo, exec_lo, s25
	v_lshrrev_b32_e32 v8, v19, v0
	s_delay_alu instid0(VALU_DEP_1) | instskip(NEXT) | instid1(VALU_DEP_1)
	v_lshl_or_b32 v6, v8, v18, v6
	v_lshl_add_u32 v6, v6, 1, v10
	s_delay_alu instid0(VALU_DEP_1)
	v_lshl_add_u32 v7, v7, 1, v6
	v_add_nc_u32_e32 v6, -2, v6
	ds_load_u16 v8, v7
	ds_load_u16 v6, v6
	s_waitcnt lgkmcnt(0)
	v_add_f16_e32 v6, v8, v6
	ds_store_b16 v7, v6
.LBB107_42:                             ;   in Loop: Header=BB107_43 Depth=3
	s_or_b32 exec_lo, exec_lo, s24
	s_delay_alu instid0(VALU_DEP_1)
	v_cmp_eq_u32_e32 vcc_lo, s21, v18
	v_mov_b32_e32 v19, v18
	s_waitcnt lgkmcnt(0)
	s_barrier
	buffer_gl0_inv
	s_or_b32 s22, vcc_lo, s22
	s_delay_alu instid0(SALU_CYCLE_1)
	s_and_not1_b32 exec_lo, exec_lo, s22
	s_cbranch_execz .LBB107_48
.LBB107_43:                             ;   Parent Loop BB107_30 Depth=1
                                        ;     Parent Loop BB107_33 Depth=2
                                        ; =>    This Inner Loop Header: Depth=3
	v_add_nc_u32_e32 v18, 1, v19
	s_and_saveexec_b32 s24, s2
	s_delay_alu instid0(SALU_CYCLE_1)
	s_xor_b32 s24, exec_lo, s24
; %bb.44:                               ;   in Loop: Header=BB107_43 Depth=3
	v_add_nc_u32_e32 v18, 1, v19
                                        ; implicit-def: $vgpr19
; %bb.45:                               ;   in Loop: Header=BB107_43 Depth=3
	s_and_not1_saveexec_b32 s24, s24
	s_cbranch_execz .LBB107_42
; %bb.46:                               ;   in Loop: Header=BB107_43 Depth=3
	v_lshlrev_b32_e64 v6, v19, 1
	s_delay_alu instid0(VALU_DEP_1) | instskip(NEXT) | instid1(VALU_DEP_1)
	v_ashrrev_i32_e32 v7, 31, v6
	v_cmp_ge_u64_e32 vcc_lo, v[0:1], v[6:7]
	v_dual_mov_b32 v8, v1 :: v_dual_mov_b32 v7, v0
	s_and_saveexec_b32 s25, vcc_lo
	s_cbranch_execz .LBB107_41
; %bb.47:                               ;   in Loop: Header=BB107_43 Depth=3
	v_cvt_f32_u32_e32 v7, v6
	v_sub_nc_u32_e32 v8, 0, v6
	s_delay_alu instid0(VALU_DEP_2) | instskip(SKIP_2) | instid1(VALU_DEP_1)
	v_rcp_iflag_f32_e32 v7, v7
	s_waitcnt_depctr 0xfff
	v_mul_f32_e32 v7, 0x4f7ffffe, v7
	v_cvt_u32_f32_e32 v7, v7
	s_delay_alu instid0(VALU_DEP_1) | instskip(NEXT) | instid1(VALU_DEP_1)
	v_mul_lo_u32 v8, v8, v7
	v_mul_hi_u32 v8, v7, v8
	s_delay_alu instid0(VALU_DEP_1) | instskip(NEXT) | instid1(VALU_DEP_1)
	v_add_nc_u32_e32 v7, v7, v8
	v_mul_hi_u32 v7, v0, v7
	s_delay_alu instid0(VALU_DEP_1) | instskip(NEXT) | instid1(VALU_DEP_1)
	v_mul_lo_u32 v7, v7, v6
	v_sub_nc_u32_e32 v7, v0, v7
	s_delay_alu instid0(VALU_DEP_1) | instskip(SKIP_1) | instid1(VALU_DEP_2)
	v_sub_nc_u32_e32 v8, v7, v6
	v_cmp_ge_u32_e32 vcc_lo, v7, v6
	v_cndmask_b32_e32 v7, v7, v8, vcc_lo
	s_delay_alu instid0(VALU_DEP_1) | instskip(SKIP_1) | instid1(VALU_DEP_2)
	v_sub_nc_u32_e32 v8, v7, v6
	v_cmp_ge_u32_e32 vcc_lo, v7, v6
	v_cndmask_b32_e32 v7, v7, v8, vcc_lo
	s_branch .LBB107_41
.LBB107_48:                             ;   in Loop: Header=BB107_33 Depth=2
	s_or_b32 exec_lo, exec_lo, s22
	s_and_saveexec_b32 s22, s1
	s_cbranch_execz .LBB107_32
; %bb.49:                               ;   in Loop: Header=BB107_33 Depth=2
	s_mov_b32 s24, exec_lo
	v_cmpx_gt_u64_e64 s[10:11], v[4:5]
	s_cbranch_execz .LBB107_51
; %bb.50:                               ;   in Loop: Header=BB107_33 Depth=2
	ds_load_u16 v6, v11
	v_lshlrev_b64 v[4:5], 1, v[4:5]
	s_delay_alu instid0(VALU_DEP_1) | instskip(NEXT) | instid1(VALU_DEP_2)
	v_add_co_u32 v4, vcc_lo, v16, v4
	v_add_co_ci_u32_e32 v5, vcc_lo, v17, v5, vcc_lo
	s_waitcnt lgkmcnt(0)
	global_store_b16 v[4:5], v6, off
.LBB107_51:                             ;   in Loop: Header=BB107_33 Depth=2
	s_or_b32 exec_lo, exec_lo, s24
	v_cmp_gt_u64_e32 vcc_lo, s[10:11], v[2:3]
	s_and_b32 exec_lo, exec_lo, vcc_lo
	s_cbranch_execz .LBB107_32
; %bb.52:                               ;   in Loop: Header=BB107_33 Depth=2
	ds_load_u16 v4, v13
	v_lshlrev_b64 v[2:3], 1, v[2:3]
	s_delay_alu instid0(VALU_DEP_1) | instskip(NEXT) | instid1(VALU_DEP_2)
	v_add_co_u32 v2, vcc_lo, v16, v2
	v_add_co_ci_u32_e32 v3, vcc_lo, v17, v3, vcc_lo
	s_waitcnt lgkmcnt(0)
	global_store_b16 v[2:3], v4, off
	s_branch .LBB107_32
.LBB107_53:
	s_endpgm
	.section	.rodata,"a",@progbits
	.p2align	6, 0x0
	.amdhsa_kernel _ZN2at6native32tensor_kernel_scan_innermost_dimIN3c104HalfESt4plusIS3_EEEvPT_PKS6_jjjS6_T0_
		.amdhsa_group_segment_fixed_size 0
		.amdhsa_private_segment_fixed_size 0
		.amdhsa_kernarg_size 288
		.amdhsa_user_sgpr_count 15
		.amdhsa_user_sgpr_dispatch_ptr 0
		.amdhsa_user_sgpr_queue_ptr 0
		.amdhsa_user_sgpr_kernarg_segment_ptr 1
		.amdhsa_user_sgpr_dispatch_id 0
		.amdhsa_user_sgpr_private_segment_size 0
		.amdhsa_wavefront_size32 1
		.amdhsa_uses_dynamic_stack 0
		.amdhsa_enable_private_segment 0
		.amdhsa_system_sgpr_workgroup_id_x 1
		.amdhsa_system_sgpr_workgroup_id_y 0
		.amdhsa_system_sgpr_workgroup_id_z 0
		.amdhsa_system_sgpr_workgroup_info 0
		.amdhsa_system_vgpr_workitem_id 1
		.amdhsa_next_free_vgpr 20
		.amdhsa_next_free_sgpr 26
		.amdhsa_reserve_vcc 1
		.amdhsa_float_round_mode_32 0
		.amdhsa_float_round_mode_16_64 0
		.amdhsa_float_denorm_mode_32 3
		.amdhsa_float_denorm_mode_16_64 3
		.amdhsa_dx10_clamp 1
		.amdhsa_ieee_mode 1
		.amdhsa_fp16_overflow 0
		.amdhsa_workgroup_processor_mode 1
		.amdhsa_memory_ordered 1
		.amdhsa_forward_progress 0
		.amdhsa_shared_vgpr_count 0
		.amdhsa_exception_fp_ieee_invalid_op 0
		.amdhsa_exception_fp_denorm_src 0
		.amdhsa_exception_fp_ieee_div_zero 0
		.amdhsa_exception_fp_ieee_overflow 0
		.amdhsa_exception_fp_ieee_underflow 0
		.amdhsa_exception_fp_ieee_inexact 0
		.amdhsa_exception_int_div_zero 0
	.end_amdhsa_kernel
	.section	.text._ZN2at6native32tensor_kernel_scan_innermost_dimIN3c104HalfESt4plusIS3_EEEvPT_PKS6_jjjS6_T0_,"axG",@progbits,_ZN2at6native32tensor_kernel_scan_innermost_dimIN3c104HalfESt4plusIS3_EEEvPT_PKS6_jjjS6_T0_,comdat
.Lfunc_end107:
	.size	_ZN2at6native32tensor_kernel_scan_innermost_dimIN3c104HalfESt4plusIS3_EEEvPT_PKS6_jjjS6_T0_, .Lfunc_end107-_ZN2at6native32tensor_kernel_scan_innermost_dimIN3c104HalfESt4plusIS3_EEEvPT_PKS6_jjjS6_T0_
                                        ; -- End function
	.section	.AMDGPU.csdata,"",@progbits
; Kernel info:
; codeLenInByte = 2008
; NumSgprs: 28
; NumVgprs: 20
; ScratchSize: 0
; MemoryBound: 0
; FloatMode: 240
; IeeeMode: 1
; LDSByteSize: 0 bytes/workgroup (compile time only)
; SGPRBlocks: 3
; VGPRBlocks: 2
; NumSGPRsForWavesPerEU: 28
; NumVGPRsForWavesPerEU: 20
; Occupancy: 16
; WaveLimiterHint : 0
; COMPUTE_PGM_RSRC2:SCRATCH_EN: 0
; COMPUTE_PGM_RSRC2:USER_SGPR: 15
; COMPUTE_PGM_RSRC2:TRAP_HANDLER: 0
; COMPUTE_PGM_RSRC2:TGID_X_EN: 1
; COMPUTE_PGM_RSRC2:TGID_Y_EN: 0
; COMPUTE_PGM_RSRC2:TGID_Z_EN: 0
; COMPUTE_PGM_RSRC2:TIDIG_COMP_CNT: 1
	.section	.text._ZN2at6native28tensor_kernel_scan_outer_dimIN3c104HalfEjSt4plusIS3_EEEvPT_PKS6_jjjS6_T1_,"axG",@progbits,_ZN2at6native28tensor_kernel_scan_outer_dimIN3c104HalfEjSt4plusIS3_EEEvPT_PKS6_jjjS6_T1_,comdat
	.protected	_ZN2at6native28tensor_kernel_scan_outer_dimIN3c104HalfEjSt4plusIS3_EEEvPT_PKS6_jjjS6_T1_ ; -- Begin function _ZN2at6native28tensor_kernel_scan_outer_dimIN3c104HalfEjSt4plusIS3_EEEvPT_PKS6_jjjS6_T1_
	.globl	_ZN2at6native28tensor_kernel_scan_outer_dimIN3c104HalfEjSt4plusIS3_EEEvPT_PKS6_jjjS6_T1_
	.p2align	8
	.type	_ZN2at6native28tensor_kernel_scan_outer_dimIN3c104HalfEjSt4plusIS3_EEEvPT_PKS6_jjjS6_T1_,@function
_ZN2at6native28tensor_kernel_scan_outer_dimIN3c104HalfEjSt4plusIS3_EEEvPT_PKS6_jjjS6_T1_: ; @_ZN2at6native28tensor_kernel_scan_outer_dimIN3c104HalfEjSt4plusIS3_EEEvPT_PKS6_jjjS6_T1_
; %bb.0:
	s_load_b128 s[4:7], s[0:1], 0x10
	s_waitcnt lgkmcnt(0)
	s_cmp_ge_u32 s14, s4
	s_cbranch_scc1 .LBB108_9
; %bb.1:
	s_clause 0x2
	s_load_b32 s12, s[0:1], 0x2c
	s_load_b32 s20, s[0:1], 0x20
	s_load_b128 s[8:11], s[0:1], 0x0
	s_add_u32 s2, s0, 32
	s_addc_u32 s3, s1, 0
	s_mul_i32 s0, s14, s6
	v_mov_b32_e32 v3, 0
	s_mul_i32 s18, s0, s5
	s_mov_b32 s13, 0
	s_waitcnt lgkmcnt(0)
	s_and_b32 s1, s12, 0xffff
	s_mov_b32 s12, s5
	v_mad_u64_u32 v[1:2], null, s15, s1, v[0:1]
	s_cmp_lg_u32 s6, 0
	s_mul_i32 s21, s20, s6
	s_cselect_b32 s15, -1, 0
	s_mul_i32 s21, s21, s5
	s_lshl_b64 s[16:17], s[12:13], 1
	s_mov_b32 s12, s18
	s_delay_alu instid0(VALU_DEP_1)
	v_cmp_gt_u32_e64 s0, s5, v1
	s_set_inst_prefetch_distance 0x1
	s_branch .LBB108_3
	.p2align	6
.LBB108_2:                              ;   in Loop: Header=BB108_3 Depth=1
	s_or_b32 exec_lo, exec_lo, s22
	s_add_i32 s14, s20, s14
	s_add_i32 s12, s12, s21
	s_cmp_ge_u32 s14, s4
	s_cbranch_scc1 .LBB108_9
.LBB108_3:                              ; =>This Loop Header: Depth=1
                                        ;     Child Loop BB108_6 Depth 2
                                        ;       Child Loop BB108_8 Depth 3
	s_delay_alu instid0(VALU_DEP_1)
	s_and_saveexec_b32 s22, s0
	s_cbranch_execz .LBB108_2
; %bb.4:                                ;   in Loop: Header=BB108_3 Depth=1
	s_load_b32 s23, s[2:3], 0x4
	v_mov_b32_e32 v2, v1
	s_lshl_b64 s[18:19], s[12:13], 1
	s_mov_b32 s24, 0
	s_waitcnt lgkmcnt(0)
	s_mul_i32 s23, s23, s1
	s_branch .LBB108_6
	.p2align	6
.LBB108_5:                              ;   in Loop: Header=BB108_6 Depth=2
	v_add_nc_u32_e32 v2, s23, v2
	s_delay_alu instid0(VALU_DEP_1) | instskip(SKIP_1) | instid1(SALU_CYCLE_1)
	v_cmp_le_u32_e32 vcc_lo, s5, v2
	s_or_b32 s24, vcc_lo, s24
	s_and_not1_b32 exec_lo, exec_lo, s24
	s_cbranch_execz .LBB108_2
.LBB108_6:                              ;   Parent Loop BB108_3 Depth=1
                                        ; =>  This Loop Header: Depth=2
                                        ;       Child Loop BB108_8 Depth 3
	s_and_not1_b32 vcc_lo, exec_lo, s15
	s_cbranch_vccnz .LBB108_5
; %bb.7:                                ;   in Loop: Header=BB108_6 Depth=2
	v_lshlrev_b64 v[4:5], 1, v[2:3]
	s_mov_b32 s25, s6
	s_delay_alu instid0(VALU_DEP_1) | instskip(NEXT) | instid1(VALU_DEP_2)
	v_add_co_u32 v0, vcc_lo, s18, v4
	v_add_co_ci_u32_e32 v4, vcc_lo, s19, v5, vcc_lo
	v_mov_b32_e32 v5, s7
	.p2align	6
.LBB108_8:                              ;   Parent Loop BB108_3 Depth=1
                                        ;     Parent Loop BB108_6 Depth=2
                                        ; =>    This Inner Loop Header: Depth=3
	s_delay_alu instid0(VALU_DEP_3) | instskip(NEXT) | instid1(VALU_DEP_3)
	v_add_co_u32 v6, vcc_lo, s10, v0
	v_add_co_ci_u32_e32 v7, vcc_lo, s11, v4, vcc_lo
	s_add_i32 s25, s25, -1
	s_delay_alu instid0(SALU_CYCLE_1)
	s_cmp_eq_u32 s25, 0
	global_load_u16 v8, v[6:7], off
	v_add_co_u32 v6, vcc_lo, s8, v0
	v_add_co_ci_u32_e32 v7, vcc_lo, s9, v4, vcc_lo
	v_add_co_u32 v0, vcc_lo, v0, s16
	v_add_co_ci_u32_e32 v4, vcc_lo, s17, v4, vcc_lo
	s_waitcnt vmcnt(0)
	v_add_f16_e32 v5, v8, v5
	global_store_b16 v[6:7], v5, off
	s_cbranch_scc0 .LBB108_8
	s_branch .LBB108_5
.LBB108_9:
	s_set_inst_prefetch_distance 0x2
	s_nop 0
	s_sendmsg sendmsg(MSG_DEALLOC_VGPRS)
	s_endpgm
	.section	.rodata,"a",@progbits
	.p2align	6, 0x0
	.amdhsa_kernel _ZN2at6native28tensor_kernel_scan_outer_dimIN3c104HalfEjSt4plusIS3_EEEvPT_PKS6_jjjS6_T1_
		.amdhsa_group_segment_fixed_size 0
		.amdhsa_private_segment_fixed_size 0
		.amdhsa_kernarg_size 288
		.amdhsa_user_sgpr_count 14
		.amdhsa_user_sgpr_dispatch_ptr 0
		.amdhsa_user_sgpr_queue_ptr 0
		.amdhsa_user_sgpr_kernarg_segment_ptr 1
		.amdhsa_user_sgpr_dispatch_id 0
		.amdhsa_user_sgpr_private_segment_size 0
		.amdhsa_wavefront_size32 1
		.amdhsa_uses_dynamic_stack 0
		.amdhsa_enable_private_segment 0
		.amdhsa_system_sgpr_workgroup_id_x 1
		.amdhsa_system_sgpr_workgroup_id_y 1
		.amdhsa_system_sgpr_workgroup_id_z 0
		.amdhsa_system_sgpr_workgroup_info 0
		.amdhsa_system_vgpr_workitem_id 0
		.amdhsa_next_free_vgpr 9
		.amdhsa_next_free_sgpr 26
		.amdhsa_reserve_vcc 1
		.amdhsa_float_round_mode_32 0
		.amdhsa_float_round_mode_16_64 0
		.amdhsa_float_denorm_mode_32 3
		.amdhsa_float_denorm_mode_16_64 3
		.amdhsa_dx10_clamp 1
		.amdhsa_ieee_mode 1
		.amdhsa_fp16_overflow 0
		.amdhsa_workgroup_processor_mode 1
		.amdhsa_memory_ordered 1
		.amdhsa_forward_progress 0
		.amdhsa_shared_vgpr_count 0
		.amdhsa_exception_fp_ieee_invalid_op 0
		.amdhsa_exception_fp_denorm_src 0
		.amdhsa_exception_fp_ieee_div_zero 0
		.amdhsa_exception_fp_ieee_overflow 0
		.amdhsa_exception_fp_ieee_underflow 0
		.amdhsa_exception_fp_ieee_inexact 0
		.amdhsa_exception_int_div_zero 0
	.end_amdhsa_kernel
	.section	.text._ZN2at6native28tensor_kernel_scan_outer_dimIN3c104HalfEjSt4plusIS3_EEEvPT_PKS6_jjjS6_T1_,"axG",@progbits,_ZN2at6native28tensor_kernel_scan_outer_dimIN3c104HalfEjSt4plusIS3_EEEvPT_PKS6_jjjS6_T1_,comdat
.Lfunc_end108:
	.size	_ZN2at6native28tensor_kernel_scan_outer_dimIN3c104HalfEjSt4plusIS3_EEEvPT_PKS6_jjjS6_T1_, .Lfunc_end108-_ZN2at6native28tensor_kernel_scan_outer_dimIN3c104HalfEjSt4plusIS3_EEEvPT_PKS6_jjjS6_T1_
                                        ; -- End function
	.section	.AMDGPU.csdata,"",@progbits
; Kernel info:
; codeLenInByte = 368
; NumSgprs: 28
; NumVgprs: 9
; ScratchSize: 0
; MemoryBound: 0
; FloatMode: 240
; IeeeMode: 1
; LDSByteSize: 0 bytes/workgroup (compile time only)
; SGPRBlocks: 3
; VGPRBlocks: 1
; NumSGPRsForWavesPerEU: 28
; NumVGPRsForWavesPerEU: 9
; Occupancy: 16
; WaveLimiterHint : 0
; COMPUTE_PGM_RSRC2:SCRATCH_EN: 0
; COMPUTE_PGM_RSRC2:USER_SGPR: 14
; COMPUTE_PGM_RSRC2:TRAP_HANDLER: 0
; COMPUTE_PGM_RSRC2:TGID_X_EN: 1
; COMPUTE_PGM_RSRC2:TGID_Y_EN: 1
; COMPUTE_PGM_RSRC2:TGID_Z_EN: 0
; COMPUTE_PGM_RSRC2:TIDIG_COMP_CNT: 0
	.section	.text._ZN2at6native28tensor_kernel_scan_outer_dimIN3c104HalfEmSt4plusIS3_EEEvPT_PKS6_jjjS6_T1_,"axG",@progbits,_ZN2at6native28tensor_kernel_scan_outer_dimIN3c104HalfEmSt4plusIS3_EEEvPT_PKS6_jjjS6_T1_,comdat
	.protected	_ZN2at6native28tensor_kernel_scan_outer_dimIN3c104HalfEmSt4plusIS3_EEEvPT_PKS6_jjjS6_T1_ ; -- Begin function _ZN2at6native28tensor_kernel_scan_outer_dimIN3c104HalfEmSt4plusIS3_EEEvPT_PKS6_jjjS6_T1_
	.globl	_ZN2at6native28tensor_kernel_scan_outer_dimIN3c104HalfEmSt4plusIS3_EEEvPT_PKS6_jjjS6_T1_
	.p2align	8
	.type	_ZN2at6native28tensor_kernel_scan_outer_dimIN3c104HalfEmSt4plusIS3_EEEvPT_PKS6_jjjS6_T1_,@function
_ZN2at6native28tensor_kernel_scan_outer_dimIN3c104HalfEmSt4plusIS3_EEEvPT_PKS6_jjjS6_T1_: ; @_ZN2at6native28tensor_kernel_scan_outer_dimIN3c104HalfEmSt4plusIS3_EEEvPT_PKS6_jjjS6_T1_
; %bb.0:
	s_load_b128 s[4:7], s[0:1], 0x10
	s_waitcnt lgkmcnt(0)
	s_cmp_ge_u32 s14, s4
	s_cbranch_scc1 .LBB109_9
; %bb.1:
	s_clause 0x2
	s_load_b32 s12, s[0:1], 0x2c
	s_load_b128 s[8:11], s[0:1], 0x0
	s_load_b32 s18, s[0:1], 0x20
	s_add_u32 s2, s0, 32
	s_addc_u32 s3, s1, 0
	v_mov_b32_e32 v3, 0
	s_mov_b32 s17, 0
	s_mul_hi_u32 s13, s6, s5
	s_mov_b32 s16, s5
	s_waitcnt lgkmcnt(0)
	s_and_b32 s1, s12, 0xffff
	s_cmp_lg_u32 s6, 0
	v_mad_u64_u32 v[1:2], null, s15, s1, v[0:1]
	s_mul_i32 s12, s6, s5
	s_cselect_b32 s15, -1, 0
	s_lshl_b64 s[12:13], s[12:13], 1
	s_lshl_b64 s[16:17], s[16:17], 1
	s_delay_alu instid0(VALU_DEP_1)
	v_cmp_gt_u32_e64 s0, s5, v1
	s_set_inst_prefetch_distance 0x1
	s_branch .LBB109_3
	.p2align	6
.LBB109_2:                              ;   in Loop: Header=BB109_3 Depth=1
	s_or_b32 exec_lo, exec_lo, s19
	s_add_i32 s14, s14, s18
	s_delay_alu instid0(SALU_CYCLE_1)
	s_cmp_ge_u32 s14, s4
	s_cbranch_scc1 .LBB109_9
.LBB109_3:                              ; =>This Loop Header: Depth=1
                                        ;     Child Loop BB109_6 Depth 2
                                        ;       Child Loop BB109_8 Depth 3
	s_delay_alu instid0(VALU_DEP_1)
	s_and_saveexec_b32 s19, s0
	s_cbranch_execz .LBB109_2
; %bb.4:                                ;   in Loop: Header=BB109_3 Depth=1
	s_load_b32 s22, s[2:3], 0x4
	v_mov_b32_e32 v2, v1
	s_mul_i32 s21, s13, s14
	s_mul_hi_u32 s23, s12, s14
	s_mul_i32 s20, s12, s14
	s_add_i32 s21, s23, s21
	s_mov_b32 s23, 0
	s_waitcnt lgkmcnt(0)
	s_mul_i32 s22, s22, s1
	s_branch .LBB109_6
	.p2align	6
.LBB109_5:                              ;   in Loop: Header=BB109_6 Depth=2
	v_add_nc_u32_e32 v2, s22, v2
	s_delay_alu instid0(VALU_DEP_1) | instskip(SKIP_1) | instid1(SALU_CYCLE_1)
	v_cmp_le_u32_e32 vcc_lo, s5, v2
	s_or_b32 s23, vcc_lo, s23
	s_and_not1_b32 exec_lo, exec_lo, s23
	s_cbranch_execz .LBB109_2
.LBB109_6:                              ;   Parent Loop BB109_3 Depth=1
                                        ; =>  This Loop Header: Depth=2
                                        ;       Child Loop BB109_8 Depth 3
	s_and_not1_b32 vcc_lo, exec_lo, s15
	s_cbranch_vccnz .LBB109_5
; %bb.7:                                ;   in Loop: Header=BB109_6 Depth=2
	v_lshlrev_b64 v[4:5], 1, v[2:3]
	s_mov_b32 s24, s6
	s_delay_alu instid0(VALU_DEP_1) | instskip(NEXT) | instid1(VALU_DEP_2)
	v_add_co_u32 v0, vcc_lo, s20, v4
	v_add_co_ci_u32_e32 v4, vcc_lo, s21, v5, vcc_lo
	v_mov_b32_e32 v5, s7
	.p2align	6
.LBB109_8:                              ;   Parent Loop BB109_3 Depth=1
                                        ;     Parent Loop BB109_6 Depth=2
                                        ; =>    This Inner Loop Header: Depth=3
	s_delay_alu instid0(VALU_DEP_3) | instskip(NEXT) | instid1(VALU_DEP_3)
	v_add_co_u32 v6, vcc_lo, s10, v0
	v_add_co_ci_u32_e32 v7, vcc_lo, s11, v4, vcc_lo
	s_add_i32 s24, s24, -1
	s_delay_alu instid0(SALU_CYCLE_1)
	s_cmp_eq_u32 s24, 0
	global_load_u16 v8, v[6:7], off
	v_add_co_u32 v6, vcc_lo, s8, v0
	v_add_co_ci_u32_e32 v7, vcc_lo, s9, v4, vcc_lo
	v_add_co_u32 v0, vcc_lo, v0, s16
	v_add_co_ci_u32_e32 v4, vcc_lo, s17, v4, vcc_lo
	s_waitcnt vmcnt(0)
	v_add_f16_e32 v5, v8, v5
	global_store_b16 v[6:7], v5, off
	s_cbranch_scc0 .LBB109_8
	s_branch .LBB109_5
.LBB109_9:
	s_set_inst_prefetch_distance 0x2
	s_nop 0
	s_sendmsg sendmsg(MSG_DEALLOC_VGPRS)
	s_endpgm
	.section	.rodata,"a",@progbits
	.p2align	6, 0x0
	.amdhsa_kernel _ZN2at6native28tensor_kernel_scan_outer_dimIN3c104HalfEmSt4plusIS3_EEEvPT_PKS6_jjjS6_T1_
		.amdhsa_group_segment_fixed_size 0
		.amdhsa_private_segment_fixed_size 0
		.amdhsa_kernarg_size 288
		.amdhsa_user_sgpr_count 14
		.amdhsa_user_sgpr_dispatch_ptr 0
		.amdhsa_user_sgpr_queue_ptr 0
		.amdhsa_user_sgpr_kernarg_segment_ptr 1
		.amdhsa_user_sgpr_dispatch_id 0
		.amdhsa_user_sgpr_private_segment_size 0
		.amdhsa_wavefront_size32 1
		.amdhsa_uses_dynamic_stack 0
		.amdhsa_enable_private_segment 0
		.amdhsa_system_sgpr_workgroup_id_x 1
		.amdhsa_system_sgpr_workgroup_id_y 1
		.amdhsa_system_sgpr_workgroup_id_z 0
		.amdhsa_system_sgpr_workgroup_info 0
		.amdhsa_system_vgpr_workitem_id 0
		.amdhsa_next_free_vgpr 9
		.amdhsa_next_free_sgpr 25
		.amdhsa_reserve_vcc 1
		.amdhsa_float_round_mode_32 0
		.amdhsa_float_round_mode_16_64 0
		.amdhsa_float_denorm_mode_32 3
		.amdhsa_float_denorm_mode_16_64 3
		.amdhsa_dx10_clamp 1
		.amdhsa_ieee_mode 1
		.amdhsa_fp16_overflow 0
		.amdhsa_workgroup_processor_mode 1
		.amdhsa_memory_ordered 1
		.amdhsa_forward_progress 0
		.amdhsa_shared_vgpr_count 0
		.amdhsa_exception_fp_ieee_invalid_op 0
		.amdhsa_exception_fp_denorm_src 0
		.amdhsa_exception_fp_ieee_div_zero 0
		.amdhsa_exception_fp_ieee_overflow 0
		.amdhsa_exception_fp_ieee_underflow 0
		.amdhsa_exception_fp_ieee_inexact 0
		.amdhsa_exception_int_div_zero 0
	.end_amdhsa_kernel
	.section	.text._ZN2at6native28tensor_kernel_scan_outer_dimIN3c104HalfEmSt4plusIS3_EEEvPT_PKS6_jjjS6_T1_,"axG",@progbits,_ZN2at6native28tensor_kernel_scan_outer_dimIN3c104HalfEmSt4plusIS3_EEEvPT_PKS6_jjjS6_T1_,comdat
.Lfunc_end109:
	.size	_ZN2at6native28tensor_kernel_scan_outer_dimIN3c104HalfEmSt4plusIS3_EEEvPT_PKS6_jjjS6_T1_, .Lfunc_end109-_ZN2at6native28tensor_kernel_scan_outer_dimIN3c104HalfEmSt4plusIS3_EEEvPT_PKS6_jjjS6_T1_
                                        ; -- End function
	.section	.AMDGPU.csdata,"",@progbits
; Kernel info:
; codeLenInByte = 372
; NumSgprs: 27
; NumVgprs: 9
; ScratchSize: 0
; MemoryBound: 0
; FloatMode: 240
; IeeeMode: 1
; LDSByteSize: 0 bytes/workgroup (compile time only)
; SGPRBlocks: 3
; VGPRBlocks: 1
; NumSGPRsForWavesPerEU: 27
; NumVGPRsForWavesPerEU: 9
; Occupancy: 16
; WaveLimiterHint : 0
; COMPUTE_PGM_RSRC2:SCRATCH_EN: 0
; COMPUTE_PGM_RSRC2:USER_SGPR: 14
; COMPUTE_PGM_RSRC2:TRAP_HANDLER: 0
; COMPUTE_PGM_RSRC2:TGID_X_EN: 1
; COMPUTE_PGM_RSRC2:TGID_Y_EN: 1
; COMPUTE_PGM_RSRC2:TGID_Z_EN: 0
; COMPUTE_PGM_RSRC2:TIDIG_COMP_CNT: 0
	.section	.text._ZN2at4cuda3cub15calc_block_sumsILi512ELi16ELb0EN3c108BFloat16ES4_EEvPKT2_PT3_li,"axG",@progbits,_ZN2at4cuda3cub15calc_block_sumsILi512ELi16ELb0EN3c108BFloat16ES4_EEvPKT2_PT3_li,comdat
	.protected	_ZN2at4cuda3cub15calc_block_sumsILi512ELi16ELb0EN3c108BFloat16ES4_EEvPKT2_PT3_li ; -- Begin function _ZN2at4cuda3cub15calc_block_sumsILi512ELi16ELb0EN3c108BFloat16ES4_EEvPKT2_PT3_li
	.globl	_ZN2at4cuda3cub15calc_block_sumsILi512ELi16ELb0EN3c108BFloat16ES4_EEvPKT2_PT3_li
	.p2align	8
	.type	_ZN2at4cuda3cub15calc_block_sumsILi512ELi16ELb0EN3c108BFloat16ES4_EEvPKT2_PT3_li,@function
_ZN2at4cuda3cub15calc_block_sumsILi512ELi16ELb0EN3c108BFloat16ES4_EEvPKT2_PT3_li: ; @_ZN2at4cuda3cub15calc_block_sumsILi512ELi16ELb0EN3c108BFloat16ES4_EEvPKT2_PT3_li
; %bb.0:
	s_clause 0x1
	s_load_b32 s14, s[0:1], 0x18
	s_load_b64 s[10:11], s[0:1], 0x10
	s_waitcnt lgkmcnt(0)
	s_lshl_b32 s3, s14, 13
	s_delay_alu instid0(SALU_CYCLE_1)
	s_ashr_i32 s4, s3, 31
	s_mul_hi_u32 s5, s3, s15
	s_mul_i32 s4, s4, s15
	s_mul_i32 s12, s3, s15
	s_add_i32 s13, s5, s4
	s_sub_u32 s8, s10, s12
	s_subb_u32 s9, s11, s13
	s_delay_alu instid0(SALU_CYCLE_1) | instskip(NEXT) | instid1(VALU_DEP_1)
	v_cmp_lt_i64_e64 s3, s[8:9], 1
	s_and_b32 vcc_lo, exec_lo, s3
	s_cbranch_vccnz .LBB110_56
; %bb.1:
	s_load_b128 s[4:7], s[0:1], 0x0
	s_mov_b32 s2, s15
	s_mov_b32 s3, 0
	s_cmp_gt_i32 s14, 0
	s_mov_b32 s1, 0
	s_cbranch_scc1 .LBB110_3
; %bb.2:
	s_mov_b32 s0, -1
	s_mov_b32 s11, 0
	s_delay_alu instid0(SALU_CYCLE_1)
	v_mov_b32_e32 v23, s11
	s_and_not1_b32 vcc_lo, exec_lo, s1
	s_cbranch_vccz .LBB110_4
	s_branch .LBB110_53
.LBB110_3:
	s_mov_b32 s0, s3
                                        ; implicit-def: $sgpr11
	v_mov_b32_e32 v23, s11
.LBB110_4:
	v_lshrrev_b32_e32 v1, 4, v0
	s_mul_i32 s0, s2, s14
	v_mbcnt_lo_u32_b32 v19, -1, 0
	s_lshl_b32 s1, s0, 13
	v_dual_mov_b32 v20, 0 :: v_dual_add_nc_u32 v3, 0x200, v0
	v_dual_mov_b32 v23, 0 :: v_dual_and_b32 v18, 62, v1
	v_lshlrev_b32_e32 v1, 1, v0
	s_sub_i32 s1, s10, s1
	s_lshl_b64 s[10:11], s[12:13], 1
	v_and_b32_e32 v21, 15, v19
	s_waitcnt lgkmcnt(0)
	s_add_u32 s4, s4, s10
	s_addc_u32 s5, s5, s11
	v_add_co_u32 v1, s4, s4, v1
	v_or_b32_e32 v4, 0x400, v0
	v_add_nc_u32_e32 v5, 0x600, v0
	v_or_b32_e32 v6, 0x800, v0
	v_add_nc_u32_e32 v7, 0xa00, v0
	;; [unrolled: 2-line block ×7, first 2 shown]
	v_cmp_gt_u32_e64 s0, 32, v0
	v_add_co_ci_u32_e64 v2, null, s5, 0, s4
	v_lshlrev_b32_e32 v22, 1, v21
	s_branch .LBB110_6
.LBB110_5:                              ;   in Loop: Header=BB110_6 Depth=1
	v_lshlrev_b32_e32 v23, 16, v23
	v_lshlrev_b32_e32 v24, 16, v24
	s_add_u32 s8, s8, 0xffffe000
	s_addc_u32 s9, s9, -1
	s_add_i32 s14, s14, -1
	s_addk_i32 s1, 0xe000
	v_add_f32_e32 v23, v23, v24
	s_cmp_eq_u32 s14, 0
	s_mov_b32 s4, 0
	s_cselect_b32 s5, -1, 0
	s_delay_alu instid0(VALU_DEP_1) | instskip(SKIP_4) | instid1(VALU_DEP_1)
	v_bfe_u32 v24, v23, 16, 1
	v_cmp_o_f32_e32 vcc_lo, v23, v23
	s_barrier
	buffer_gl0_inv
	v_add3_u32 v24, v23, v24, 0x7fff
	v_lshrrev_b32_e32 v24, 16, v24
	s_delay_alu instid0(VALU_DEP_1)
	v_cndmask_b32_e32 v23, 0x7fc0, v24, vcc_lo
	v_add_co_u32 v1, vcc_lo, 0x4000, v1
	v_add_co_ci_u32_e32 v2, vcc_lo, 0, v2, vcc_lo
	s_and_not1_b32 vcc_lo, exec_lo, s5
	s_cbranch_vccz .LBB110_52
.LBB110_6:                              ; =>This Inner Loop Header: Depth=1
	v_cmp_gt_i64_e64 s4, 0x2000, s[8:9]
                                        ; implicit-def: $vgpr24
	s_delay_alu instid0(VALU_DEP_1)
	s_and_b32 vcc_lo, exec_lo, s4
	s_mov_b32 s4, -1
	s_cbranch_vccnz .LBB110_9
; %bb.7:                                ;   in Loop: Header=BB110_6 Depth=1
	s_and_b32 vcc_lo, exec_lo, s4
	s_cbranch_vccnz .LBB110_46
.LBB110_8:                              ;   in Loop: Header=BB110_6 Depth=1
	v_cmp_gt_i64_e64 s4, 0x2001, s[8:9]
	s_delay_alu instid0(VALU_DEP_1)
	s_and_b32 vcc_lo, exec_lo, s4
	s_cbranch_vccz .LBB110_5
	s_branch .LBB110_51
.LBB110_9:                              ;   in Loop: Header=BB110_6 Depth=1
	v_dual_mov_b32 v24, 0 :: v_dual_mov_b32 v25, 0
	s_mov_b32 s4, exec_lo
	v_cmpx_gt_u32_e64 s1, v0
	s_cbranch_execz .LBB110_11
; %bb.10:                               ;   in Loop: Header=BB110_6 Depth=1
	global_load_u16 v25, v[1:2], off
.LBB110_11:                             ;   in Loop: Header=BB110_6 Depth=1
	s_or_b32 exec_lo, exec_lo, s4
	s_delay_alu instid0(SALU_CYCLE_1)
	s_mov_b32 s4, exec_lo
	v_cmpx_gt_u32_e64 s1, v3
	s_cbranch_execz .LBB110_13
; %bb.12:                               ;   in Loop: Header=BB110_6 Depth=1
	global_load_u16 v24, v[1:2], off offset:1024
.LBB110_13:                             ;   in Loop: Header=BB110_6 Depth=1
	s_or_b32 exec_lo, exec_lo, s4
	v_dual_mov_b32 v26, 0 :: v_dual_mov_b32 v27, 0
	s_mov_b32 s4, exec_lo
	v_cmpx_gt_u32_e64 s1, v4
	s_cbranch_execz .LBB110_15
; %bb.14:                               ;   in Loop: Header=BB110_6 Depth=1
	global_load_u16 v27, v[1:2], off offset:2048
.LBB110_15:                             ;   in Loop: Header=BB110_6 Depth=1
	s_or_b32 exec_lo, exec_lo, s4
	s_delay_alu instid0(SALU_CYCLE_1)
	s_mov_b32 s4, exec_lo
	v_cmpx_gt_u32_e64 s1, v5
	s_cbranch_execz .LBB110_17
; %bb.16:                               ;   in Loop: Header=BB110_6 Depth=1
	global_load_u16 v26, v[1:2], off offset:3072
.LBB110_17:                             ;   in Loop: Header=BB110_6 Depth=1
	s_or_b32 exec_lo, exec_lo, s4
	v_dual_mov_b32 v28, 0 :: v_dual_mov_b32 v29, 0
	s_mov_b32 s4, exec_lo
	v_cmpx_gt_u32_e64 s1, v6
	s_cbranch_execz .LBB110_19
; %bb.18:                               ;   in Loop: Header=BB110_6 Depth=1
	v_add_co_u32 v29, vcc_lo, 0x1000, v1
	v_add_co_ci_u32_e32 v30, vcc_lo, 0, v2, vcc_lo
	global_load_u16 v29, v[29:30], off
.LBB110_19:                             ;   in Loop: Header=BB110_6 Depth=1
	s_or_b32 exec_lo, exec_lo, s4
	s_delay_alu instid0(SALU_CYCLE_1)
	s_mov_b32 s4, exec_lo
	v_cmpx_gt_u32_e64 s1, v7
	s_cbranch_execz .LBB110_21
; %bb.20:                               ;   in Loop: Header=BB110_6 Depth=1
	v_add_co_u32 v30, vcc_lo, 0x1000, v1
	v_add_co_ci_u32_e32 v31, vcc_lo, 0, v2, vcc_lo
	global_load_u16 v28, v[30:31], off offset:1024
.LBB110_21:                             ;   in Loop: Header=BB110_6 Depth=1
	s_or_b32 exec_lo, exec_lo, s4
	v_dual_mov_b32 v30, 0 :: v_dual_mov_b32 v31, 0
	s_mov_b32 s4, exec_lo
	v_cmpx_gt_u32_e64 s1, v8
	s_cbranch_execz .LBB110_23
; %bb.22:                               ;   in Loop: Header=BB110_6 Depth=1
	v_add_co_u32 v31, vcc_lo, 0x1000, v1
	v_add_co_ci_u32_e32 v32, vcc_lo, 0, v2, vcc_lo
	global_load_u16 v31, v[31:32], off offset:2048
.LBB110_23:                             ;   in Loop: Header=BB110_6 Depth=1
	s_or_b32 exec_lo, exec_lo, s4
	s_delay_alu instid0(SALU_CYCLE_1)
	s_mov_b32 s4, exec_lo
	v_cmpx_gt_u32_e64 s1, v9
	s_cbranch_execz .LBB110_25
; %bb.24:                               ;   in Loop: Header=BB110_6 Depth=1
	v_add_co_u32 v32, vcc_lo, 0x1000, v1
	v_add_co_ci_u32_e32 v33, vcc_lo, 0, v2, vcc_lo
	global_load_u16 v30, v[32:33], off offset:3072
.LBB110_25:                             ;   in Loop: Header=BB110_6 Depth=1
	s_or_b32 exec_lo, exec_lo, s4
	v_dual_mov_b32 v32, 0 :: v_dual_mov_b32 v33, 0
	s_mov_b32 s4, exec_lo
	v_cmpx_gt_u32_e64 s1, v10
	s_cbranch_execz .LBB110_27
; %bb.26:                               ;   in Loop: Header=BB110_6 Depth=1
	v_add_co_u32 v33, vcc_lo, 0x2000, v1
	v_add_co_ci_u32_e32 v34, vcc_lo, 0, v2, vcc_lo
	global_load_u16 v33, v[33:34], off
.LBB110_27:                             ;   in Loop: Header=BB110_6 Depth=1
	s_or_b32 exec_lo, exec_lo, s4
	s_delay_alu instid0(SALU_CYCLE_1)
	s_mov_b32 s4, exec_lo
	v_cmpx_gt_u32_e64 s1, v11
	s_cbranch_execz .LBB110_29
; %bb.28:                               ;   in Loop: Header=BB110_6 Depth=1
	v_add_co_u32 v34, vcc_lo, 0x2000, v1
	v_add_co_ci_u32_e32 v35, vcc_lo, 0, v2, vcc_lo
	global_load_u16 v32, v[34:35], off offset:1024
.LBB110_29:                             ;   in Loop: Header=BB110_6 Depth=1
	s_or_b32 exec_lo, exec_lo, s4
	v_dual_mov_b32 v34, 0 :: v_dual_mov_b32 v35, 0
	s_mov_b32 s4, exec_lo
	v_cmpx_gt_u32_e64 s1, v12
	s_cbranch_execz .LBB110_31
; %bb.30:                               ;   in Loop: Header=BB110_6 Depth=1
	v_add_co_u32 v35, vcc_lo, 0x2000, v1
	v_add_co_ci_u32_e32 v36, vcc_lo, 0, v2, vcc_lo
	global_load_u16 v35, v[35:36], off offset:2048
.LBB110_31:                             ;   in Loop: Header=BB110_6 Depth=1
	s_or_b32 exec_lo, exec_lo, s4
	s_delay_alu instid0(SALU_CYCLE_1)
	s_mov_b32 s4, exec_lo
	v_cmpx_gt_u32_e64 s1, v13
	s_cbranch_execz .LBB110_33
; %bb.32:                               ;   in Loop: Header=BB110_6 Depth=1
	v_add_co_u32 v36, vcc_lo, 0x2000, v1
	v_add_co_ci_u32_e32 v37, vcc_lo, 0, v2, vcc_lo
	global_load_u16 v34, v[36:37], off offset:3072
.LBB110_33:                             ;   in Loop: Header=BB110_6 Depth=1
	;; [unrolled: 40-line block ×3, first 2 shown]
	s_or_b32 exec_lo, exec_lo, s4
	s_waitcnt vmcnt(0)
	v_lshlrev_b32_e32 v24, 16, v24
	v_lshlrev_b32_e32 v27, 16, v27
	v_lshlrev_b32_e32 v25, 16, v25
	v_lshlrev_b32_e32 v26, 16, v26
	s_mov_b32 s4, exec_lo
	s_barrier
	s_delay_alu instid0(VALU_DEP_2) | instskip(SKIP_2) | instid1(VALU_DEP_1)
	v_add_f32_e32 v24, v25, v24
	buffer_gl0_inv
	v_bfe_u32 v25, v24, 16, 1
	v_add3_u32 v25, v24, v25, 0x7fff
	s_delay_alu instid0(VALU_DEP_1) | instskip(SKIP_1) | instid1(VALU_DEP_2)
	v_and_b32_e32 v25, 0xffff0000, v25
	v_cmp_o_f32_e32 vcc_lo, v24, v24
	v_cndmask_b32_e32 v24, 0x7fc00000, v25, vcc_lo
	s_delay_alu instid0(VALU_DEP_1) | instskip(NEXT) | instid1(VALU_DEP_1)
	v_add_f32_e32 v24, v24, v27
	v_bfe_u32 v25, v24, 16, 1
	v_cmp_o_f32_e32 vcc_lo, v24, v24
	s_delay_alu instid0(VALU_DEP_2) | instskip(NEXT) | instid1(VALU_DEP_1)
	v_add3_u32 v25, v24, v25, 0x7fff
	v_and_b32_e32 v25, 0xffff0000, v25
	s_delay_alu instid0(VALU_DEP_1) | instskip(NEXT) | instid1(VALU_DEP_1)
	v_cndmask_b32_e32 v24, 0x7fc00000, v25, vcc_lo
	v_add_f32_e32 v24, v24, v26
	v_lshlrev_b32_e32 v26, 16, v29
	s_delay_alu instid0(VALU_DEP_2) | instskip(SKIP_1) | instid1(VALU_DEP_2)
	v_bfe_u32 v25, v24, 16, 1
	v_cmp_o_f32_e32 vcc_lo, v24, v24
	v_add3_u32 v25, v24, v25, 0x7fff
	s_delay_alu instid0(VALU_DEP_1) | instskip(NEXT) | instid1(VALU_DEP_1)
	v_and_b32_e32 v25, 0xffff0000, v25
	v_cndmask_b32_e32 v24, 0x7fc00000, v25, vcc_lo
	s_delay_alu instid0(VALU_DEP_1) | instskip(SKIP_1) | instid1(VALU_DEP_2)
	v_add_f32_e32 v24, v24, v26
	v_lshlrev_b32_e32 v26, 16, v28
	v_bfe_u32 v25, v24, 16, 1
	v_cmp_o_f32_e32 vcc_lo, v24, v24
	s_delay_alu instid0(VALU_DEP_2) | instskip(NEXT) | instid1(VALU_DEP_1)
	v_add3_u32 v25, v24, v25, 0x7fff
	v_and_b32_e32 v25, 0xffff0000, v25
	s_delay_alu instid0(VALU_DEP_1) | instskip(NEXT) | instid1(VALU_DEP_1)
	v_cndmask_b32_e32 v24, 0x7fc00000, v25, vcc_lo
	v_add_f32_e32 v24, v24, v26
	v_lshlrev_b32_e32 v26, 16, v31
	s_delay_alu instid0(VALU_DEP_2) | instskip(SKIP_1) | instid1(VALU_DEP_2)
	v_bfe_u32 v25, v24, 16, 1
	v_cmp_o_f32_e32 vcc_lo, v24, v24
	v_add3_u32 v25, v24, v25, 0x7fff
	s_delay_alu instid0(VALU_DEP_1) | instskip(NEXT) | instid1(VALU_DEP_1)
	v_and_b32_e32 v25, 0xffff0000, v25
	v_cndmask_b32_e32 v24, 0x7fc00000, v25, vcc_lo
	s_delay_alu instid0(VALU_DEP_1) | instskip(SKIP_1) | instid1(VALU_DEP_2)
	v_add_f32_e32 v24, v24, v26
	v_lshlrev_b32_e32 v26, 16, v30
	;; [unrolled: 19-line block ×6, first 2 shown]
	v_bfe_u32 v25, v24, 16, 1
	v_cmp_o_f32_e32 vcc_lo, v24, v24
	s_delay_alu instid0(VALU_DEP_2) | instskip(NEXT) | instid1(VALU_DEP_1)
	v_add3_u32 v25, v24, v25, 0x7fff
	v_and_b32_e32 v25, 0xffff0000, v25
	s_delay_alu instid0(VALU_DEP_1) | instskip(NEXT) | instid1(VALU_DEP_1)
	v_cndmask_b32_e32 v24, 0x7fc00000, v25, vcc_lo
	v_add_f32_e32 v24, v24, v26
	s_delay_alu instid0(VALU_DEP_1) | instskip(SKIP_1) | instid1(VALU_DEP_2)
	v_bfe_u32 v25, v24, 16, 1
	v_cmp_o_f32_e32 vcc_lo, v24, v24
	v_add3_u32 v25, v24, v25, 0x7fff
	s_delay_alu instid0(VALU_DEP_1) | instskip(NEXT) | instid1(VALU_DEP_1)
	v_lshrrev_b32_e32 v25, 16, v25
	v_cndmask_b32_e32 v24, 0x7fc0, v25, vcc_lo
	s_delay_alu instid0(VALU_DEP_1) | instskip(SKIP_1) | instid1(VALU_DEP_2)
	v_mov_b32_dpp v25, v24 quad_perm:[1,0,3,2] row_mask:0xf bank_mask:0xf
	v_lshlrev_b32_e32 v24, 16, v24
	v_lshlrev_b32_e32 v25, 16, v25
	s_delay_alu instid0(VALU_DEP_1) | instskip(NEXT) | instid1(VALU_DEP_1)
	v_add_f32_e32 v24, v25, v24
	v_bfe_u32 v25, v24, 16, 1
	v_cmp_o_f32_e32 vcc_lo, v24, v24
	s_delay_alu instid0(VALU_DEP_2) | instskip(NEXT) | instid1(VALU_DEP_1)
	v_add3_u32 v25, v24, v25, 0x7fff
	v_lshrrev_b32_e32 v25, 16, v25
	s_delay_alu instid0(VALU_DEP_1) | instskip(NEXT) | instid1(VALU_DEP_1)
	v_cndmask_b32_e32 v24, 0x7fc0, v25, vcc_lo
	v_mov_b32_dpp v25, v24 quad_perm:[2,3,0,1] row_mask:0xf bank_mask:0xf
	v_lshlrev_b32_e32 v24, 16, v24
	s_delay_alu instid0(VALU_DEP_2) | instskip(NEXT) | instid1(VALU_DEP_1)
	v_lshlrev_b32_e32 v25, 16, v25
	v_add_f32_e32 v24, v25, v24
	s_delay_alu instid0(VALU_DEP_1) | instskip(SKIP_1) | instid1(VALU_DEP_2)
	v_bfe_u32 v25, v24, 16, 1
	v_cmp_o_f32_e32 vcc_lo, v24, v24
	v_add3_u32 v25, v24, v25, 0x7fff
	s_delay_alu instid0(VALU_DEP_1) | instskip(NEXT) | instid1(VALU_DEP_1)
	v_lshrrev_b32_e32 v25, 16, v25
	v_cndmask_b32_e32 v24, 0x7fc0, v25, vcc_lo
	s_delay_alu instid0(VALU_DEP_1) | instskip(SKIP_1) | instid1(VALU_DEP_2)
	v_mov_b32_dpp v25, v24 row_ror:4 row_mask:0xf bank_mask:0xf
	v_lshlrev_b32_e32 v24, 16, v24
	v_lshlrev_b32_e32 v25, 16, v25
	s_delay_alu instid0(VALU_DEP_1) | instskip(NEXT) | instid1(VALU_DEP_1)
	v_add_f32_e32 v24, v25, v24
	v_bfe_u32 v25, v24, 16, 1
	v_cmp_o_f32_e32 vcc_lo, v24, v24
	s_delay_alu instid0(VALU_DEP_2) | instskip(NEXT) | instid1(VALU_DEP_1)
	v_add3_u32 v25, v24, v25, 0x7fff
	v_lshrrev_b32_e32 v25, 16, v25
	s_delay_alu instid0(VALU_DEP_1) | instskip(NEXT) | instid1(VALU_DEP_1)
	v_cndmask_b32_e32 v24, 0x7fc0, v25, vcc_lo
	v_mov_b32_dpp v25, v24 row_ror:8 row_mask:0xf bank_mask:0xf
	v_lshlrev_b32_e32 v24, 16, v24
	s_delay_alu instid0(VALU_DEP_2) | instskip(NEXT) | instid1(VALU_DEP_1)
	v_lshlrev_b32_e32 v25, 16, v25
	v_add_f32_e32 v24, v25, v24
	s_delay_alu instid0(VALU_DEP_1) | instskip(SKIP_1) | instid1(VALU_DEP_2)
	v_bfe_u32 v25, v24, 16, 1
	v_cmp_o_f32_e32 vcc_lo, v24, v24
	v_add3_u32 v25, v24, v25, 0x7fff
	s_delay_alu instid0(VALU_DEP_1) | instskip(NEXT) | instid1(VALU_DEP_1)
	v_lshrrev_b32_e32 v25, 16, v25
	v_cndmask_b32_e32 v24, 0x7fc0, v25, vcc_lo
	ds_swizzle_b32 v25, v24 offset:swizzle(BROADCAST,32,15)
	v_lshlrev_b32_e32 v24, 16, v24
	s_waitcnt lgkmcnt(0)
	v_lshlrev_b32_e32 v25, 16, v25
	s_delay_alu instid0(VALU_DEP_1) | instskip(NEXT) | instid1(VALU_DEP_1)
	v_add_f32_e32 v24, v25, v24
	v_bfe_u32 v25, v24, 16, 1
	v_cmp_o_f32_e32 vcc_lo, v24, v24
	s_delay_alu instid0(VALU_DEP_2) | instskip(NEXT) | instid1(VALU_DEP_1)
	v_add3_u32 v25, v24, v25, 0x7fff
	v_lshrrev_b32_e32 v25, 16, v25
	s_delay_alu instid0(VALU_DEP_1)
	v_cndmask_b32_e32 v24, 0x7fc0, v25, vcc_lo
	ds_bpermute_b32 v24, v20, v24 offset:124
	v_cmpx_eq_u32_e32 0, v19
	s_cbranch_execz .LBB110_43
; %bb.42:                               ;   in Loop: Header=BB110_6 Depth=1
	s_waitcnt lgkmcnt(0)
	ds_store_b16 v18, v24
.LBB110_43:                             ;   in Loop: Header=BB110_6 Depth=1
	s_or_b32 exec_lo, exec_lo, s4
	s_waitcnt lgkmcnt(0)
	s_barrier
	buffer_gl0_inv
	s_and_saveexec_b32 s4, s0
	s_cbranch_execz .LBB110_45
; %bb.44:                               ;   in Loop: Header=BB110_6 Depth=1
	ds_load_u16 v24, v22
	v_cmp_ne_u32_e32 vcc_lo, 15, v21
	v_add_co_ci_u32_e32 v25, vcc_lo, 0, v19, vcc_lo
	v_cmp_gt_u32_e32 vcc_lo, 14, v21
	s_delay_alu instid0(VALU_DEP_2) | instskip(SKIP_1) | instid1(VALU_DEP_1)
	v_lshlrev_b32_e32 v25, 2, v25
	v_cndmask_b32_e64 v26, 0, 1, vcc_lo
	v_lshlrev_b32_e32 v26, 1, v26
	s_waitcnt lgkmcnt(0)
	ds_bpermute_b32 v25, v25, v24
	v_lshlrev_b32_e32 v24, 16, v24
	v_add_lshl_u32 v26, v26, v19, 2
	s_waitcnt lgkmcnt(0)
	v_lshlrev_b32_e32 v25, 16, v25
	s_delay_alu instid0(VALU_DEP_1) | instskip(NEXT) | instid1(VALU_DEP_1)
	v_add_f32_e32 v24, v24, v25
	v_bfe_u32 v25, v24, 16, 1
	v_cmp_o_f32_e32 vcc_lo, v24, v24
	s_delay_alu instid0(VALU_DEP_2) | instskip(NEXT) | instid1(VALU_DEP_1)
	v_add3_u32 v25, v24, v25, 0x7fff
	v_lshrrev_b32_e32 v25, 16, v25
	s_delay_alu instid0(VALU_DEP_1) | instskip(SKIP_4) | instid1(VALU_DEP_1)
	v_cndmask_b32_e32 v24, 0x7fc0, v25, vcc_lo
	v_cmp_gt_u32_e32 vcc_lo, 12, v21
	ds_bpermute_b32 v25, v26, v24
	v_lshlrev_b32_e32 v24, 16, v24
	v_cndmask_b32_e64 v26, 0, 1, vcc_lo
	v_lshlrev_b32_e32 v26, 2, v26
	s_delay_alu instid0(VALU_DEP_1) | instskip(SKIP_2) | instid1(VALU_DEP_1)
	v_add_lshl_u32 v26, v26, v19, 2
	s_waitcnt lgkmcnt(0)
	v_lshlrev_b32_e32 v25, 16, v25
	v_add_f32_e32 v24, v25, v24
	s_delay_alu instid0(VALU_DEP_1) | instskip(SKIP_1) | instid1(VALU_DEP_2)
	v_bfe_u32 v25, v24, 16, 1
	v_cmp_o_f32_e32 vcc_lo, v24, v24
	v_add3_u32 v25, v24, v25, 0x7fff
	s_delay_alu instid0(VALU_DEP_1) | instskip(NEXT) | instid1(VALU_DEP_1)
	v_lshrrev_b32_e32 v25, 16, v25
	v_cndmask_b32_e32 v24, 0x7fc0, v25, vcc_lo
	v_cmp_gt_u32_e32 vcc_lo, 8, v21
	ds_bpermute_b32 v25, v26, v24
	v_lshlrev_b32_e32 v24, 16, v24
	v_cndmask_b32_e64 v26, 0, 1, vcc_lo
	s_delay_alu instid0(VALU_DEP_1) | instskip(SKIP_2) | instid1(VALU_DEP_1)
	v_lshlrev_b32_e32 v26, 3, v26
	s_waitcnt lgkmcnt(0)
	v_lshlrev_b32_e32 v25, 16, v25
	v_add_f32_e32 v24, v25, v24
	s_delay_alu instid0(VALU_DEP_1) | instskip(SKIP_1) | instid1(VALU_DEP_2)
	v_bfe_u32 v25, v24, 16, 1
	v_cmp_o_f32_e32 vcc_lo, v24, v24
	v_add3_u32 v25, v24, v25, 0x7fff
	s_delay_alu instid0(VALU_DEP_1) | instskip(NEXT) | instid1(VALU_DEP_1)
	v_lshrrev_b32_e32 v25, 16, v25
	v_cndmask_b32_e32 v24, 0x7fc0, v25, vcc_lo
	v_add_lshl_u32 v25, v26, v19, 2
	ds_bpermute_b32 v25, v25, v24
	v_lshlrev_b32_e32 v24, 16, v24
	s_waitcnt lgkmcnt(0)
	v_lshlrev_b32_e32 v25, 16, v25
	s_delay_alu instid0(VALU_DEP_1) | instskip(NEXT) | instid1(VALU_DEP_1)
	v_add_f32_e32 v24, v25, v24
	v_bfe_u32 v25, v24, 16, 1
	v_cmp_o_f32_e32 vcc_lo, v24, v24
	s_delay_alu instid0(VALU_DEP_2) | instskip(NEXT) | instid1(VALU_DEP_1)
	v_add3_u32 v25, v24, v25, 0x7fff
	v_lshrrev_b32_e32 v25, 16, v25
	s_delay_alu instid0(VALU_DEP_1)
	v_cndmask_b32_e32 v24, 0x7fc0, v25, vcc_lo
.LBB110_45:                             ;   in Loop: Header=BB110_6 Depth=1
	s_or_b32 exec_lo, exec_lo, s4
	s_branch .LBB110_8
.LBB110_46:                             ;   in Loop: Header=BB110_6 Depth=1
	v_add_co_u32 v24, vcc_lo, v1, 0x2000
	v_add_co_ci_u32_e32 v25, vcc_lo, 0, v2, vcc_lo
	v_add_co_u32 v26, vcc_lo, 0x1000, v1
	v_add_co_ci_u32_e32 v27, vcc_lo, 0, v2, vcc_lo
	s_clause 0x8
	global_load_u16 v28, v[1:2], off offset:1024
	global_load_u16 v29, v[1:2], off
	global_load_u16 v30, v[1:2], off offset:2048
	global_load_u16 v31, v[1:2], off offset:3072
	global_load_u16 v32, v[24:25], off offset:-4096
	global_load_u16 v33, v[26:27], off offset:1024
	global_load_u16 v34, v[26:27], off offset:2048
	;; [unrolled: 1-line block ×3, first 2 shown]
	global_load_u16 v27, v[24:25], off
	v_add_co_u32 v24, vcc_lo, 0x2000, v1
	v_add_co_ci_u32_e32 v25, vcc_lo, 0, v2, vcc_lo
	s_mov_b32 s4, exec_lo
	s_clause 0x2
	global_load_u16 v35, v[24:25], off offset:1024
	global_load_u16 v36, v[24:25], off offset:2048
	;; [unrolled: 1-line block ×3, first 2 shown]
	v_add_co_u32 v24, vcc_lo, 0x3000, v1
	v_add_co_ci_u32_e32 v25, vcc_lo, 0, v2, vcc_lo
	s_clause 0x3
	global_load_u16 v38, v[24:25], off
	global_load_u16 v39, v[24:25], off offset:1024
	global_load_u16 v40, v[24:25], off offset:2048
	;; [unrolled: 1-line block ×3, first 2 shown]
	s_waitcnt vmcnt(0)
	s_barrier
	buffer_gl0_inv
	v_lshlrev_b32_e32 v28, 16, v28
	v_lshlrev_b32_e32 v30, 16, v30
	;; [unrolled: 1-line block ×6, first 2 shown]
	s_delay_alu instid0(VALU_DEP_1) | instskip(NEXT) | instid1(VALU_DEP_1)
	v_add_f32_e32 v28, v29, v28
	v_bfe_u32 v29, v28, 16, 1
	s_delay_alu instid0(VALU_DEP_1) | instskip(NEXT) | instid1(VALU_DEP_1)
	v_add3_u32 v29, v28, v29, 0x7fff
	v_and_b32_e32 v29, 0xffff0000, v29
	v_cmp_o_f32_e32 vcc_lo, v28, v28
	s_delay_alu instid0(VALU_DEP_2) | instskip(NEXT) | instid1(VALU_DEP_1)
	v_dual_cndmask_b32 v28, 0x7fc00000, v29 :: v_dual_lshlrev_b32 v29, 16, v31
	v_add_f32_e32 v25, v28, v30
	s_delay_alu instid0(VALU_DEP_1) | instskip(NEXT) | instid1(VALU_DEP_1)
	v_bfe_u32 v28, v25, 16, 1
	v_add3_u32 v28, v25, v28, 0x7fff
	s_delay_alu instid0(VALU_DEP_1) | instskip(SKIP_1) | instid1(VALU_DEP_2)
	v_and_b32_e32 v28, 0xffff0000, v28
	v_cmp_o_f32_e32 vcc_lo, v25, v25
	v_cndmask_b32_e32 v25, 0x7fc00000, v28, vcc_lo
	s_delay_alu instid0(VALU_DEP_1) | instskip(SKIP_1) | instid1(VALU_DEP_2)
	v_add_f32_e32 v25, v25, v29
	v_lshlrev_b32_e32 v29, 16, v32
	v_bfe_u32 v28, v25, 16, 1
	v_cmp_o_f32_e32 vcc_lo, v25, v25
	s_delay_alu instid0(VALU_DEP_2) | instskip(NEXT) | instid1(VALU_DEP_1)
	v_add3_u32 v28, v25, v28, 0x7fff
	v_and_b32_e32 v28, 0xffff0000, v28
	s_delay_alu instid0(VALU_DEP_1) | instskip(NEXT) | instid1(VALU_DEP_1)
	v_cndmask_b32_e32 v25, 0x7fc00000, v28, vcc_lo
	v_add_f32_e32 v25, v25, v29
	v_lshlrev_b32_e32 v29, 16, v33
	s_delay_alu instid0(VALU_DEP_2) | instskip(SKIP_1) | instid1(VALU_DEP_2)
	v_bfe_u32 v28, v25, 16, 1
	v_cmp_o_f32_e32 vcc_lo, v25, v25
	v_add3_u32 v28, v25, v28, 0x7fff
	s_delay_alu instid0(VALU_DEP_1) | instskip(NEXT) | instid1(VALU_DEP_1)
	v_and_b32_e32 v28, 0xffff0000, v28
	v_cndmask_b32_e32 v25, 0x7fc00000, v28, vcc_lo
	s_delay_alu instid0(VALU_DEP_1) | instskip(SKIP_1) | instid1(VALU_DEP_2)
	v_add_f32_e32 v25, v25, v29
	v_lshlrev_b32_e32 v29, 16, v34
	v_bfe_u32 v28, v25, 16, 1
	v_cmp_o_f32_e32 vcc_lo, v25, v25
	s_delay_alu instid0(VALU_DEP_2) | instskip(NEXT) | instid1(VALU_DEP_1)
	v_add3_u32 v28, v25, v28, 0x7fff
	v_and_b32_e32 v28, 0xffff0000, v28
	s_delay_alu instid0(VALU_DEP_1) | instskip(NEXT) | instid1(VALU_DEP_1)
	v_cndmask_b32_e32 v25, 0x7fc00000, v28, vcc_lo
	v_add_f32_e32 v25, v25, v29
	s_delay_alu instid0(VALU_DEP_1) | instskip(SKIP_1) | instid1(VALU_DEP_2)
	v_bfe_u32 v28, v25, 16, 1
	v_cmp_o_f32_e32 vcc_lo, v25, v25
	v_add3_u32 v28, v25, v28, 0x7fff
	s_delay_alu instid0(VALU_DEP_1) | instskip(NEXT) | instid1(VALU_DEP_1)
	v_and_b32_e32 v28, 0xffff0000, v28
	v_cndmask_b32_e32 v25, 0x7fc00000, v28, vcc_lo
	s_delay_alu instid0(VALU_DEP_1) | instskip(NEXT) | instid1(VALU_DEP_1)
	v_add_f32_e32 v25, v25, v26
	v_bfe_u32 v26, v25, 16, 1
	v_cmp_o_f32_e32 vcc_lo, v25, v25
	s_delay_alu instid0(VALU_DEP_2) | instskip(NEXT) | instid1(VALU_DEP_1)
	v_add3_u32 v26, v25, v26, 0x7fff
	v_and_b32_e32 v26, 0xffff0000, v26
	s_delay_alu instid0(VALU_DEP_1) | instskip(NEXT) | instid1(VALU_DEP_1)
	v_cndmask_b32_e32 v25, 0x7fc00000, v26, vcc_lo
	v_add_f32_e32 v25, v25, v27
	v_lshlrev_b32_e32 v27, 16, v35
	s_delay_alu instid0(VALU_DEP_2) | instskip(SKIP_1) | instid1(VALU_DEP_2)
	v_bfe_u32 v26, v25, 16, 1
	v_cmp_o_f32_e32 vcc_lo, v25, v25
	v_add3_u32 v26, v25, v26, 0x7fff
	s_delay_alu instid0(VALU_DEP_1) | instskip(NEXT) | instid1(VALU_DEP_1)
	v_and_b32_e32 v26, 0xffff0000, v26
	v_cndmask_b32_e32 v25, 0x7fc00000, v26, vcc_lo
	s_delay_alu instid0(VALU_DEP_1) | instskip(SKIP_1) | instid1(VALU_DEP_2)
	v_add_f32_e32 v25, v25, v27
	v_lshlrev_b32_e32 v27, 16, v36
	v_bfe_u32 v26, v25, 16, 1
	v_cmp_o_f32_e32 vcc_lo, v25, v25
	s_delay_alu instid0(VALU_DEP_2) | instskip(NEXT) | instid1(VALU_DEP_1)
	v_add3_u32 v26, v25, v26, 0x7fff
	v_and_b32_e32 v26, 0xffff0000, v26
	s_delay_alu instid0(VALU_DEP_1) | instskip(NEXT) | instid1(VALU_DEP_1)
	v_cndmask_b32_e32 v25, 0x7fc00000, v26, vcc_lo
	v_add_f32_e32 v25, v25, v27
	v_lshlrev_b32_e32 v27, 16, v37
	s_delay_alu instid0(VALU_DEP_2) | instskip(SKIP_1) | instid1(VALU_DEP_2)
	v_bfe_u32 v26, v25, 16, 1
	v_cmp_o_f32_e32 vcc_lo, v25, v25
	v_add3_u32 v26, v25, v26, 0x7fff
	s_delay_alu instid0(VALU_DEP_1) | instskip(NEXT) | instid1(VALU_DEP_1)
	v_and_b32_e32 v26, 0xffff0000, v26
	v_cndmask_b32_e32 v25, 0x7fc00000, v26, vcc_lo
	s_delay_alu instid0(VALU_DEP_1) | instskip(SKIP_1) | instid1(VALU_DEP_2)
	v_add_f32_e32 v25, v25, v27
	v_lshlrev_b32_e32 v27, 16, v38
	v_bfe_u32 v26, v25, 16, 1
	v_cmp_o_f32_e32 vcc_lo, v25, v25
	s_delay_alu instid0(VALU_DEP_2) | instskip(NEXT) | instid1(VALU_DEP_1)
	v_add3_u32 v26, v25, v26, 0x7fff
	v_and_b32_e32 v26, 0xffff0000, v26
	s_delay_alu instid0(VALU_DEP_1) | instskip(NEXT) | instid1(VALU_DEP_1)
	v_cndmask_b32_e32 v25, 0x7fc00000, v26, vcc_lo
	v_add_f32_e32 v25, v25, v27
	v_lshlrev_b32_e32 v27, 16, v39
	s_delay_alu instid0(VALU_DEP_2) | instskip(SKIP_1) | instid1(VALU_DEP_2)
	v_bfe_u32 v26, v25, 16, 1
	v_cmp_o_f32_e32 vcc_lo, v25, v25
	v_add3_u32 v26, v25, v26, 0x7fff
	s_delay_alu instid0(VALU_DEP_1) | instskip(NEXT) | instid1(VALU_DEP_1)
	v_and_b32_e32 v26, 0xffff0000, v26
	v_cndmask_b32_e32 v25, 0x7fc00000, v26, vcc_lo
	s_delay_alu instid0(VALU_DEP_1) | instskip(SKIP_1) | instid1(VALU_DEP_2)
	v_add_f32_e32 v25, v25, v27
	v_lshlrev_b32_e32 v27, 16, v40
	v_bfe_u32 v26, v25, 16, 1
	v_cmp_o_f32_e32 vcc_lo, v25, v25
	s_delay_alu instid0(VALU_DEP_2) | instskip(NEXT) | instid1(VALU_DEP_1)
	v_add3_u32 v26, v25, v26, 0x7fff
	v_and_b32_e32 v26, 0xffff0000, v26
	s_delay_alu instid0(VALU_DEP_1) | instskip(NEXT) | instid1(VALU_DEP_1)
	v_cndmask_b32_e32 v25, 0x7fc00000, v26, vcc_lo
	v_add_f32_e32 v25, v25, v27
	s_delay_alu instid0(VALU_DEP_1) | instskip(SKIP_1) | instid1(VALU_DEP_2)
	v_bfe_u32 v26, v25, 16, 1
	v_cmp_o_f32_e32 vcc_lo, v25, v25
	v_add3_u32 v26, v25, v26, 0x7fff
	s_delay_alu instid0(VALU_DEP_1) | instskip(NEXT) | instid1(VALU_DEP_1)
	v_and_b32_e32 v26, 0xffff0000, v26
	v_cndmask_b32_e32 v25, 0x7fc00000, v26, vcc_lo
	s_delay_alu instid0(VALU_DEP_1) | instskip(NEXT) | instid1(VALU_DEP_1)
	v_add_f32_e32 v24, v25, v24
	v_bfe_u32 v25, v24, 16, 1
	v_cmp_o_f32_e32 vcc_lo, v24, v24
	s_delay_alu instid0(VALU_DEP_2) | instskip(NEXT) | instid1(VALU_DEP_1)
	v_add3_u32 v25, v24, v25, 0x7fff
	v_lshrrev_b32_e32 v25, 16, v25
	s_delay_alu instid0(VALU_DEP_1) | instskip(NEXT) | instid1(VALU_DEP_1)
	v_cndmask_b32_e32 v24, 0x7fc0, v25, vcc_lo
	v_mov_b32_dpp v25, v24 quad_perm:[1,0,3,2] row_mask:0xf bank_mask:0xf
	v_lshlrev_b32_e32 v24, 16, v24
	s_delay_alu instid0(VALU_DEP_2) | instskip(NEXT) | instid1(VALU_DEP_1)
	v_lshlrev_b32_e32 v25, 16, v25
	v_add_f32_e32 v24, v25, v24
	s_delay_alu instid0(VALU_DEP_1) | instskip(SKIP_1) | instid1(VALU_DEP_2)
	v_bfe_u32 v25, v24, 16, 1
	v_cmp_o_f32_e32 vcc_lo, v24, v24
	v_add3_u32 v25, v24, v25, 0x7fff
	s_delay_alu instid0(VALU_DEP_1) | instskip(NEXT) | instid1(VALU_DEP_1)
	v_lshrrev_b32_e32 v25, 16, v25
	v_cndmask_b32_e32 v24, 0x7fc0, v25, vcc_lo
	s_delay_alu instid0(VALU_DEP_1) | instskip(SKIP_1) | instid1(VALU_DEP_2)
	v_mov_b32_dpp v25, v24 quad_perm:[2,3,0,1] row_mask:0xf bank_mask:0xf
	v_lshlrev_b32_e32 v24, 16, v24
	v_lshlrev_b32_e32 v25, 16, v25
	s_delay_alu instid0(VALU_DEP_1) | instskip(NEXT) | instid1(VALU_DEP_1)
	v_add_f32_e32 v24, v25, v24
	v_bfe_u32 v25, v24, 16, 1
	v_cmp_o_f32_e32 vcc_lo, v24, v24
	s_delay_alu instid0(VALU_DEP_2) | instskip(NEXT) | instid1(VALU_DEP_1)
	v_add3_u32 v25, v24, v25, 0x7fff
	v_lshrrev_b32_e32 v25, 16, v25
	s_delay_alu instid0(VALU_DEP_1) | instskip(NEXT) | instid1(VALU_DEP_1)
	v_cndmask_b32_e32 v24, 0x7fc0, v25, vcc_lo
	v_mov_b32_dpp v25, v24 row_ror:4 row_mask:0xf bank_mask:0xf
	v_lshlrev_b32_e32 v24, 16, v24
	s_delay_alu instid0(VALU_DEP_2) | instskip(NEXT) | instid1(VALU_DEP_1)
	v_lshlrev_b32_e32 v25, 16, v25
	v_add_f32_e32 v24, v25, v24
	s_delay_alu instid0(VALU_DEP_1) | instskip(SKIP_1) | instid1(VALU_DEP_2)
	v_bfe_u32 v25, v24, 16, 1
	v_cmp_o_f32_e32 vcc_lo, v24, v24
	v_add3_u32 v25, v24, v25, 0x7fff
	s_delay_alu instid0(VALU_DEP_1) | instskip(NEXT) | instid1(VALU_DEP_1)
	v_lshrrev_b32_e32 v25, 16, v25
	v_cndmask_b32_e32 v24, 0x7fc0, v25, vcc_lo
	s_delay_alu instid0(VALU_DEP_1) | instskip(SKIP_1) | instid1(VALU_DEP_2)
	v_mov_b32_dpp v25, v24 row_ror:8 row_mask:0xf bank_mask:0xf
	v_lshlrev_b32_e32 v24, 16, v24
	v_lshlrev_b32_e32 v25, 16, v25
	s_delay_alu instid0(VALU_DEP_1) | instskip(NEXT) | instid1(VALU_DEP_1)
	v_add_f32_e32 v24, v25, v24
	v_bfe_u32 v25, v24, 16, 1
	v_cmp_o_f32_e32 vcc_lo, v24, v24
	s_delay_alu instid0(VALU_DEP_2) | instskip(NEXT) | instid1(VALU_DEP_1)
	v_add3_u32 v25, v24, v25, 0x7fff
	v_lshrrev_b32_e32 v25, 16, v25
	s_delay_alu instid0(VALU_DEP_1) | instskip(SKIP_4) | instid1(VALU_DEP_1)
	v_cndmask_b32_e32 v24, 0x7fc0, v25, vcc_lo
	ds_swizzle_b32 v25, v24 offset:swizzle(BROADCAST,32,15)
	v_lshlrev_b32_e32 v24, 16, v24
	s_waitcnt lgkmcnt(0)
	v_lshlrev_b32_e32 v25, 16, v25
	v_add_f32_e32 v24, v25, v24
	s_delay_alu instid0(VALU_DEP_1) | instskip(SKIP_1) | instid1(VALU_DEP_2)
	v_bfe_u32 v25, v24, 16, 1
	v_cmp_o_f32_e32 vcc_lo, v24, v24
	v_add3_u32 v25, v24, v25, 0x7fff
	s_delay_alu instid0(VALU_DEP_1) | instskip(NEXT) | instid1(VALU_DEP_1)
	v_lshrrev_b32_e32 v25, 16, v25
	v_cndmask_b32_e32 v24, 0x7fc0, v25, vcc_lo
	ds_bpermute_b32 v24, v20, v24 offset:124
	v_cmpx_eq_u32_e32 0, v19
	s_cbranch_execz .LBB110_48
; %bb.47:                               ;   in Loop: Header=BB110_6 Depth=1
	s_waitcnt lgkmcnt(0)
	ds_store_b16 v18, v24
.LBB110_48:                             ;   in Loop: Header=BB110_6 Depth=1
	s_or_b32 exec_lo, exec_lo, s4
	s_waitcnt lgkmcnt(0)
	s_barrier
	buffer_gl0_inv
	s_and_saveexec_b32 s4, s0
	s_cbranch_execz .LBB110_50
; %bb.49:                               ;   in Loop: Header=BB110_6 Depth=1
	ds_load_u16 v24, v22
	v_cmp_ne_u32_e32 vcc_lo, 15, v21
	v_add_co_ci_u32_e32 v25, vcc_lo, 0, v19, vcc_lo
	v_cmp_gt_u32_e32 vcc_lo, 14, v21
	s_delay_alu instid0(VALU_DEP_2) | instskip(SKIP_1) | instid1(VALU_DEP_1)
	v_lshlrev_b32_e32 v25, 2, v25
	v_cndmask_b32_e64 v26, 0, 1, vcc_lo
	v_lshlrev_b32_e32 v26, 1, v26
	s_waitcnt lgkmcnt(0)
	ds_bpermute_b32 v25, v25, v24
	v_lshlrev_b32_e32 v24, 16, v24
	v_add_lshl_u32 v26, v26, v19, 2
	s_waitcnt lgkmcnt(0)
	v_lshlrev_b32_e32 v25, 16, v25
	s_delay_alu instid0(VALU_DEP_1) | instskip(NEXT) | instid1(VALU_DEP_1)
	v_add_f32_e32 v24, v24, v25
	v_bfe_u32 v25, v24, 16, 1
	v_cmp_o_f32_e32 vcc_lo, v24, v24
	s_delay_alu instid0(VALU_DEP_2) | instskip(NEXT) | instid1(VALU_DEP_1)
	v_add3_u32 v25, v24, v25, 0x7fff
	v_lshrrev_b32_e32 v25, 16, v25
	s_delay_alu instid0(VALU_DEP_1) | instskip(SKIP_4) | instid1(VALU_DEP_1)
	v_cndmask_b32_e32 v24, 0x7fc0, v25, vcc_lo
	v_cmp_gt_u32_e32 vcc_lo, 12, v21
	ds_bpermute_b32 v25, v26, v24
	v_lshlrev_b32_e32 v24, 16, v24
	v_cndmask_b32_e64 v26, 0, 1, vcc_lo
	v_lshlrev_b32_e32 v26, 2, v26
	s_delay_alu instid0(VALU_DEP_1) | instskip(SKIP_2) | instid1(VALU_DEP_1)
	v_add_lshl_u32 v26, v26, v19, 2
	s_waitcnt lgkmcnt(0)
	v_lshlrev_b32_e32 v25, 16, v25
	v_add_f32_e32 v24, v25, v24
	s_delay_alu instid0(VALU_DEP_1) | instskip(SKIP_1) | instid1(VALU_DEP_2)
	v_bfe_u32 v25, v24, 16, 1
	v_cmp_o_f32_e32 vcc_lo, v24, v24
	v_add3_u32 v25, v24, v25, 0x7fff
	s_delay_alu instid0(VALU_DEP_1) | instskip(NEXT) | instid1(VALU_DEP_1)
	v_lshrrev_b32_e32 v25, 16, v25
	v_cndmask_b32_e32 v24, 0x7fc0, v25, vcc_lo
	v_cmp_gt_u32_e32 vcc_lo, 8, v21
	ds_bpermute_b32 v25, v26, v24
	v_lshlrev_b32_e32 v24, 16, v24
	v_cndmask_b32_e64 v26, 0, 1, vcc_lo
	s_delay_alu instid0(VALU_DEP_1) | instskip(SKIP_2) | instid1(VALU_DEP_1)
	v_lshlrev_b32_e32 v26, 3, v26
	s_waitcnt lgkmcnt(0)
	v_lshlrev_b32_e32 v25, 16, v25
	v_add_f32_e32 v24, v25, v24
	s_delay_alu instid0(VALU_DEP_1) | instskip(SKIP_1) | instid1(VALU_DEP_2)
	v_bfe_u32 v25, v24, 16, 1
	v_cmp_o_f32_e32 vcc_lo, v24, v24
	v_add3_u32 v25, v24, v25, 0x7fff
	s_delay_alu instid0(VALU_DEP_1) | instskip(NEXT) | instid1(VALU_DEP_1)
	v_lshrrev_b32_e32 v25, 16, v25
	v_cndmask_b32_e32 v24, 0x7fc0, v25, vcc_lo
	v_add_lshl_u32 v25, v26, v19, 2
	ds_bpermute_b32 v25, v25, v24
	v_lshlrev_b32_e32 v24, 16, v24
	s_waitcnt lgkmcnt(0)
	v_lshlrev_b32_e32 v25, 16, v25
	s_delay_alu instid0(VALU_DEP_1) | instskip(NEXT) | instid1(VALU_DEP_1)
	v_add_f32_e32 v24, v25, v24
	v_bfe_u32 v25, v24, 16, 1
	v_cmp_o_f32_e32 vcc_lo, v24, v24
	s_delay_alu instid0(VALU_DEP_2) | instskip(NEXT) | instid1(VALU_DEP_1)
	v_add3_u32 v25, v24, v25, 0x7fff
	v_lshrrev_b32_e32 v25, 16, v25
	s_delay_alu instid0(VALU_DEP_1)
	v_cndmask_b32_e32 v24, 0x7fc0, v25, vcc_lo
.LBB110_50:                             ;   in Loop: Header=BB110_6 Depth=1
	s_or_b32 exec_lo, exec_lo, s4
	v_cmp_gt_i64_e64 s4, 0x2001, s[8:9]
	s_delay_alu instid0(VALU_DEP_1)
	s_and_b32 vcc_lo, exec_lo, s4
	s_cbranch_vccz .LBB110_5
.LBB110_51:
	s_mov_b32 s4, -1
                                        ; implicit-def: $sgpr8_sgpr9
                                        ; implicit-def: $sgpr1
                                        ; implicit-def: $sgpr14
                                        ; implicit-def: $vgpr1_vgpr2
                                        ; implicit-def: $vgpr23
.LBB110_52:
	s_delay_alu instid0(SALU_CYCLE_1)
	s_xor_b32 s0, s4, -1
.LBB110_53:
	s_delay_alu instid0(SALU_CYCLE_1)
	s_and_b32 vcc_lo, exec_lo, s0
	s_cbranch_vccz .LBB110_56
; %bb.54:
	s_mov_b32 s0, exec_lo
	v_cmpx_eq_u32_e32 0, v0
	s_cbranch_execz .LBB110_56
; %bb.55:
	s_lshl_b64 s[0:1], s[2:3], 1
	v_mov_b32_e32 v0, 0
	s_waitcnt lgkmcnt(0)
	s_add_u32 s0, s6, s0
	s_addc_u32 s1, s7, s1
	global_store_b16 v0, v23, s[0:1]
.LBB110_56:
	s_nop 0
	s_sendmsg sendmsg(MSG_DEALLOC_VGPRS)
	s_endpgm
	.section	.rodata,"a",@progbits
	.p2align	6, 0x0
	.amdhsa_kernel _ZN2at4cuda3cub15calc_block_sumsILi512ELi16ELb0EN3c108BFloat16ES4_EEvPKT2_PT3_li
		.amdhsa_group_segment_fixed_size 32
		.amdhsa_private_segment_fixed_size 0
		.amdhsa_kernarg_size 28
		.amdhsa_user_sgpr_count 15
		.amdhsa_user_sgpr_dispatch_ptr 0
		.amdhsa_user_sgpr_queue_ptr 0
		.amdhsa_user_sgpr_kernarg_segment_ptr 1
		.amdhsa_user_sgpr_dispatch_id 0
		.amdhsa_user_sgpr_private_segment_size 0
		.amdhsa_wavefront_size32 1
		.amdhsa_uses_dynamic_stack 0
		.amdhsa_enable_private_segment 0
		.amdhsa_system_sgpr_workgroup_id_x 1
		.amdhsa_system_sgpr_workgroup_id_y 0
		.amdhsa_system_sgpr_workgroup_id_z 0
		.amdhsa_system_sgpr_workgroup_info 0
		.amdhsa_system_vgpr_workitem_id 0
		.amdhsa_next_free_vgpr 42
		.amdhsa_next_free_sgpr 16
		.amdhsa_reserve_vcc 1
		.amdhsa_float_round_mode_32 0
		.amdhsa_float_round_mode_16_64 0
		.amdhsa_float_denorm_mode_32 3
		.amdhsa_float_denorm_mode_16_64 3
		.amdhsa_dx10_clamp 1
		.amdhsa_ieee_mode 1
		.amdhsa_fp16_overflow 0
		.amdhsa_workgroup_processor_mode 1
		.amdhsa_memory_ordered 1
		.amdhsa_forward_progress 0
		.amdhsa_shared_vgpr_count 0
		.amdhsa_exception_fp_ieee_invalid_op 0
		.amdhsa_exception_fp_denorm_src 0
		.amdhsa_exception_fp_ieee_div_zero 0
		.amdhsa_exception_fp_ieee_overflow 0
		.amdhsa_exception_fp_ieee_underflow 0
		.amdhsa_exception_fp_ieee_inexact 0
		.amdhsa_exception_int_div_zero 0
	.end_amdhsa_kernel
	.section	.text._ZN2at4cuda3cub15calc_block_sumsILi512ELi16ELb0EN3c108BFloat16ES4_EEvPKT2_PT3_li,"axG",@progbits,_ZN2at4cuda3cub15calc_block_sumsILi512ELi16ELb0EN3c108BFloat16ES4_EEvPKT2_PT3_li,comdat
.Lfunc_end110:
	.size	_ZN2at4cuda3cub15calc_block_sumsILi512ELi16ELb0EN3c108BFloat16ES4_EEvPKT2_PT3_li, .Lfunc_end110-_ZN2at4cuda3cub15calc_block_sumsILi512ELi16ELb0EN3c108BFloat16ES4_EEvPKT2_PT3_li
                                        ; -- End function
	.section	.AMDGPU.csdata,"",@progbits
; Kernel info:
; codeLenInByte = 4964
; NumSgprs: 18
; NumVgprs: 42
; ScratchSize: 0
; MemoryBound: 0
; FloatMode: 240
; IeeeMode: 1
; LDSByteSize: 32 bytes/workgroup (compile time only)
; SGPRBlocks: 2
; VGPRBlocks: 5
; NumSGPRsForWavesPerEU: 18
; NumVGPRsForWavesPerEU: 42
; Occupancy: 16
; WaveLimiterHint : 1
; COMPUTE_PGM_RSRC2:SCRATCH_EN: 0
; COMPUTE_PGM_RSRC2:USER_SGPR: 15
; COMPUTE_PGM_RSRC2:TRAP_HANDLER: 0
; COMPUTE_PGM_RSRC2:TGID_X_EN: 1
; COMPUTE_PGM_RSRC2:TGID_Y_EN: 0
; COMPUTE_PGM_RSRC2:TGID_Z_EN: 0
; COMPUTE_PGM_RSRC2:TIDIG_COMP_CNT: 0
	.section	.text._ZN2at4cuda3cub17final_scan_kernelILi512ELi16EN3c108BFloat16EEEvPKT1_PS5_S8_li,"axG",@progbits,_ZN2at4cuda3cub17final_scan_kernelILi512ELi16EN3c108BFloat16EEEvPKT1_PS5_S8_li,comdat
	.protected	_ZN2at4cuda3cub17final_scan_kernelILi512ELi16EN3c108BFloat16EEEvPKT1_PS5_S8_li ; -- Begin function _ZN2at4cuda3cub17final_scan_kernelILi512ELi16EN3c108BFloat16EEEvPKT1_PS5_S8_li
	.globl	_ZN2at4cuda3cub17final_scan_kernelILi512ELi16EN3c108BFloat16EEEvPKT1_PS5_S8_li
	.p2align	8
	.type	_ZN2at4cuda3cub17final_scan_kernelILi512ELi16EN3c108BFloat16EEEvPKT1_PS5_S8_li,@function
_ZN2at4cuda3cub17final_scan_kernelILi512ELi16EN3c108BFloat16EEEvPKT1_PS5_S8_li: ; @_ZN2at4cuda3cub17final_scan_kernelILi512ELi16EN3c108BFloat16EEEvPKT1_PS5_S8_li
; %bb.0:
	s_clause 0x1
	s_load_b32 s14, s[0:1], 0x20
	s_load_b256 s[16:23], s[0:1], 0x0
	s_waitcnt lgkmcnt(0)
	s_lshl_b32 s2, s14, 13
	s_delay_alu instid0(SALU_CYCLE_1)
	s_ashr_i32 s3, s2, 31
	s_mul_hi_u32 s4, s2, s15
	s_mul_i32 s3, s3, s15
	s_mul_i32 s12, s2, s15
	s_add_i32 s13, s4, s3
	s_sub_u32 s24, s22, s12
	s_subb_u32 s25, s23, s13
	s_delay_alu instid0(SALU_CYCLE_1) | instskip(NEXT) | instid1(VALU_DEP_1)
	v_cmp_lt_i64_e64 s2, s[24:25], 1
	s_and_b32 vcc_lo, exec_lo, s2
	s_cbranch_vccnz .LBB111_118
; %bb.1:
	v_dual_mov_b32 v3, 0 :: v_dual_lshlrev_b32 v14, 1, v0
	s_mov_b32 s2, exec_lo
	v_cmpx_gt_u32_e64 s15, v0
	s_cbranch_execz .LBB111_3
; %bb.2:
	global_load_u16 v3, v14, s[20:21]
.LBB111_3:
	s_or_b32 exec_lo, exec_lo, s2
	s_load_b32 s0, s[0:1], 0x34
	s_mov_b32 s1, exec_lo
	s_waitcnt lgkmcnt(0)
	s_and_b32 s2, s0, 0xffff
	s_delay_alu instid0(SALU_CYCLE_1) | instskip(NEXT) | instid1(VALU_DEP_1)
	v_add_nc_u32_e32 v1, s2, v0
	v_cmpx_gt_u32_e64 s15, v1
	s_cbranch_execz .LBB111_7
; %bb.4:
	v_mov_b32_e32 v2, 0
	s_mov_b32 s3, 0
	.p2align	6
.LBB111_5:                              ; =>This Inner Loop Header: Depth=1
	s_delay_alu instid0(VALU_DEP_1) | instskip(SKIP_3) | instid1(VALU_DEP_3)
	v_lshlrev_b64 v[4:5], 1, v[1:2]
	s_waitcnt vmcnt(0)
	v_lshlrev_b32_e32 v3, 16, v3
	v_add_nc_u32_e32 v1, s2, v1
	v_add_co_u32 v4, vcc_lo, s20, v4
	s_delay_alu instid0(VALU_DEP_4) | instskip(NEXT) | instid1(VALU_DEP_3)
	v_add_co_ci_u32_e32 v5, vcc_lo, s21, v5, vcc_lo
	v_cmp_le_u32_e32 vcc_lo, s15, v1
	global_load_u16 v4, v[4:5], off
	s_or_b32 s3, vcc_lo, s3
	s_waitcnt vmcnt(0)
	v_lshlrev_b32_e32 v4, 16, v4
	s_delay_alu instid0(VALU_DEP_1) | instskip(NEXT) | instid1(VALU_DEP_1)
	v_add_f32_e32 v3, v3, v4
	v_bfe_u32 v4, v3, 16, 1
	v_cmp_o_f32_e64 s0, v3, v3
	s_delay_alu instid0(VALU_DEP_2) | instskip(NEXT) | instid1(VALU_DEP_1)
	v_add3_u32 v4, v3, v4, 0x7fff
	v_lshrrev_b32_e32 v4, 16, v4
	s_delay_alu instid0(VALU_DEP_1)
	v_cndmask_b32_e64 v3, 0x7fc0, v4, s0
	s_and_not1_b32 exec_lo, exec_lo, s3
	s_cbranch_execnz .LBB111_5
; %bb.6:
	s_or_b32 exec_lo, exec_lo, s3
.LBB111_7:
	s_delay_alu instid0(SALU_CYCLE_1) | instskip(SKIP_3) | instid1(VALU_DEP_2)
	s_or_b32 exec_lo, exec_lo, s1
	s_waitcnt vmcnt(0)
	v_and_b32_e32 v1, 0xffff, v3
	v_lshlrev_b32_e32 v2, 16, v3
	v_mov_b32_dpp v1, v1 quad_perm:[1,0,3,2] row_mask:0xf bank_mask:0xf
	s_delay_alu instid0(VALU_DEP_1) | instskip(NEXT) | instid1(VALU_DEP_1)
	v_lshlrev_b32_e32 v1, 16, v1
	v_add_f32_e32 v1, v2, v1
	s_delay_alu instid0(VALU_DEP_1) | instskip(SKIP_1) | instid1(VALU_DEP_2)
	v_bfe_u32 v2, v1, 16, 1
	v_cmp_o_f32_e32 vcc_lo, v1, v1
	v_add3_u32 v2, v1, v2, 0x7fff
	s_delay_alu instid0(VALU_DEP_1) | instskip(NEXT) | instid1(VALU_DEP_1)
	v_lshrrev_b32_e32 v2, 16, v2
	v_cndmask_b32_e32 v1, 0x7fc0, v2, vcc_lo
	s_delay_alu instid0(VALU_DEP_1) | instskip(SKIP_1) | instid1(VALU_DEP_2)
	v_mov_b32_dpp v2, v1 quad_perm:[2,3,0,1] row_mask:0xf bank_mask:0xf
	v_lshlrev_b32_e32 v1, 16, v1
	v_lshlrev_b32_e32 v2, 16, v2
	s_delay_alu instid0(VALU_DEP_1) | instskip(NEXT) | instid1(VALU_DEP_1)
	v_add_f32_e32 v1, v2, v1
	v_bfe_u32 v2, v1, 16, 1
	v_cmp_o_f32_e32 vcc_lo, v1, v1
	s_delay_alu instid0(VALU_DEP_2) | instskip(NEXT) | instid1(VALU_DEP_1)
	v_add3_u32 v2, v1, v2, 0x7fff
	v_lshrrev_b32_e32 v2, 16, v2
	s_delay_alu instid0(VALU_DEP_1) | instskip(NEXT) | instid1(VALU_DEP_1)
	v_cndmask_b32_e32 v1, 0x7fc0, v2, vcc_lo
	v_mov_b32_dpp v2, v1 row_ror:4 row_mask:0xf bank_mask:0xf
	v_lshlrev_b32_e32 v1, 16, v1
	s_delay_alu instid0(VALU_DEP_2) | instskip(NEXT) | instid1(VALU_DEP_1)
	v_lshlrev_b32_e32 v2, 16, v2
	v_add_f32_e32 v1, v2, v1
	s_delay_alu instid0(VALU_DEP_1) | instskip(SKIP_1) | instid1(VALU_DEP_2)
	v_bfe_u32 v2, v1, 16, 1
	v_cmp_o_f32_e32 vcc_lo, v1, v1
	v_add3_u32 v2, v1, v2, 0x7fff
	s_delay_alu instid0(VALU_DEP_1) | instskip(NEXT) | instid1(VALU_DEP_1)
	v_lshrrev_b32_e32 v2, 16, v2
	v_cndmask_b32_e32 v1, 0x7fc0, v2, vcc_lo
	s_delay_alu instid0(VALU_DEP_1) | instskip(SKIP_1) | instid1(VALU_DEP_2)
	v_mov_b32_dpp v2, v1 row_ror:8 row_mask:0xf bank_mask:0xf
	v_lshlrev_b32_e32 v1, 16, v1
	v_lshlrev_b32_e32 v2, 16, v2
	s_delay_alu instid0(VALU_DEP_1) | instskip(NEXT) | instid1(VALU_DEP_1)
	v_add_f32_e32 v1, v2, v1
	v_bfe_u32 v2, v1, 16, 1
	v_cmp_o_f32_e32 vcc_lo, v1, v1
	s_delay_alu instid0(VALU_DEP_2) | instskip(NEXT) | instid1(VALU_DEP_1)
	v_add3_u32 v2, v1, v2, 0x7fff
	v_lshrrev_b32_e32 v2, 16, v2
	s_delay_alu instid0(VALU_DEP_1) | instskip(SKIP_4) | instid1(VALU_DEP_1)
	v_cndmask_b32_e32 v1, 0x7fc0, v2, vcc_lo
	ds_swizzle_b32 v2, v1 offset:swizzle(BROADCAST,32,15)
	v_lshlrev_b32_e32 v1, 16, v1
	s_waitcnt lgkmcnt(0)
	v_lshlrev_b32_e32 v2, 16, v2
	v_add_f32_e32 v1, v2, v1
	s_delay_alu instid0(VALU_DEP_1) | instskip(SKIP_1) | instid1(VALU_DEP_2)
	v_bfe_u32 v2, v1, 16, 1
	v_cmp_o_f32_e32 vcc_lo, v1, v1
	v_add3_u32 v2, v1, v2, 0x7fff
	s_delay_alu instid0(VALU_DEP_1) | instskip(NEXT) | instid1(VALU_DEP_1)
	v_lshrrev_b32_e32 v2, 16, v2
	v_dual_cndmask_b32 v1, 0x7fc0, v2 :: v_dual_mov_b32 v2, 0
	ds_bpermute_b32 v15, v2, v1 offset:124
	v_mbcnt_lo_u32_b32 v1, -1, 0
	s_delay_alu instid0(VALU_DEP_1) | instskip(NEXT) | instid1(VALU_DEP_1)
	v_cmp_eq_u32_e64 s0, 0, v1
	s_and_saveexec_b32 s1, s0
	s_cbranch_execz .LBB111_9
; %bb.8:
	v_lshrrev_b32_e32 v2, 4, v0
	s_delay_alu instid0(VALU_DEP_1)
	v_and_b32_e32 v2, 62, v2
	s_waitcnt lgkmcnt(0)
	ds_store_b16 v2, v15
.LBB111_9:
	s_or_b32 exec_lo, exec_lo, s1
	v_cmp_lt_u32_e64 s1, 31, v0
	v_cmp_gt_u32_e64 s2, 32, v0
	v_and_b32_e32 v2, 15, v1
	s_waitcnt lgkmcnt(0)
	s_barrier
	buffer_gl0_inv
	s_and_saveexec_b32 s3, s2
	s_cbranch_execz .LBB111_11
; %bb.10:
	v_lshlrev_b32_e32 v3, 1, v2
	v_cmp_ne_u32_e32 vcc_lo, 15, v2
	ds_load_u16 v3, v3
	v_add_co_ci_u32_e32 v4, vcc_lo, 0, v1, vcc_lo
	v_cmp_gt_u32_e32 vcc_lo, 14, v2
	s_delay_alu instid0(VALU_DEP_2) | instskip(SKIP_1) | instid1(VALU_DEP_1)
	v_lshlrev_b32_e32 v4, 2, v4
	v_cndmask_b32_e64 v5, 0, 1, vcc_lo
	v_lshlrev_b32_e32 v5, 1, v5
	s_delay_alu instid0(VALU_DEP_1)
	v_add_lshl_u32 v5, v5, v1, 2
	s_waitcnt lgkmcnt(0)
	ds_bpermute_b32 v4, v4, v3
	v_lshlrev_b32_e32 v3, 16, v3
	s_waitcnt lgkmcnt(0)
	v_lshlrev_b32_e32 v4, 16, v4
	s_delay_alu instid0(VALU_DEP_1) | instskip(NEXT) | instid1(VALU_DEP_1)
	v_add_f32_e32 v3, v3, v4
	v_bfe_u32 v4, v3, 16, 1
	v_cmp_o_f32_e32 vcc_lo, v3, v3
	s_delay_alu instid0(VALU_DEP_2) | instskip(NEXT) | instid1(VALU_DEP_1)
	v_add3_u32 v4, v3, v4, 0x7fff
	v_lshrrev_b32_e32 v4, 16, v4
	s_delay_alu instid0(VALU_DEP_1) | instskip(SKIP_4) | instid1(VALU_DEP_1)
	v_cndmask_b32_e32 v3, 0x7fc0, v4, vcc_lo
	v_cmp_gt_u32_e32 vcc_lo, 12, v2
	ds_bpermute_b32 v4, v5, v3
	v_lshlrev_b32_e32 v3, 16, v3
	v_cndmask_b32_e64 v5, 0, 1, vcc_lo
	v_lshlrev_b32_e32 v5, 2, v5
	s_delay_alu instid0(VALU_DEP_1) | instskip(SKIP_2) | instid1(VALU_DEP_1)
	v_add_lshl_u32 v5, v5, v1, 2
	s_waitcnt lgkmcnt(0)
	v_lshlrev_b32_e32 v4, 16, v4
	v_add_f32_e32 v3, v4, v3
	s_delay_alu instid0(VALU_DEP_1) | instskip(SKIP_1) | instid1(VALU_DEP_2)
	v_bfe_u32 v4, v3, 16, 1
	v_cmp_o_f32_e32 vcc_lo, v3, v3
	v_add3_u32 v4, v3, v4, 0x7fff
	s_delay_alu instid0(VALU_DEP_1) | instskip(NEXT) | instid1(VALU_DEP_1)
	v_lshrrev_b32_e32 v4, 16, v4
	v_cndmask_b32_e32 v3, 0x7fc0, v4, vcc_lo
	v_cmp_gt_u32_e32 vcc_lo, 8, v2
	ds_bpermute_b32 v4, v5, v3
	v_lshlrev_b32_e32 v3, 16, v3
	v_cndmask_b32_e64 v5, 0, 1, vcc_lo
	s_delay_alu instid0(VALU_DEP_1) | instskip(SKIP_2) | instid1(VALU_DEP_1)
	v_lshlrev_b32_e32 v5, 3, v5
	s_waitcnt lgkmcnt(0)
	v_lshlrev_b32_e32 v4, 16, v4
	v_add_f32_e32 v3, v4, v3
	s_delay_alu instid0(VALU_DEP_1) | instskip(SKIP_1) | instid1(VALU_DEP_2)
	v_bfe_u32 v4, v3, 16, 1
	v_cmp_o_f32_e32 vcc_lo, v3, v3
	v_add3_u32 v4, v3, v4, 0x7fff
	s_delay_alu instid0(VALU_DEP_1) | instskip(NEXT) | instid1(VALU_DEP_1)
	v_lshrrev_b32_e32 v4, 16, v4
	v_cndmask_b32_e32 v3, 0x7fc0, v4, vcc_lo
	v_add_lshl_u32 v4, v5, v1, 2
	ds_bpermute_b32 v4, v4, v3
	v_lshlrev_b32_e32 v3, 16, v3
	s_waitcnt lgkmcnt(0)
	v_lshlrev_b32_e32 v4, 16, v4
	s_delay_alu instid0(VALU_DEP_1) | instskip(NEXT) | instid1(VALU_DEP_1)
	v_add_f32_e32 v3, v4, v3
	v_bfe_u32 v4, v3, 16, 1
	v_cmp_o_f32_e32 vcc_lo, v3, v3
	s_delay_alu instid0(VALU_DEP_2) | instskip(NEXT) | instid1(VALU_DEP_1)
	v_add3_u32 v4, v3, v4, 0x7fff
	v_lshrrev_b32_e32 v4, 16, v4
	s_delay_alu instid0(VALU_DEP_1)
	v_cndmask_b32_e32 v15, 0x7fc0, v4, vcc_lo
.LBB111_11:
	s_or_b32 exec_lo, exec_lo, s3
	s_cmp_lt_i32 s14, 1
	s_barrier
	buffer_gl0_inv
	s_cbranch_scc1 .LBB111_118
; %bb.12:
	v_lshlrev_b32_e32 v3, 4, v0
	v_cmp_ne_u32_e64 s3, 0, v2
	v_cmp_lt_u32_e64 s4, 1, v2
	v_cmp_lt_u32_e64 s5, 3, v2
	;; [unrolled: 1-line block ×3, first 2 shown]
	v_and_b32_e32 v3, 0x3e00, v3
	v_and_b32_e32 v2, 16, v1
	s_lshl_b64 s[12:13], s[12:13], 1
	v_cmp_gt_u32_e64 s9, 16, v0
	v_cmp_eq_u32_e64 s10, 0, v0
	v_or_b32_e32 v16, v1, v3
	v_lshrrev_b32_e32 v3, 5, v3
	v_cmp_ne_u32_e64 s7, 0, v2
	v_cmp_ne_u32_e64 s11, 0, v0
	v_lshlrev_b32_e32 v52, 1, v1
	v_or_b32_e32 v17, 32, v16
	v_or_b32_e32 v18, 64, v16
	;; [unrolled: 1-line block ×4, first 2 shown]
	v_add_lshl_u32 v32, v3, v16, 1
	v_add_lshl_u32 v33, v3, v17, 1
	v_lshrrev_b32_e32 v3, 5, v18
	v_lshrrev_b32_e32 v5, 5, v21
	;; [unrolled: 1-line block ×3, first 2 shown]
	v_or_b32_e32 v24, 0x100, v16
	v_or_b32_e32 v27, 0x160, v16
	v_add_lshl_u32 v34, v3, v18, 1
	v_and_b32_e32 v5, 0x1f4, v5
	v_and_b32_e32 v3, 0x1f6, v7
	v_or_b32_e32 v29, 0x1a0, v16
	v_or_b32_e32 v19, 0x60, v16
	v_or_b32_e32 v25, 0x120, v16
	v_add_lshl_u32 v37, v5, v21, 1
	v_add_lshl_u32 v39, v3, v23, 1
	v_lshrrev_b32_e32 v3, 5, v24
	v_lshrrev_b32_e32 v5, 5, v27
	;; [unrolled: 1-line block ×3, first 2 shown]
	v_or_b32_e32 v22, 0xc0, v16
	v_and_b32_e32 v7, 0x3e0, v0
	v_add_lshl_u32 v40, v3, v24, 1
	v_and_b32_e32 v3, 0x1fa, v5
	v_lshrrev_b32_e32 v5, 5, v29
	v_or_b32_e32 v31, 0x1e0, v16
	v_lshrrev_b32_e32 v8, 5, v22
	v_or_b32_e32 v20, 0x80, v16
	v_add_lshl_u32 v43, v3, v27, 1
	v_and_b32_e32 v5, 0x1fc, v5
	v_lshrrev_b32_e32 v3, 5, v31
	v_add_lshl_u32 v38, v8, v22, 1
	v_or_b32_e32 v26, 0x140, v16
	v_lshrrev_b32_e32 v6, 5, v20
	v_add_lshl_u32 v45, v5, v29, 1
	v_add_nc_u32_e32 v5, -1, v1
	v_and_b32_e32 v3, 0x1fe, v3
	v_or_b32_e32 v30, 0x1c0, v16
	v_or_b32_e32 v28, 0x180, v16
	v_add_lshl_u32 v36, v6, v20, 1
	v_cmp_gt_i32_e32 vcc_lo, 0, v5
	v_and_b32_e32 v4, 0x1f2, v4
	v_add_lshl_u32 v47, v3, v31, 1
	v_mov_b32_e32 v53, 0
	v_min_u32_e32 v3, 0x1e0, v7
	v_cndmask_b32_e32 v5, v5, v1, vcc_lo
	v_add_lshl_u32 v35, v4, v19, 1
	v_lshrrev_b32_e32 v4, 5, v25
	v_lshrrev_b32_e32 v6, 5, v26
	v_or_b32_e32 v3, 31, v3
	v_lshrrev_b32_e32 v9, 5, v30
	s_mul_i32 s15, s15, s14
	v_and_b32_e32 v4, 0x1f8, v4
	v_add_lshl_u32 v42, v6, v26, 1
	v_cmp_eq_u32_e64 s8, v3, v0
	v_lshrrev_b32_e32 v6, 5, v28
	v_add_lshl_u32 v46, v9, v30, 1
	v_add_lshl_u32 v41, v4, v25, 1
	v_or_b32_e32 v4, v1, v7
	v_lshlrev_b32_e32 v51, 2, v5
	v_add_lshl_u32 v44, v6, v28, 1
	s_delay_alu instid0(VALU_DEP_3) | instskip(SKIP_1) | instid1(VALU_DEP_2)
	v_lshrrev_b16 v8, 1, v4
	v_lshlrev_b32_e32 v4, 4, v4
	v_and_b32_e32 v8, 0x1fe, v8
	s_delay_alu instid0(VALU_DEP_1) | instskip(SKIP_1) | instid1(VALU_DEP_1)
	v_add_lshl_u32 v48, v8, v4, 1
	v_lshrrev_b32_e32 v4, 5, v0
	v_lshlrev_b32_e32 v2, 10, v4
	v_lshlrev_b32_e32 v49, 1, v4
	s_delay_alu instid0(VALU_DEP_2) | instskip(NEXT) | instid1(VALU_DEP_1)
	v_add_co_u32 v0, s12, s12, v2
	v_add_co_ci_u32_e64 v1, null, s13, 0, s12
	s_delay_alu instid0(VALU_DEP_3) | instskip(NEXT) | instid1(VALU_DEP_3)
	v_add_nc_u32_e32 v50, -2, v49
	v_add_co_u32 v8, vcc_lo, s16, v0
	s_delay_alu instid0(VALU_DEP_3) | instskip(SKIP_3) | instid1(SALU_CYCLE_1)
	v_add_co_ci_u32_e32 v9, vcc_lo, s17, v1, vcc_lo
	v_add_co_u32 v10, vcc_lo, s18, v0
	v_add_co_ci_u32_e32 v11, vcc_lo, s19, v1, vcc_lo
	s_lshl_b32 s12, s15, 13
	s_sub_i32 s13, s22, s12
	s_branch .LBB111_14
.LBB111_13:                             ;   in Loop: Header=BB111_14 Depth=1
	v_add_co_u32 v8, vcc_lo, 0x4000, v8
	v_add_co_ci_u32_e32 v9, vcc_lo, 0, v9, vcc_lo
	s_add_u32 s24, s24, 0xffffe000
	v_add_co_u32 v10, vcc_lo, 0x4000, v10
	s_addc_u32 s25, s25, -1
	s_add_i32 s14, s14, -1
	s_addk_i32 s13, 0xe000
	v_add_co_ci_u32_e32 v11, vcc_lo, 0, v11, vcc_lo
	s_cmp_eq_u32 s14, 0
	s_waitcnt lgkmcnt(0)
	s_waitcnt_vscnt null, 0x0
	s_cselect_b32 s12, -1, 0
	s_barrier
	buffer_gl0_inv
	s_and_not1_b32 vcc_lo, exec_lo, s12
	s_cbranch_vccz .LBB111_118
.LBB111_14:                             ; =>This Inner Loop Header: Depth=1
	v_cmp_lt_i64_e64 s12, 0x1fff, s[24:25]
	v_cmp_gt_i64_e64 s15, 0x2000, s[24:25]
	s_mov_b32 s16, -1
	s_delay_alu instid0(VALU_DEP_2)
	s_and_b32 vcc_lo, exec_lo, s12
	v_cmp_gt_u32_e64 s12, s13, v16
	s_cbranch_vccnz .LBB111_48
; %bb.15:                               ;   in Loop: Header=BB111_14 Depth=1
	v_add_co_u32 v0, vcc_lo, v8, v52
	v_add_co_ci_u32_e32 v1, vcc_lo, 0, v9, vcc_lo
	v_dual_mov_b32 v2, 0 :: v_dual_mov_b32 v3, 0
	s_and_saveexec_b32 s16, s12
	s_cbranch_execz .LBB111_17
; %bb.16:                               ;   in Loop: Header=BB111_14 Depth=1
	global_load_u16 v3, v[0:1], off
.LBB111_17:                             ;   in Loop: Header=BB111_14 Depth=1
	s_or_b32 exec_lo, exec_lo, s16
	s_delay_alu instid0(SALU_CYCLE_1)
	s_mov_b32 s12, exec_lo
	v_cmpx_gt_u32_e64 s13, v17
	s_cbranch_execz .LBB111_19
; %bb.18:                               ;   in Loop: Header=BB111_14 Depth=1
	global_load_u16 v2, v[0:1], off offset:64
.LBB111_19:                             ;   in Loop: Header=BB111_14 Depth=1
	s_or_b32 exec_lo, exec_lo, s12
	v_dual_mov_b32 v4, 0 :: v_dual_mov_b32 v5, 0
	s_mov_b32 s12, exec_lo
	v_cmpx_gt_u32_e64 s13, v18
	s_cbranch_execz .LBB111_21
; %bb.20:                               ;   in Loop: Header=BB111_14 Depth=1
	global_load_u16 v5, v[0:1], off offset:128
.LBB111_21:                             ;   in Loop: Header=BB111_14 Depth=1
	s_or_b32 exec_lo, exec_lo, s12
	s_delay_alu instid0(SALU_CYCLE_1)
	s_mov_b32 s12, exec_lo
	v_cmpx_gt_u32_e64 s13, v19
	s_cbranch_execz .LBB111_23
; %bb.22:                               ;   in Loop: Header=BB111_14 Depth=1
	global_load_u16 v4, v[0:1], off offset:192
.LBB111_23:                             ;   in Loop: Header=BB111_14 Depth=1
	s_or_b32 exec_lo, exec_lo, s12
	v_dual_mov_b32 v6, 0 :: v_dual_mov_b32 v7, 0
	s_mov_b32 s12, exec_lo
	v_cmpx_gt_u32_e64 s13, v20
	s_cbranch_execz .LBB111_25
; %bb.24:                               ;   in Loop: Header=BB111_14 Depth=1
	global_load_u16 v7, v[0:1], off offset:256
.LBB111_25:                             ;   in Loop: Header=BB111_14 Depth=1
	;; [unrolled: 16-line block ×3, first 2 shown]
	s_or_b32 exec_lo, exec_lo, s12
	s_delay_alu instid0(SALU_CYCLE_1)
	s_mov_b32 s12, exec_lo
	v_cmpx_gt_u32_e64 s13, v23
	s_cbranch_execz .LBB111_31
; %bb.30:                               ;   in Loop: Header=BB111_14 Depth=1
	global_load_u16 v12, v[0:1], off offset:448
.LBB111_31:                             ;   in Loop: Header=BB111_14 Depth=1
	s_or_b32 exec_lo, exec_lo, s12
	s_waitcnt lgkmcnt(0)
	v_dual_mov_b32 v54, 0 :: v_dual_mov_b32 v55, 0
	s_mov_b32 s12, exec_lo
	v_cmpx_gt_u32_e64 s13, v24
	s_cbranch_execz .LBB111_33
; %bb.32:                               ;   in Loop: Header=BB111_14 Depth=1
	global_load_u16 v55, v[0:1], off offset:512
.LBB111_33:                             ;   in Loop: Header=BB111_14 Depth=1
	s_or_b32 exec_lo, exec_lo, s12
	s_delay_alu instid0(SALU_CYCLE_1)
	s_mov_b32 s12, exec_lo
	v_cmpx_gt_u32_e64 s13, v25
	s_cbranch_execz .LBB111_35
; %bb.34:                               ;   in Loop: Header=BB111_14 Depth=1
	global_load_u16 v54, v[0:1], off offset:576
.LBB111_35:                             ;   in Loop: Header=BB111_14 Depth=1
	s_or_b32 exec_lo, exec_lo, s12
	v_dual_mov_b32 v56, 0 :: v_dual_mov_b32 v57, 0
	s_mov_b32 s12, exec_lo
	v_cmpx_gt_u32_e64 s13, v26
	s_cbranch_execz .LBB111_37
; %bb.36:                               ;   in Loop: Header=BB111_14 Depth=1
	global_load_u16 v57, v[0:1], off offset:640
.LBB111_37:                             ;   in Loop: Header=BB111_14 Depth=1
	s_or_b32 exec_lo, exec_lo, s12
	s_delay_alu instid0(SALU_CYCLE_1)
	s_mov_b32 s12, exec_lo
	v_cmpx_gt_u32_e64 s13, v27
	s_cbranch_execz .LBB111_39
; %bb.38:                               ;   in Loop: Header=BB111_14 Depth=1
	global_load_u16 v56, v[0:1], off offset:704
.LBB111_39:                             ;   in Loop: Header=BB111_14 Depth=1
	s_or_b32 exec_lo, exec_lo, s12
	;; [unrolled: 16-line block ×4, first 2 shown]
	s_mov_b32 s16, 0
	s_waitcnt vmcnt(0)
	ds_store_b16 v32, v3
	ds_store_b16 v33, v2
	;; [unrolled: 1-line block ×16, first 2 shown]
	; wave barrier
.LBB111_48:                             ;   in Loop: Header=BB111_14 Depth=1
	s_and_b32 vcc_lo, exec_lo, s16
	s_cbranch_vccz .LBB111_50
; %bb.49:                               ;   in Loop: Header=BB111_14 Depth=1
	v_add_co_u32 v0, vcc_lo, v8, v52
	v_add_co_ci_u32_e32 v1, vcc_lo, 0, v9, vcc_lo
	s_clause 0x7
	global_load_u16 v2, v[0:1], off
	global_load_u16 v3, v[0:1], off offset:64
	global_load_u16 v4, v[0:1], off offset:128
	;; [unrolled: 1-line block ×7, first 2 shown]
	s_waitcnt lgkmcnt(0)
	s_clause 0x7
	global_load_u16 v54, v[0:1], off offset:512
	global_load_u16 v55, v[0:1], off offset:576
	;; [unrolled: 1-line block ×8, first 2 shown]
	s_waitcnt vmcnt(15)
	ds_store_b16 v32, v2
	s_waitcnt vmcnt(14)
	ds_store_b16 v33, v3
	;; [unrolled: 2-line block ×16, first 2 shown]
	; wave barrier
.LBB111_50:                             ;   in Loop: Header=BB111_14 Depth=1
	ds_load_b128 v[3:6], v48
	s_waitcnt lgkmcnt(3)
	ds_load_b128 v[56:59], v48 offset:16
	s_waitcnt lgkmcnt(0)
	s_waitcnt_vscnt null, 0x0
	s_barrier
	buffer_gl0_inv
	v_and_b32_e32 v0, 0xffff0000, v3
	v_lshlrev_b32_e32 v12, 16, v3
	s_delay_alu instid0(VALU_DEP_1) | instskip(NEXT) | instid1(VALU_DEP_1)
	v_add_f32_e32 v2, v12, v0
	v_bfe_u32 v1, v2, 16, 1
	s_delay_alu instid0(VALU_DEP_1) | instskip(NEXT) | instid1(VALU_DEP_1)
	v_add3_u32 v1, v2, v1, 0x7fff
	v_and_b32_e32 v3, 0xffff0000, v1
	v_cmp_o_f32_e32 vcc_lo, v2, v2
	s_delay_alu instid0(VALU_DEP_2) | instskip(NEXT) | instid1(VALU_DEP_1)
	v_dual_cndmask_b32 v2, 0x7fc00000, v3 :: v_dual_lshlrev_b32 v1, 16, v4
	v_add_f32_e32 v3, v2, v1
	s_delay_alu instid0(VALU_DEP_1) | instskip(SKIP_1) | instid1(VALU_DEP_2)
	v_bfe_u32 v2, v3, 16, 1
	v_cmp_o_f32_e32 vcc_lo, v3, v3
	v_add3_u32 v2, v3, v2, 0x7fff
	s_delay_alu instid0(VALU_DEP_1) | instskip(SKIP_1) | instid1(VALU_DEP_2)
	v_and_b32_e32 v7, 0xffff0000, v2
	v_and_b32_e32 v2, 0xffff0000, v4
	v_cndmask_b32_e32 v3, 0x7fc00000, v7, vcc_lo
	s_delay_alu instid0(VALU_DEP_1) | instskip(NEXT) | instid1(VALU_DEP_1)
	v_add_f32_e32 v4, v3, v2
	v_bfe_u32 v3, v4, 16, 1
	s_delay_alu instid0(VALU_DEP_1) | instskip(NEXT) | instid1(VALU_DEP_1)
	v_add3_u32 v3, v4, v3, 0x7fff
	v_and_b32_e32 v7, 0xffff0000, v3
	v_cmp_o_f32_e32 vcc_lo, v4, v4
	s_delay_alu instid0(VALU_DEP_2) | instskip(NEXT) | instid1(VALU_DEP_1)
	v_dual_cndmask_b32 v4, 0x7fc00000, v7 :: v_dual_lshlrev_b32 v3, 16, v5
	v_add_f32_e32 v7, v4, v3
	s_delay_alu instid0(VALU_DEP_1) | instskip(SKIP_1) | instid1(VALU_DEP_2)
	v_bfe_u32 v4, v7, 16, 1
	v_cmp_o_f32_e32 vcc_lo, v7, v7
	v_add3_u32 v4, v7, v4, 0x7fff
	s_delay_alu instid0(VALU_DEP_1) | instskip(SKIP_1) | instid1(VALU_DEP_2)
	v_and_b32_e32 v13, 0xffff0000, v4
	v_and_b32_e32 v4, 0xffff0000, v5
	v_cndmask_b32_e32 v5, 0x7fc00000, v13, vcc_lo
	s_delay_alu instid0(VALU_DEP_1) | instskip(NEXT) | instid1(VALU_DEP_1)
	v_add_f32_e32 v7, v5, v4
	v_bfe_u32 v5, v7, 16, 1
	s_delay_alu instid0(VALU_DEP_1) | instskip(NEXT) | instid1(VALU_DEP_1)
	v_add3_u32 v5, v7, v5, 0x7fff
	v_and_b32_e32 v13, 0xffff0000, v5
	v_lshlrev_b32_e32 v5, 16, v6
	v_and_b32_e32 v6, 0xffff0000, v6
	v_cmp_o_f32_e32 vcc_lo, v7, v7
	s_delay_alu instid0(VALU_DEP_4) | instskip(NEXT) | instid1(VALU_DEP_1)
	v_cndmask_b32_e32 v7, 0x7fc00000, v13, vcc_lo
	v_add_f32_e32 v7, v7, v5
	s_delay_alu instid0(VALU_DEP_1) | instskip(SKIP_1) | instid1(VALU_DEP_2)
	v_bfe_u32 v13, v7, 16, 1
	v_cmp_o_f32_e32 vcc_lo, v7, v7
	v_add3_u32 v13, v7, v13, 0x7fff
	s_delay_alu instid0(VALU_DEP_1) | instskip(NEXT) | instid1(VALU_DEP_1)
	v_and_b32_e32 v13, 0xffff0000, v13
	v_cndmask_b32_e32 v7, 0x7fc00000, v13, vcc_lo
	s_delay_alu instid0(VALU_DEP_1) | instskip(NEXT) | instid1(VALU_DEP_1)
	v_add_f32_e32 v13, v7, v6
	v_bfe_u32 v7, v13, 16, 1
	v_cmp_o_f32_e32 vcc_lo, v13, v13
	s_delay_alu instid0(VALU_DEP_2) | instskip(NEXT) | instid1(VALU_DEP_1)
	v_add3_u32 v7, v13, v7, 0x7fff
	v_and_b32_e32 v54, 0xffff0000, v7
	v_lshlrev_b32_e32 v7, 16, v56
	s_delay_alu instid0(VALU_DEP_2) | instskip(NEXT) | instid1(VALU_DEP_1)
	v_cndmask_b32_e32 v13, 0x7fc00000, v54, vcc_lo
	v_add_f32_e32 v54, v13, v7
	s_delay_alu instid0(VALU_DEP_1) | instskip(SKIP_1) | instid1(VALU_DEP_2)
	v_bfe_u32 v13, v54, 16, 1
	v_cmp_o_f32_e32 vcc_lo, v54, v54
	v_add3_u32 v13, v54, v13, 0x7fff
	s_delay_alu instid0(VALU_DEP_1) | instskip(SKIP_1) | instid1(VALU_DEP_2)
	v_and_b32_e32 v55, 0xffff0000, v13
	v_and_b32_e32 v13, 0xffff0000, v56
	v_cndmask_b32_e32 v54, 0x7fc00000, v55, vcc_lo
	s_delay_alu instid0(VALU_DEP_1) | instskip(NEXT) | instid1(VALU_DEP_1)
	v_add_f32_e32 v55, v54, v13
	v_bfe_u32 v54, v55, 16, 1
	s_delay_alu instid0(VALU_DEP_1) | instskip(NEXT) | instid1(VALU_DEP_1)
	v_add3_u32 v54, v55, v54, 0x7fff
	v_and_b32_e32 v56, 0xffff0000, v54
	v_cmp_o_f32_e32 vcc_lo, v55, v55
	s_delay_alu instid0(VALU_DEP_2) | instskip(NEXT) | instid1(VALU_DEP_1)
	v_dual_cndmask_b32 v55, 0x7fc00000, v56 :: v_dual_lshlrev_b32 v54, 16, v57
	v_add_f32_e32 v56, v55, v54
	s_delay_alu instid0(VALU_DEP_1) | instskip(SKIP_1) | instid1(VALU_DEP_2)
	v_bfe_u32 v55, v56, 16, 1
	v_cmp_o_f32_e32 vcc_lo, v56, v56
	v_add3_u32 v55, v56, v55, 0x7fff
	s_delay_alu instid0(VALU_DEP_1) | instskip(SKIP_1) | instid1(VALU_DEP_2)
	v_and_b32_e32 v60, 0xffff0000, v55
	v_and_b32_e32 v55, 0xffff0000, v57
	v_cndmask_b32_e32 v56, 0x7fc00000, v60, vcc_lo
	s_delay_alu instid0(VALU_DEP_1) | instskip(NEXT) | instid1(VALU_DEP_1)
	v_add_f32_e32 v57, v56, v55
	v_bfe_u32 v56, v57, 16, 1
	s_delay_alu instid0(VALU_DEP_1) | instskip(NEXT) | instid1(VALU_DEP_1)
	v_add3_u32 v56, v57, v56, 0x7fff
	v_and_b32_e32 v60, 0xffff0000, v56
	v_cmp_o_f32_e32 vcc_lo, v57, v57
	s_delay_alu instid0(VALU_DEP_2) | instskip(NEXT) | instid1(VALU_DEP_1)
	v_dual_cndmask_b32 v57, 0x7fc00000, v60 :: v_dual_lshlrev_b32 v56, 16, v58
	v_add_f32_e32 v60, v57, v56
	s_delay_alu instid0(VALU_DEP_1) | instskip(SKIP_1) | instid1(VALU_DEP_2)
	v_bfe_u32 v57, v60, 16, 1
	v_cmp_o_f32_e32 vcc_lo, v60, v60
	v_add3_u32 v57, v60, v57, 0x7fff
	s_delay_alu instid0(VALU_DEP_1) | instskip(SKIP_1) | instid1(VALU_DEP_2)
	v_and_b32_e32 v61, 0xffff0000, v57
	v_and_b32_e32 v57, 0xffff0000, v58
	v_cndmask_b32_e32 v58, 0x7fc00000, v61, vcc_lo
	s_delay_alu instid0(VALU_DEP_1) | instskip(NEXT) | instid1(VALU_DEP_1)
	v_add_f32_e32 v60, v58, v57
	v_bfe_u32 v58, v60, 16, 1
	v_cmp_o_f32_e32 vcc_lo, v60, v60
	s_delay_alu instid0(VALU_DEP_2) | instskip(NEXT) | instid1(VALU_DEP_1)
	v_add3_u32 v58, v60, v58, 0x7fff
	v_and_b32_e32 v61, 0xffff0000, v58
	v_lshlrev_b32_e32 v58, 16, v59
	v_and_b32_e32 v59, 0xffff0000, v59
	s_delay_alu instid0(VALU_DEP_3) | instskip(NEXT) | instid1(VALU_DEP_1)
	v_cndmask_b32_e32 v60, 0x7fc00000, v61, vcc_lo
	v_add_f32_e32 v60, v60, v58
	s_delay_alu instid0(VALU_DEP_1) | instskip(SKIP_1) | instid1(VALU_DEP_2)
	v_bfe_u32 v61, v60, 16, 1
	v_cmp_o_f32_e32 vcc_lo, v60, v60
	v_add3_u32 v61, v60, v61, 0x7fff
	s_delay_alu instid0(VALU_DEP_1) | instskip(NEXT) | instid1(VALU_DEP_1)
	v_and_b32_e32 v61, 0xffff0000, v61
	v_cndmask_b32_e32 v60, 0x7fc00000, v61, vcc_lo
	s_delay_alu instid0(VALU_DEP_1) | instskip(NEXT) | instid1(VALU_DEP_1)
	v_add_f32_e32 v60, v60, v59
	v_bfe_u32 v61, v60, 16, 1
	v_cmp_o_f32_e32 vcc_lo, v60, v60
	s_delay_alu instid0(VALU_DEP_2) | instskip(NEXT) | instid1(VALU_DEP_1)
	v_add3_u32 v61, v60, v61, 0x7fff
	v_lshrrev_b32_e32 v61, 16, v61
	s_delay_alu instid0(VALU_DEP_1) | instskip(NEXT) | instid1(VALU_DEP_1)
	v_cndmask_b32_e32 v60, 0x7fc0, v61, vcc_lo
	v_and_b32_e32 v61, 0xffff, v60
	s_delay_alu instid0(VALU_DEP_1)
	v_mov_b32_dpp v62, v61 row_shr:1 row_mask:0xf bank_mask:0xf
	s_and_saveexec_b32 s12, s3
; %bb.51:                               ;   in Loop: Header=BB111_14 Depth=1
	s_delay_alu instid0(VALU_DEP_1) | instskip(SKIP_1) | instid1(VALU_DEP_1)
	v_lshlrev_b32_e32 v60, 16, v62
	v_lshlrev_b32_e32 v61, 16, v61
	v_add_f32_e32 v60, v60, v61
	s_delay_alu instid0(VALU_DEP_1) | instskip(SKIP_1) | instid1(VALU_DEP_2)
	v_bfe_u32 v61, v60, 16, 1
	v_cmp_o_f32_e32 vcc_lo, v60, v60
	v_add3_u32 v61, v60, v61, 0x7fff
	s_delay_alu instid0(VALU_DEP_1) | instskip(NEXT) | instid1(VALU_DEP_1)
	v_lshrrev_b32_e32 v61, 16, v61
	v_cndmask_b32_e32 v60, 0x7fc0, v61, vcc_lo
	s_delay_alu instid0(VALU_DEP_1)
	v_and_b32_e32 v61, 0xffff, v60
; %bb.52:                               ;   in Loop: Header=BB111_14 Depth=1
	s_or_b32 exec_lo, exec_lo, s12
	s_delay_alu instid0(VALU_DEP_1)
	v_mov_b32_dpp v62, v61 row_shr:2 row_mask:0xf bank_mask:0xf
	s_and_saveexec_b32 s12, s4
; %bb.53:                               ;   in Loop: Header=BB111_14 Depth=1
	s_delay_alu instid0(VALU_DEP_1) | instskip(SKIP_1) | instid1(VALU_DEP_1)
	v_lshlrev_b32_e32 v60, 16, v62
	v_lshlrev_b32_e32 v61, 16, v61
	v_add_f32_e32 v60, v61, v60
	s_delay_alu instid0(VALU_DEP_1) | instskip(SKIP_1) | instid1(VALU_DEP_2)
	v_bfe_u32 v61, v60, 16, 1
	v_cmp_o_f32_e32 vcc_lo, v60, v60
	v_add3_u32 v61, v60, v61, 0x7fff
	s_delay_alu instid0(VALU_DEP_1) | instskip(NEXT) | instid1(VALU_DEP_1)
	v_lshrrev_b32_e32 v61, 16, v61
	v_cndmask_b32_e32 v60, 0x7fc0, v61, vcc_lo
	s_delay_alu instid0(VALU_DEP_1)
	v_and_b32_e32 v61, 0xffff, v60
; %bb.54:                               ;   in Loop: Header=BB111_14 Depth=1
	s_or_b32 exec_lo, exec_lo, s12
	;; [unrolled: 19-line block ×4, first 2 shown]
	ds_swizzle_b32 v62, v61 offset:swizzle(BROADCAST,32,15)
	s_and_saveexec_b32 s12, s7
	s_cbranch_execz .LBB111_60
; %bb.59:                               ;   in Loop: Header=BB111_14 Depth=1
	s_waitcnt lgkmcnt(0)
	v_lshlrev_b32_e32 v60, 16, v62
	v_lshlrev_b32_e32 v61, 16, v61
	s_delay_alu instid0(VALU_DEP_1) | instskip(NEXT) | instid1(VALU_DEP_1)
	v_add_f32_e32 v60, v61, v60
	v_bfe_u32 v61, v60, 16, 1
	v_cmp_o_f32_e32 vcc_lo, v60, v60
	s_delay_alu instid0(VALU_DEP_2) | instskip(NEXT) | instid1(VALU_DEP_1)
	v_add3_u32 v61, v60, v61, 0x7fff
	v_lshrrev_b32_e32 v61, 16, v61
	s_delay_alu instid0(VALU_DEP_1)
	v_cndmask_b32_e32 v60, 0x7fc0, v61, vcc_lo
.LBB111_60:                             ;   in Loop: Header=BB111_14 Depth=1
	s_or_b32 exec_lo, exec_lo, s12
	s_and_saveexec_b32 s12, s8
	s_cbranch_execz .LBB111_62
; %bb.61:                               ;   in Loop: Header=BB111_14 Depth=1
	ds_store_b16 v49, v60
.LBB111_62:                             ;   in Loop: Header=BB111_14 Depth=1
	s_or_b32 exec_lo, exec_lo, s12
	s_waitcnt lgkmcnt(0)
	s_barrier
	buffer_gl0_inv
	s_and_saveexec_b32 s12, s9
	s_cbranch_execz .LBB111_72
; %bb.63:                               ;   in Loop: Header=BB111_14 Depth=1
	ds_load_u16 v61, v14
	s_waitcnt lgkmcnt(0)
	v_and_b32_e32 v62, 0xffff, v61
	s_delay_alu instid0(VALU_DEP_1)
	v_mov_b32_dpp v63, v62 row_shr:1 row_mask:0xf bank_mask:0xf
	s_and_saveexec_b32 s16, s3
; %bb.64:                               ;   in Loop: Header=BB111_14 Depth=1
	s_delay_alu instid0(VALU_DEP_1) | instskip(SKIP_1) | instid1(VALU_DEP_1)
	v_lshlrev_b32_e32 v61, 16, v63
	v_lshlrev_b32_e32 v62, 16, v62
	v_add_f32_e32 v61, v62, v61
	s_delay_alu instid0(VALU_DEP_1) | instskip(SKIP_1) | instid1(VALU_DEP_2)
	v_bfe_u32 v62, v61, 16, 1
	v_cmp_o_f32_e32 vcc_lo, v61, v61
	v_add3_u32 v62, v61, v62, 0x7fff
	s_delay_alu instid0(VALU_DEP_1) | instskip(NEXT) | instid1(VALU_DEP_1)
	v_lshrrev_b32_e32 v62, 16, v62
	v_cndmask_b32_e32 v61, 0x7fc0, v62, vcc_lo
	s_delay_alu instid0(VALU_DEP_1)
	v_and_b32_e32 v62, 0xffff, v61
; %bb.65:                               ;   in Loop: Header=BB111_14 Depth=1
	s_or_b32 exec_lo, exec_lo, s16
	s_delay_alu instid0(VALU_DEP_1)
	v_mov_b32_dpp v63, v62 row_shr:2 row_mask:0xf bank_mask:0xf
	s_and_saveexec_b32 s16, s4
; %bb.66:                               ;   in Loop: Header=BB111_14 Depth=1
	s_delay_alu instid0(VALU_DEP_1) | instskip(SKIP_1) | instid1(VALU_DEP_1)
	v_lshlrev_b32_e32 v61, 16, v63
	v_lshlrev_b32_e32 v62, 16, v62
	v_add_f32_e32 v61, v62, v61
	s_delay_alu instid0(VALU_DEP_1) | instskip(SKIP_1) | instid1(VALU_DEP_2)
	v_bfe_u32 v62, v61, 16, 1
	v_cmp_o_f32_e32 vcc_lo, v61, v61
	v_add3_u32 v62, v61, v62, 0x7fff
	s_delay_alu instid0(VALU_DEP_1) | instskip(NEXT) | instid1(VALU_DEP_1)
	v_lshrrev_b32_e32 v62, 16, v62
	v_cndmask_b32_e32 v61, 0x7fc0, v62, vcc_lo
	s_delay_alu instid0(VALU_DEP_1)
	v_and_b32_e32 v62, 0xffff, v61
; %bb.67:                               ;   in Loop: Header=BB111_14 Depth=1
	s_or_b32 exec_lo, exec_lo, s16
	;; [unrolled: 19-line block ×3, first 2 shown]
	s_delay_alu instid0(VALU_DEP_1)
	v_mov_b32_dpp v63, v62 row_shr:8 row_mask:0xf bank_mask:0xf
	s_and_saveexec_b32 s16, s6
; %bb.70:                               ;   in Loop: Header=BB111_14 Depth=1
	s_delay_alu instid0(VALU_DEP_1) | instskip(SKIP_1) | instid1(VALU_DEP_1)
	v_lshlrev_b32_e32 v61, 16, v63
	v_lshlrev_b32_e32 v62, 16, v62
	v_add_f32_e32 v61, v62, v61
	s_delay_alu instid0(VALU_DEP_1) | instskip(SKIP_1) | instid1(VALU_DEP_2)
	v_bfe_u32 v62, v61, 16, 1
	v_cmp_o_f32_e32 vcc_lo, v61, v61
	v_add3_u32 v62, v61, v62, 0x7fff
	s_delay_alu instid0(VALU_DEP_1) | instskip(NEXT) | instid1(VALU_DEP_1)
	v_lshrrev_b32_e32 v62, 16, v62
	v_cndmask_b32_e32 v61, 0x7fc0, v62, vcc_lo
; %bb.71:                               ;   in Loop: Header=BB111_14 Depth=1
	s_or_b32 exec_lo, exec_lo, s16
	ds_store_b16 v14, v61
.LBB111_72:                             ;   in Loop: Header=BB111_14 Depth=1
	s_or_b32 exec_lo, exec_lo, s12
	s_waitcnt lgkmcnt(0)
	s_barrier
	buffer_gl0_inv
                                        ; implicit-def: $vgpr61
	s_and_saveexec_b32 s12, s1
	s_cbranch_execz .LBB111_74
; %bb.73:                               ;   in Loop: Header=BB111_14 Depth=1
	ds_load_u16 v61, v50
	v_lshlrev_b32_e32 v60, 16, v60
	s_waitcnt lgkmcnt(0)
	v_lshlrev_b32_e32 v62, 16, v61
	s_delay_alu instid0(VALU_DEP_1) | instskip(NEXT) | instid1(VALU_DEP_1)
	v_add_f32_e32 v60, v60, v62
	v_bfe_u32 v62, v60, 16, 1
	v_cmp_o_f32_e32 vcc_lo, v60, v60
	s_delay_alu instid0(VALU_DEP_2) | instskip(NEXT) | instid1(VALU_DEP_1)
	v_add3_u32 v62, v60, v62, 0x7fff
	v_lshrrev_b32_e32 v62, 16, v62
	s_delay_alu instid0(VALU_DEP_1)
	v_cndmask_b32_e32 v60, 0x7fc0, v62, vcc_lo
.LBB111_74:                             ;   in Loop: Header=BB111_14 Depth=1
	s_or_b32 exec_lo, exec_lo, s12
	s_delay_alu instid0(VALU_DEP_1)
	v_and_b32_e32 v60, 0xffff, v60
	ds_bpermute_b32 v60, v51, v60
	s_and_saveexec_b32 s12, s2
	s_cbranch_execz .LBB111_78
; %bb.75:                               ;   in Loop: Header=BB111_14 Depth=1
	ds_load_u16 v62, v53 offset:30
	v_lshlrev_b32_e32 v63, 16, v15
	s_waitcnt lgkmcnt(0)
	v_lshlrev_b32_e32 v62, 16, v62
	s_delay_alu instid0(VALU_DEP_1) | instskip(NEXT) | instid1(VALU_DEP_1)
	v_add_f32_e32 v62, v63, v62
	v_cmp_o_f32_e32 vcc_lo, v62, v62
	s_and_saveexec_b32 s16, s10
	s_cbranch_execz .LBB111_77
; %bb.76:                               ;   in Loop: Header=BB111_14 Depth=1
	ds_store_b16 v53, v15 offset:30
.LBB111_77:                             ;   in Loop: Header=BB111_14 Depth=1
	s_or_b32 exec_lo, exec_lo, s16
	v_bfe_u32 v15, v62, 16, 1
	s_delay_alu instid0(VALU_DEP_1) | instskip(NEXT) | instid1(VALU_DEP_1)
	v_add3_u32 v15, v62, v15, 0x7fff
	v_lshrrev_b32_e32 v15, 16, v15
	s_delay_alu instid0(VALU_DEP_1)
	v_cndmask_b32_e32 v15, 0x7fc0, v15, vcc_lo
.LBB111_78:                             ;   in Loop: Header=BB111_14 Depth=1
	s_or_b32 exec_lo, exec_lo, s12
	s_waitcnt lgkmcnt(0)
	s_barrier
	buffer_gl0_inv
	ds_load_u16 v62, v53 offset:30
	s_and_saveexec_b32 s12, s11
; %bb.79:                               ;   in Loop: Header=BB111_14 Depth=1
	v_cndmask_b32_e64 v60, v60, v61, s0
	s_delay_alu instid0(VALU_DEP_1) | instskip(NEXT) | instid1(VALU_DEP_1)
	v_lshlrev_b32_e32 v60, 16, v60
	v_add_f32_e32 v12, v12, v60
	s_delay_alu instid0(VALU_DEP_1) | instskip(SKIP_1) | instid1(VALU_DEP_2)
	v_bfe_u32 v60, v12, 16, 1
	v_cmp_o_f32_e32 vcc_lo, v12, v12
	v_add3_u32 v60, v12, v60, 0x7fff
	s_delay_alu instid0(VALU_DEP_1) | instskip(NEXT) | instid1(VALU_DEP_1)
	v_and_b32_e32 v60, 0xffff0000, v60
	v_cndmask_b32_e32 v12, 0x7fc00000, v60, vcc_lo
; %bb.80:                               ;   in Loop: Header=BB111_14 Depth=1
	s_or_b32 exec_lo, exec_lo, s12
	s_waitcnt lgkmcnt(0)
	v_lshlrev_b32_e32 v60, 16, v62
	s_barrier
	buffer_gl0_inv
	v_add_f32_e32 v12, v12, v60
	s_delay_alu instid0(VALU_DEP_1) | instskip(SKIP_1) | instid1(VALU_DEP_2)
	v_bfe_u32 v60, v12, 16, 1
	v_cmp_o_f32_e32 vcc_lo, v12, v12
	v_add3_u32 v60, v12, v60, 0x7fff
	s_delay_alu instid0(VALU_DEP_1) | instskip(NEXT) | instid1(VALU_DEP_1)
	v_lshrrev_b32_e32 v60, 16, v60
	v_cndmask_b32_e32 v12, 0x7fc0, v60, vcc_lo
	s_delay_alu instid0(VALU_DEP_1) | instskip(NEXT) | instid1(VALU_DEP_1)
	v_lshlrev_b32_e32 v60, 16, v12
	v_add_f32_e32 v0, v0, v60
	s_delay_alu instid0(VALU_DEP_1) | instskip(SKIP_1) | instid1(VALU_DEP_2)
	v_bfe_u32 v60, v0, 16, 1
	v_cmp_o_f32_e32 vcc_lo, v0, v0
	v_add3_u32 v60, v0, v60, 0x7fff
	s_delay_alu instid0(VALU_DEP_1) | instskip(NEXT) | instid1(VALU_DEP_1)
	v_lshrrev_b32_e32 v60, 16, v60
	v_cndmask_b32_e32 v0, 0x7fc0, v60, vcc_lo
	s_delay_alu instid0(VALU_DEP_1) | instskip(NEXT) | instid1(VALU_DEP_1)
	v_lshlrev_b32_e32 v60, 16, v0
	v_add_f32_e32 v1, v1, v60
	s_delay_alu instid0(VALU_DEP_1) | instskip(SKIP_1) | instid1(VALU_DEP_2)
	v_bfe_u32 v60, v1, 16, 1
	v_cmp_o_f32_e32 vcc_lo, v1, v1
	v_add3_u32 v60, v1, v60, 0x7fff
	s_delay_alu instid0(VALU_DEP_1) | instskip(NEXT) | instid1(VALU_DEP_1)
	v_lshrrev_b32_e32 v60, 16, v60
	v_cndmask_b32_e32 v1, 0x7fc0, v60, vcc_lo
	s_delay_alu instid0(VALU_DEP_1) | instskip(NEXT) | instid1(VALU_DEP_1)
	v_lshlrev_b32_e32 v60, 16, v1
	v_add_f32_e32 v2, v2, v60
	s_delay_alu instid0(VALU_DEP_1) | instskip(SKIP_1) | instid1(VALU_DEP_2)
	v_bfe_u32 v60, v2, 16, 1
	v_cmp_o_f32_e32 vcc_lo, v2, v2
	v_add3_u32 v60, v2, v60, 0x7fff
	s_delay_alu instid0(VALU_DEP_1) | instskip(NEXT) | instid1(VALU_DEP_1)
	v_lshrrev_b32_e32 v60, 16, v60
	v_cndmask_b32_e32 v2, 0x7fc0, v60, vcc_lo
	s_delay_alu instid0(VALU_DEP_1) | instskip(NEXT) | instid1(VALU_DEP_1)
	v_lshlrev_b32_e32 v60, 16, v2
	v_add_f32_e32 v3, v3, v60
	s_delay_alu instid0(VALU_DEP_1) | instskip(SKIP_1) | instid1(VALU_DEP_2)
	v_bfe_u32 v60, v3, 16, 1
	v_cmp_o_f32_e32 vcc_lo, v3, v3
	v_add3_u32 v60, v3, v60, 0x7fff
	s_delay_alu instid0(VALU_DEP_1) | instskip(NEXT) | instid1(VALU_DEP_1)
	v_lshrrev_b32_e32 v60, 16, v60
	v_cndmask_b32_e32 v3, 0x7fc0, v60, vcc_lo
	s_delay_alu instid0(VALU_DEP_1) | instskip(NEXT) | instid1(VALU_DEP_1)
	v_lshlrev_b32_e32 v60, 16, v3
	v_add_f32_e32 v4, v4, v60
	s_delay_alu instid0(VALU_DEP_1) | instskip(SKIP_1) | instid1(VALU_DEP_2)
	v_bfe_u32 v60, v4, 16, 1
	v_cmp_o_f32_e32 vcc_lo, v4, v4
	v_add3_u32 v60, v4, v60, 0x7fff
	s_delay_alu instid0(VALU_DEP_1) | instskip(NEXT) | instid1(VALU_DEP_1)
	v_lshrrev_b32_e32 v60, 16, v60
	v_cndmask_b32_e32 v4, 0x7fc0, v60, vcc_lo
	s_delay_alu instid0(VALU_DEP_1) | instskip(NEXT) | instid1(VALU_DEP_1)
	v_lshlrev_b32_e32 v60, 16, v4
	v_add_f32_e32 v5, v5, v60
	s_delay_alu instid0(VALU_DEP_1) | instskip(SKIP_1) | instid1(VALU_DEP_2)
	v_bfe_u32 v60, v5, 16, 1
	v_cmp_o_f32_e32 vcc_lo, v5, v5
	v_add3_u32 v60, v5, v60, 0x7fff
	s_delay_alu instid0(VALU_DEP_1) | instskip(NEXT) | instid1(VALU_DEP_1)
	v_lshrrev_b32_e32 v60, 16, v60
	v_cndmask_b32_e32 v5, 0x7fc0, v60, vcc_lo
	s_delay_alu instid0(VALU_DEP_1) | instskip(NEXT) | instid1(VALU_DEP_1)
	v_lshlrev_b32_e32 v60, 16, v5
	v_add_f32_e32 v6, v6, v60
	s_delay_alu instid0(VALU_DEP_1) | instskip(SKIP_1) | instid1(VALU_DEP_2)
	v_bfe_u32 v60, v6, 16, 1
	v_cmp_o_f32_e32 vcc_lo, v6, v6
	v_add3_u32 v60, v6, v60, 0x7fff
	s_delay_alu instid0(VALU_DEP_1) | instskip(NEXT) | instid1(VALU_DEP_1)
	v_lshrrev_b32_e32 v60, 16, v60
	v_cndmask_b32_e32 v6, 0x7fc0, v60, vcc_lo
	s_delay_alu instid0(VALU_DEP_1) | instskip(NEXT) | instid1(VALU_DEP_1)
	v_lshlrev_b32_e32 v60, 16, v6
	v_add_f32_e32 v7, v7, v60
	s_delay_alu instid0(VALU_DEP_1) | instskip(SKIP_1) | instid1(VALU_DEP_2)
	v_bfe_u32 v60, v7, 16, 1
	v_cmp_o_f32_e32 vcc_lo, v7, v7
	v_add3_u32 v60, v7, v60, 0x7fff
	s_delay_alu instid0(VALU_DEP_1) | instskip(NEXT) | instid1(VALU_DEP_1)
	v_lshrrev_b32_e32 v60, 16, v60
	v_cndmask_b32_e32 v60, 0x7fc0, v60, vcc_lo
	s_delay_alu instid0(VALU_DEP_1) | instskip(NEXT) | instid1(VALU_DEP_1)
	v_lshlrev_b32_e32 v7, 16, v60
	v_add_f32_e32 v7, v13, v7
	s_delay_alu instid0(VALU_DEP_1) | instskip(SKIP_1) | instid1(VALU_DEP_2)
	v_bfe_u32 v13, v7, 16, 1
	v_cmp_o_f32_e32 vcc_lo, v7, v7
	v_add3_u32 v13, v7, v13, 0x7fff
	s_delay_alu instid0(VALU_DEP_1) | instskip(NEXT) | instid1(VALU_DEP_1)
	v_lshrrev_b32_e32 v13, 16, v13
	v_cndmask_b32_e32 v13, 0x7fc0, v13, vcc_lo
	s_delay_alu instid0(VALU_DEP_1) | instskip(NEXT) | instid1(VALU_DEP_1)
	v_lshlrev_b32_e32 v7, 16, v13
	v_add_f32_e32 v7, v54, v7
	s_delay_alu instid0(VALU_DEP_1) | instskip(SKIP_1) | instid1(VALU_DEP_2)
	v_bfe_u32 v54, v7, 16, 1
	v_cmp_o_f32_e32 vcc_lo, v7, v7
	v_add3_u32 v54, v7, v54, 0x7fff
	s_delay_alu instid0(VALU_DEP_1) | instskip(NEXT) | instid1(VALU_DEP_1)
	v_lshrrev_b32_e32 v54, 16, v54
	v_cndmask_b32_e32 v7, 0x7fc0, v54, vcc_lo
	s_delay_alu instid0(VALU_DEP_1) | instskip(NEXT) | instid1(VALU_DEP_1)
	v_lshlrev_b32_e32 v54, 16, v7
	v_add_f32_e32 v54, v55, v54
	s_delay_alu instid0(VALU_DEP_1) | instskip(SKIP_1) | instid1(VALU_DEP_2)
	v_bfe_u32 v55, v54, 16, 1
	v_cmp_o_f32_e32 vcc_lo, v54, v54
	v_add3_u32 v55, v54, v55, 0x7fff
	s_delay_alu instid0(VALU_DEP_1) | instskip(NEXT) | instid1(VALU_DEP_1)
	v_lshrrev_b32_e32 v55, 16, v55
	v_cndmask_b32_e32 v54, 0x7fc0, v55, vcc_lo
	s_delay_alu instid0(VALU_DEP_1) | instskip(SKIP_1) | instid1(VALU_DEP_2)
	v_lshlrev_b32_e32 v55, 16, v54
	v_perm_b32 v0, v0, v12, 0x5040100
	v_add_f32_e32 v55, v56, v55
	s_delay_alu instid0(VALU_DEP_1) | instskip(SKIP_1) | instid1(VALU_DEP_2)
	v_bfe_u32 v56, v55, 16, 1
	v_cmp_o_f32_e32 vcc_lo, v55, v55
	v_add3_u32 v56, v55, v56, 0x7fff
	s_delay_alu instid0(VALU_DEP_1) | instskip(NEXT) | instid1(VALU_DEP_1)
	v_lshrrev_b32_e32 v56, 16, v56
	v_cndmask_b32_e32 v55, 0x7fc0, v56, vcc_lo
	s_delay_alu instid0(VALU_DEP_1) | instskip(NEXT) | instid1(VALU_DEP_1)
	v_lshlrev_b32_e32 v56, 16, v55
	v_add_f32_e32 v56, v57, v56
	s_delay_alu instid0(VALU_DEP_1) | instskip(SKIP_1) | instid1(VALU_DEP_2)
	v_bfe_u32 v57, v56, 16, 1
	v_cmp_o_f32_e32 vcc_lo, v56, v56
	v_add3_u32 v57, v56, v57, 0x7fff
	s_delay_alu instid0(VALU_DEP_1) | instskip(NEXT) | instid1(VALU_DEP_1)
	v_lshrrev_b32_e32 v57, 16, v57
	v_cndmask_b32_e32 v56, 0x7fc0, v57, vcc_lo
	s_delay_alu instid0(VALU_DEP_1) | instskip(NEXT) | instid1(VALU_DEP_1)
	v_lshlrev_b32_e32 v57, 16, v56
	v_add_f32_e32 v57, v58, v57
	v_perm_b32 v1, v2, v1, 0x5040100
	v_perm_b32 v2, v4, v3, 0x5040100
	;; [unrolled: 1-line block ×4, first 2 shown]
	v_bfe_u32 v58, v57, 16, 1
	v_cmp_o_f32_e32 vcc_lo, v57, v57
	v_perm_b32 v6, v56, v55, 0x5040100
	v_perm_b32 v4, v13, v60, 0x5040100
	s_delay_alu instid0(VALU_DEP_4) | instskip(NEXT) | instid1(VALU_DEP_1)
	v_add3_u32 v58, v57, v58, 0x7fff
	v_lshrrev_b32_e32 v58, 16, v58
	s_delay_alu instid0(VALU_DEP_1) | instskip(SKIP_1) | instid1(VALU_DEP_1)
	v_cndmask_b32_e32 v57, 0x7fc0, v58, vcc_lo
	s_and_b32 vcc_lo, exec_lo, s15
	v_lshlrev_b32_e32 v58, 16, v57
	s_delay_alu instid0(VALU_DEP_1) | instskip(NEXT) | instid1(VALU_DEP_1)
	v_add_f32_e32 v58, v59, v58
	v_bfe_u32 v59, v58, 16, 1
	v_cmp_o_f32_e64 s12, v58, v58
	s_delay_alu instid0(VALU_DEP_2) | instskip(NEXT) | instid1(VALU_DEP_1)
	v_add3_u32 v59, v58, v59, 0x7fff
	v_lshrrev_b32_e32 v59, 16, v59
	s_delay_alu instid0(VALU_DEP_1) | instskip(NEXT) | instid1(VALU_DEP_1)
	v_cndmask_b32_e64 v12, 0x7fc0, v59, s12
	v_perm_b32 v7, v12, v57, 0x5040100
	s_cbranch_vccz .LBB111_101
; %bb.81:                               ;   in Loop: Header=BB111_14 Depth=1
	ds_store_b128 v48, v[0:3]
	ds_store_b128 v48, v[4:7] offset:16
	; wave barrier
	ds_load_u16 v68, v33
	ds_load_u16 v67, v34
	;; [unrolled: 1-line block ×15, first 2 shown]
	v_add_co_u32 v12, vcc_lo, v10, v52
	v_add_co_ci_u32_e32 v13, vcc_lo, 0, v11, vcc_lo
	s_mov_b32 s12, exec_lo
	v_cmpx_gt_u32_e64 s13, v16
	s_cbranch_execnz .LBB111_104
; %bb.82:                               ;   in Loop: Header=BB111_14 Depth=1
	s_or_b32 exec_lo, exec_lo, s12
	s_delay_alu instid0(SALU_CYCLE_1)
	s_mov_b32 s12, exec_lo
	v_cmpx_gt_u32_e64 s13, v17
	s_cbranch_execnz .LBB111_105
.LBB111_83:                             ;   in Loop: Header=BB111_14 Depth=1
	s_or_b32 exec_lo, exec_lo, s12
	s_delay_alu instid0(SALU_CYCLE_1)
	s_mov_b32 s12, exec_lo
	v_cmpx_gt_u32_e64 s13, v18
	s_cbranch_execnz .LBB111_106
.LBB111_84:                             ;   in Loop: Header=BB111_14 Depth=1
	s_or_b32 exec_lo, exec_lo, s12
	s_delay_alu instid0(SALU_CYCLE_1)
	s_mov_b32 s12, exec_lo
	v_cmpx_gt_u32_e64 s13, v19
	s_cbranch_execnz .LBB111_107
.LBB111_85:                             ;   in Loop: Header=BB111_14 Depth=1
	s_or_b32 exec_lo, exec_lo, s12
	s_delay_alu instid0(SALU_CYCLE_1)
	s_mov_b32 s12, exec_lo
	v_cmpx_gt_u32_e64 s13, v20
	s_cbranch_execnz .LBB111_108
.LBB111_86:                             ;   in Loop: Header=BB111_14 Depth=1
	s_or_b32 exec_lo, exec_lo, s12
	s_delay_alu instid0(SALU_CYCLE_1)
	s_mov_b32 s12, exec_lo
	v_cmpx_gt_u32_e64 s13, v21
	s_cbranch_execnz .LBB111_109
.LBB111_87:                             ;   in Loop: Header=BB111_14 Depth=1
	s_or_b32 exec_lo, exec_lo, s12
	s_delay_alu instid0(SALU_CYCLE_1)
	s_mov_b32 s12, exec_lo
	v_cmpx_gt_u32_e64 s13, v22
	s_cbranch_execnz .LBB111_110
.LBB111_88:                             ;   in Loop: Header=BB111_14 Depth=1
	s_or_b32 exec_lo, exec_lo, s12
	s_delay_alu instid0(SALU_CYCLE_1)
	s_mov_b32 s12, exec_lo
	v_cmpx_gt_u32_e64 s13, v23
	s_cbranch_execnz .LBB111_111
.LBB111_89:                             ;   in Loop: Header=BB111_14 Depth=1
	s_or_b32 exec_lo, exec_lo, s12
	s_delay_alu instid0(SALU_CYCLE_1)
	s_mov_b32 s12, exec_lo
	v_cmpx_gt_u32_e64 s13, v24
	s_cbranch_execnz .LBB111_112
.LBB111_90:                             ;   in Loop: Header=BB111_14 Depth=1
	s_or_b32 exec_lo, exec_lo, s12
	s_delay_alu instid0(SALU_CYCLE_1)
	s_mov_b32 s12, exec_lo
	v_cmpx_gt_u32_e64 s13, v25
	s_cbranch_execnz .LBB111_113
.LBB111_91:                             ;   in Loop: Header=BB111_14 Depth=1
	s_or_b32 exec_lo, exec_lo, s12
	s_delay_alu instid0(SALU_CYCLE_1)
	s_mov_b32 s12, exec_lo
	v_cmpx_gt_u32_e64 s13, v26
	s_cbranch_execnz .LBB111_114
.LBB111_92:                             ;   in Loop: Header=BB111_14 Depth=1
	s_or_b32 exec_lo, exec_lo, s12
	s_delay_alu instid0(SALU_CYCLE_1)
	s_mov_b32 s12, exec_lo
	v_cmpx_gt_u32_e64 s13, v27
	s_cbranch_execnz .LBB111_115
.LBB111_93:                             ;   in Loop: Header=BB111_14 Depth=1
	s_or_b32 exec_lo, exec_lo, s12
	s_delay_alu instid0(SALU_CYCLE_1)
	s_mov_b32 s12, exec_lo
	v_cmpx_gt_u32_e64 s13, v28
	s_cbranch_execnz .LBB111_116
.LBB111_94:                             ;   in Loop: Header=BB111_14 Depth=1
	s_or_b32 exec_lo, exec_lo, s12
	s_delay_alu instid0(SALU_CYCLE_1)
	s_mov_b32 s12, exec_lo
	v_cmpx_gt_u32_e64 s13, v29
	s_cbranch_execnz .LBB111_117
.LBB111_95:                             ;   in Loop: Header=BB111_14 Depth=1
	s_or_b32 exec_lo, exec_lo, s12
	s_delay_alu instid0(SALU_CYCLE_1)
	s_mov_b32 s12, exec_lo
	v_cmpx_gt_u32_e64 s13, v30
	s_cbranch_execz .LBB111_97
.LBB111_96:                             ;   in Loop: Header=BB111_14 Depth=1
	s_waitcnt lgkmcnt(1)
	global_store_b16 v[12:13], v55, off offset:896
.LBB111_97:                             ;   in Loop: Header=BB111_14 Depth=1
	s_or_b32 exec_lo, exec_lo, s12
	v_cmp_gt_u32_e64 s12, s13, v31
	s_branch .LBB111_99
.LBB111_98:                             ;   in Loop: Header=BB111_14 Depth=1
	ds_store_b128 v48, v[0:3]
	ds_store_b128 v48, v[4:7] offset:16
	; wave barrier
	ds_load_u16 v2, v32
	ds_load_u16 v3, v33
	;; [unrolled: 1-line block ×8, first 2 shown]
	s_waitcnt lgkmcnt(11)
	ds_load_u16 v55, v40
	ds_load_u16 v56, v41
	;; [unrolled: 1-line block ×7, first 2 shown]
	s_waitcnt lgkmcnt(17)
	ds_load_u16 v54, v47
	v_add_co_u32 v0, vcc_lo, v10, v52
	v_add_co_ci_u32_e32 v1, vcc_lo, 0, v11, vcc_lo
	s_or_b32 s12, s12, exec_lo
	s_waitcnt lgkmcnt(15)
	global_store_b16 v[0:1], v2, off
	s_waitcnt lgkmcnt(14)
	global_store_b16 v[0:1], v3, off offset:64
	s_waitcnt lgkmcnt(13)
	global_store_b16 v[0:1], v4, off offset:128
	;; [unrolled: 2-line block ×14, first 2 shown]
.LBB111_99:                             ;   in Loop: Header=BB111_14 Depth=1
	s_delay_alu instid0(VALU_DEP_1)
	s_and_saveexec_b32 s15, s12
	s_cbranch_execnz .LBB111_102
; %bb.100:                              ;   in Loop: Header=BB111_14 Depth=1
	s_or_b32 exec_lo, exec_lo, s15
	v_cmp_gt_i64_e64 s12, 0x2001, s[24:25]
	s_delay_alu instid0(VALU_DEP_1)
	s_and_b32 vcc_lo, exec_lo, s12
	s_cbranch_vccz .LBB111_13
	s_branch .LBB111_103
.LBB111_101:                            ;   in Loop: Header=BB111_14 Depth=1
	s_mov_b32 s12, 0
                                        ; implicit-def: $vgpr54
	s_cbranch_execnz .LBB111_98
	s_branch .LBB111_99
.LBB111_102:                            ;   in Loop: Header=BB111_14 Depth=1
	v_add_co_u32 v0, vcc_lo, v10, v52
	v_add_co_ci_u32_e32 v1, vcc_lo, 0, v11, vcc_lo
	s_waitcnt lgkmcnt(0)
	global_store_b16 v[0:1], v54, off offset:960
	s_or_b32 exec_lo, exec_lo, s15
	v_cmp_gt_i64_e64 s12, 0x2001, s[24:25]
	s_delay_alu instid0(VALU_DEP_1)
	s_and_b32 vcc_lo, exec_lo, s12
	s_cbranch_vccz .LBB111_13
.LBB111_103:
                                        ; implicit-def: $vgpr15
                                        ; implicit-def: $sgpr24_sgpr25
                                        ; implicit-def: $sgpr14
                                        ; implicit-def: $vgpr8_vgpr9
                                        ; implicit-def: $sgpr13
                                        ; implicit-def: $vgpr10_vgpr11
	s_branch .LBB111_118
.LBB111_104:                            ;   in Loop: Header=BB111_14 Depth=1
	ds_load_u16 v69, v32
	s_waitcnt lgkmcnt(0)
	global_store_b16 v[12:13], v69, off
	s_or_b32 exec_lo, exec_lo, s12
	s_delay_alu instid0(SALU_CYCLE_1)
	s_mov_b32 s12, exec_lo
	v_cmpx_gt_u32_e64 s13, v17
	s_cbranch_execz .LBB111_83
.LBB111_105:                            ;   in Loop: Header=BB111_14 Depth=1
	s_waitcnt lgkmcnt(14)
	global_store_b16 v[12:13], v68, off offset:64
	s_or_b32 exec_lo, exec_lo, s12
	s_delay_alu instid0(SALU_CYCLE_1)
	s_mov_b32 s12, exec_lo
	v_cmpx_gt_u32_e64 s13, v18
	s_cbranch_execz .LBB111_84
.LBB111_106:                            ;   in Loop: Header=BB111_14 Depth=1
	s_waitcnt lgkmcnt(13)
	global_store_b16 v[12:13], v67, off offset:128
	s_or_b32 exec_lo, exec_lo, s12
	s_delay_alu instid0(SALU_CYCLE_1)
	s_mov_b32 s12, exec_lo
	v_cmpx_gt_u32_e64 s13, v19
	s_cbranch_execz .LBB111_85
.LBB111_107:                            ;   in Loop: Header=BB111_14 Depth=1
	s_waitcnt lgkmcnt(12)
	global_store_b16 v[12:13], v66, off offset:192
	s_or_b32 exec_lo, exec_lo, s12
	s_delay_alu instid0(SALU_CYCLE_1)
	s_mov_b32 s12, exec_lo
	v_cmpx_gt_u32_e64 s13, v20
	s_cbranch_execz .LBB111_86
.LBB111_108:                            ;   in Loop: Header=BB111_14 Depth=1
	s_waitcnt lgkmcnt(11)
	global_store_b16 v[12:13], v65, off offset:256
	s_or_b32 exec_lo, exec_lo, s12
	s_delay_alu instid0(SALU_CYCLE_1)
	s_mov_b32 s12, exec_lo
	v_cmpx_gt_u32_e64 s13, v21
	s_cbranch_execz .LBB111_87
.LBB111_109:                            ;   in Loop: Header=BB111_14 Depth=1
	s_waitcnt lgkmcnt(10)
	global_store_b16 v[12:13], v64, off offset:320
	s_or_b32 exec_lo, exec_lo, s12
	s_delay_alu instid0(SALU_CYCLE_1)
	s_mov_b32 s12, exec_lo
	v_cmpx_gt_u32_e64 s13, v22
	s_cbranch_execz .LBB111_88
.LBB111_110:                            ;   in Loop: Header=BB111_14 Depth=1
	s_waitcnt lgkmcnt(9)
	global_store_b16 v[12:13], v63, off offset:384
	s_or_b32 exec_lo, exec_lo, s12
	s_delay_alu instid0(SALU_CYCLE_1)
	s_mov_b32 s12, exec_lo
	v_cmpx_gt_u32_e64 s13, v23
	s_cbranch_execz .LBB111_89
.LBB111_111:                            ;   in Loop: Header=BB111_14 Depth=1
	s_waitcnt lgkmcnt(8)
	global_store_b16 v[12:13], v62, off offset:448
	s_or_b32 exec_lo, exec_lo, s12
	s_delay_alu instid0(SALU_CYCLE_1)
	s_mov_b32 s12, exec_lo
	v_cmpx_gt_u32_e64 s13, v24
	s_cbranch_execz .LBB111_90
.LBB111_112:                            ;   in Loop: Header=BB111_14 Depth=1
	s_waitcnt lgkmcnt(7)
	global_store_b16 v[12:13], v61, off offset:512
	s_or_b32 exec_lo, exec_lo, s12
	s_delay_alu instid0(SALU_CYCLE_1)
	s_mov_b32 s12, exec_lo
	v_cmpx_gt_u32_e64 s13, v25
	s_cbranch_execz .LBB111_91
.LBB111_113:                            ;   in Loop: Header=BB111_14 Depth=1
	s_waitcnt lgkmcnt(6)
	global_store_b16 v[12:13], v60, off offset:576
	s_or_b32 exec_lo, exec_lo, s12
	s_delay_alu instid0(SALU_CYCLE_1)
	s_mov_b32 s12, exec_lo
	v_cmpx_gt_u32_e64 s13, v26
	s_cbranch_execz .LBB111_92
.LBB111_114:                            ;   in Loop: Header=BB111_14 Depth=1
	s_waitcnt lgkmcnt(5)
	global_store_b16 v[12:13], v59, off offset:640
	s_or_b32 exec_lo, exec_lo, s12
	s_delay_alu instid0(SALU_CYCLE_1)
	s_mov_b32 s12, exec_lo
	v_cmpx_gt_u32_e64 s13, v27
	s_cbranch_execz .LBB111_93
.LBB111_115:                            ;   in Loop: Header=BB111_14 Depth=1
	s_waitcnt lgkmcnt(4)
	global_store_b16 v[12:13], v58, off offset:704
	s_or_b32 exec_lo, exec_lo, s12
	s_delay_alu instid0(SALU_CYCLE_1)
	s_mov_b32 s12, exec_lo
	v_cmpx_gt_u32_e64 s13, v28
	s_cbranch_execz .LBB111_94
.LBB111_116:                            ;   in Loop: Header=BB111_14 Depth=1
	s_waitcnt lgkmcnt(3)
	global_store_b16 v[12:13], v57, off offset:768
	s_or_b32 exec_lo, exec_lo, s12
	s_delay_alu instid0(SALU_CYCLE_1)
	s_mov_b32 s12, exec_lo
	v_cmpx_gt_u32_e64 s13, v29
	s_cbranch_execz .LBB111_95
.LBB111_117:                            ;   in Loop: Header=BB111_14 Depth=1
	s_waitcnt lgkmcnt(2)
	global_store_b16 v[12:13], v56, off offset:832
	s_or_b32 exec_lo, exec_lo, s12
	s_delay_alu instid0(SALU_CYCLE_1)
	s_mov_b32 s12, exec_lo
	v_cmpx_gt_u32_e64 s13, v30
	s_cbranch_execnz .LBB111_96
	s_branch .LBB111_97
.LBB111_118:
	s_nop 0
	s_sendmsg sendmsg(MSG_DEALLOC_VGPRS)
	s_endpgm
	.section	.rodata,"a",@progbits
	.p2align	6, 0x0
	.amdhsa_kernel _ZN2at4cuda3cub17final_scan_kernelILi512ELi16EN3c108BFloat16EEEvPKT1_PS5_S8_li
		.amdhsa_group_segment_fixed_size 16896
		.amdhsa_private_segment_fixed_size 0
		.amdhsa_kernarg_size 296
		.amdhsa_user_sgpr_count 15
		.amdhsa_user_sgpr_dispatch_ptr 0
		.amdhsa_user_sgpr_queue_ptr 0
		.amdhsa_user_sgpr_kernarg_segment_ptr 1
		.amdhsa_user_sgpr_dispatch_id 0
		.amdhsa_user_sgpr_private_segment_size 0
		.amdhsa_wavefront_size32 1
		.amdhsa_uses_dynamic_stack 0
		.amdhsa_enable_private_segment 0
		.amdhsa_system_sgpr_workgroup_id_x 1
		.amdhsa_system_sgpr_workgroup_id_y 0
		.amdhsa_system_sgpr_workgroup_id_z 0
		.amdhsa_system_sgpr_workgroup_info 0
		.amdhsa_system_vgpr_workitem_id 0
		.amdhsa_next_free_vgpr 70
		.amdhsa_next_free_sgpr 26
		.amdhsa_reserve_vcc 1
		.amdhsa_float_round_mode_32 0
		.amdhsa_float_round_mode_16_64 0
		.amdhsa_float_denorm_mode_32 3
		.amdhsa_float_denorm_mode_16_64 3
		.amdhsa_dx10_clamp 1
		.amdhsa_ieee_mode 1
		.amdhsa_fp16_overflow 0
		.amdhsa_workgroup_processor_mode 1
		.amdhsa_memory_ordered 1
		.amdhsa_forward_progress 0
		.amdhsa_shared_vgpr_count 0
		.amdhsa_exception_fp_ieee_invalid_op 0
		.amdhsa_exception_fp_denorm_src 0
		.amdhsa_exception_fp_ieee_div_zero 0
		.amdhsa_exception_fp_ieee_overflow 0
		.amdhsa_exception_fp_ieee_underflow 0
		.amdhsa_exception_fp_ieee_inexact 0
		.amdhsa_exception_int_div_zero 0
	.end_amdhsa_kernel
	.section	.text._ZN2at4cuda3cub17final_scan_kernelILi512ELi16EN3c108BFloat16EEEvPKT1_PS5_S8_li,"axG",@progbits,_ZN2at4cuda3cub17final_scan_kernelILi512ELi16EN3c108BFloat16EEEvPKT1_PS5_S8_li,comdat
.Lfunc_end111:
	.size	_ZN2at4cuda3cub17final_scan_kernelILi512ELi16EN3c108BFloat16EEEvPKT1_PS5_S8_li, .Lfunc_end111-_ZN2at4cuda3cub17final_scan_kernelILi512ELi16EN3c108BFloat16EEEvPKT1_PS5_S8_li
                                        ; -- End function
	.section	.AMDGPU.csdata,"",@progbits
; Kernel info:
; codeLenInByte = 7696
; NumSgprs: 28
; NumVgprs: 70
; ScratchSize: 0
; MemoryBound: 0
; FloatMode: 240
; IeeeMode: 1
; LDSByteSize: 16896 bytes/workgroup (compile time only)
; SGPRBlocks: 3
; VGPRBlocks: 8
; NumSGPRsForWavesPerEU: 28
; NumVGPRsForWavesPerEU: 70
; Occupancy: 16
; WaveLimiterHint : 0
; COMPUTE_PGM_RSRC2:SCRATCH_EN: 0
; COMPUTE_PGM_RSRC2:USER_SGPR: 15
; COMPUTE_PGM_RSRC2:TRAP_HANDLER: 0
; COMPUTE_PGM_RSRC2:TGID_X_EN: 1
; COMPUTE_PGM_RSRC2:TGID_Y_EN: 0
; COMPUTE_PGM_RSRC2:TGID_Z_EN: 0
; COMPUTE_PGM_RSRC2:TIDIG_COMP_CNT: 0
	.section	.text._ZN7rocprim17ROCPRIM_304000_NS6detail31init_lookback_scan_state_kernelINS1_19lookback_scan_stateIN3c108BFloat16ELb1ELb1EEEEEvT_jjPNS7_10value_typeE,"axG",@progbits,_ZN7rocprim17ROCPRIM_304000_NS6detail31init_lookback_scan_state_kernelINS1_19lookback_scan_stateIN3c108BFloat16ELb1ELb1EEEEEvT_jjPNS7_10value_typeE,comdat
	.protected	_ZN7rocprim17ROCPRIM_304000_NS6detail31init_lookback_scan_state_kernelINS1_19lookback_scan_stateIN3c108BFloat16ELb1ELb1EEEEEvT_jjPNS7_10value_typeE ; -- Begin function _ZN7rocprim17ROCPRIM_304000_NS6detail31init_lookback_scan_state_kernelINS1_19lookback_scan_stateIN3c108BFloat16ELb1ELb1EEEEEvT_jjPNS7_10value_typeE
	.globl	_ZN7rocprim17ROCPRIM_304000_NS6detail31init_lookback_scan_state_kernelINS1_19lookback_scan_stateIN3c108BFloat16ELb1ELb1EEEEEvT_jjPNS7_10value_typeE
	.p2align	8
	.type	_ZN7rocprim17ROCPRIM_304000_NS6detail31init_lookback_scan_state_kernelINS1_19lookback_scan_stateIN3c108BFloat16ELb1ELb1EEEEEvT_jjPNS7_10value_typeE,@function
_ZN7rocprim17ROCPRIM_304000_NS6detail31init_lookback_scan_state_kernelINS1_19lookback_scan_stateIN3c108BFloat16ELb1ELb1EEEEEvT_jjPNS7_10value_typeE: ; @_ZN7rocprim17ROCPRIM_304000_NS6detail31init_lookback_scan_state_kernelINS1_19lookback_scan_stateIN3c108BFloat16ELb1ELb1EEEEEvT_jjPNS7_10value_typeE
; %bb.0:
	s_clause 0x2
	s_load_b32 s6, s[0:1], 0x24
	s_load_b64 s[4:5], s[0:1], 0x10
	s_load_b128 s[0:3], s[0:1], 0x0
	s_waitcnt lgkmcnt(0)
	s_and_b32 s6, s6, 0xffff
	s_cmp_eq_u64 s[4:5], 0
	v_mad_u64_u32 v[1:2], null, s15, s6, v[0:1]
	s_cbranch_scc1 .LBB112_9
; %bb.1:
	s_cmp_lt_u32 s3, s2
	s_mov_b32 s7, 0
	s_cselect_b32 s6, s3, 0
	s_mov_b32 s8, exec_lo
	s_delay_alu instid0(VALU_DEP_1)
	v_cmpx_eq_u32_e64 s6, v1
	s_cbranch_execz .LBB112_8
; %bb.2:
	s_add_i32 s6, s3, 32
	v_mov_b32_e32 v0, 0
	s_lshl_b64 s[6:7], s[6:7], 2
	s_delay_alu instid0(SALU_CYCLE_1) | instskip(SKIP_4) | instid1(VALU_DEP_1)
	s_add_u32 s6, s0, s6
	s_addc_u32 s7, s1, s7
	global_load_b32 v2, v0, s[6:7] glc
	s_waitcnt vmcnt(0)
	v_and_b32_e32 v3, 0xff0000, v2
	v_cmp_ne_u32_e32 vcc_lo, 0, v3
	s_cbranch_vccnz .LBB112_7
; %bb.3:
	s_mov_b32 s3, 1
.LBB112_4:                              ; =>This Loop Header: Depth=1
                                        ;     Child Loop BB112_5 Depth 2
	s_delay_alu instid0(SALU_CYCLE_1)
	s_max_u32 s9, s3, 1
.LBB112_5:                              ;   Parent Loop BB112_4 Depth=1
                                        ; =>  This Inner Loop Header: Depth=2
	s_delay_alu instid0(SALU_CYCLE_1)
	s_add_i32 s9, s9, -1
	s_sleep 1
	s_cmp_eq_u32 s9, 0
	s_cbranch_scc0 .LBB112_5
; %bb.6:                                ;   in Loop: Header=BB112_4 Depth=1
	global_load_b32 v2, v0, s[6:7] glc
	s_cmp_lt_u32 s3, 32
	s_cselect_b32 s9, -1, 0
	s_delay_alu instid0(SALU_CYCLE_1) | instskip(SKIP_3) | instid1(VALU_DEP_1)
	s_cmp_lg_u32 s9, 0
	s_addc_u32 s3, s3, 0
	s_waitcnt vmcnt(0)
	v_and_b32_e32 v3, 0xff0000, v2
	v_cmp_ne_u32_e32 vcc_lo, 0, v3
	s_cbranch_vccz .LBB112_4
.LBB112_7:
	v_mov_b32_e32 v0, 0
	global_store_b16 v0, v2, s[4:5]
.LBB112_8:
	s_or_b32 exec_lo, exec_lo, s8
.LBB112_9:
	s_delay_alu instid0(VALU_DEP_1)
	v_cmp_gt_u32_e32 vcc_lo, s2, v1
	s_and_saveexec_b32 s2, vcc_lo
	s_cbranch_execz .LBB112_11
; %bb.10:
	v_dual_mov_b32 v3, 0 :: v_dual_add_nc_u32 v2, 32, v1
	s_delay_alu instid0(VALU_DEP_1) | instskip(NEXT) | instid1(VALU_DEP_1)
	v_lshlrev_b64 v[4:5], 2, v[2:3]
	v_add_co_u32 v4, vcc_lo, s0, v4
	s_delay_alu instid0(VALU_DEP_2)
	v_add_co_ci_u32_e32 v5, vcc_lo, s1, v5, vcc_lo
	global_store_b32 v[4:5], v3, off
.LBB112_11:
	s_or_b32 exec_lo, exec_lo, s2
	s_delay_alu instid0(SALU_CYCLE_1)
	s_mov_b32 s2, exec_lo
	v_cmpx_gt_u32_e32 32, v1
	s_cbranch_execz .LBB112_13
; %bb.12:
	v_mov_b32_e32 v2, 0
	s_delay_alu instid0(VALU_DEP_1) | instskip(SKIP_1) | instid1(VALU_DEP_2)
	v_lshlrev_b64 v[0:1], 2, v[1:2]
	v_mov_b32_e32 v2, 0xff0000
	v_add_co_u32 v0, vcc_lo, s0, v0
	s_delay_alu instid0(VALU_DEP_3)
	v_add_co_ci_u32_e32 v1, vcc_lo, s1, v1, vcc_lo
	global_store_b32 v[0:1], v2, off
.LBB112_13:
	s_nop 0
	s_sendmsg sendmsg(MSG_DEALLOC_VGPRS)
	s_endpgm
	.section	.rodata,"a",@progbits
	.p2align	6, 0x0
	.amdhsa_kernel _ZN7rocprim17ROCPRIM_304000_NS6detail31init_lookback_scan_state_kernelINS1_19lookback_scan_stateIN3c108BFloat16ELb1ELb1EEEEEvT_jjPNS7_10value_typeE
		.amdhsa_group_segment_fixed_size 0
		.amdhsa_private_segment_fixed_size 0
		.amdhsa_kernarg_size 280
		.amdhsa_user_sgpr_count 15
		.amdhsa_user_sgpr_dispatch_ptr 0
		.amdhsa_user_sgpr_queue_ptr 0
		.amdhsa_user_sgpr_kernarg_segment_ptr 1
		.amdhsa_user_sgpr_dispatch_id 0
		.amdhsa_user_sgpr_private_segment_size 0
		.amdhsa_wavefront_size32 1
		.amdhsa_uses_dynamic_stack 0
		.amdhsa_enable_private_segment 0
		.amdhsa_system_sgpr_workgroup_id_x 1
		.amdhsa_system_sgpr_workgroup_id_y 0
		.amdhsa_system_sgpr_workgroup_id_z 0
		.amdhsa_system_sgpr_workgroup_info 0
		.amdhsa_system_vgpr_workitem_id 0
		.amdhsa_next_free_vgpr 6
		.amdhsa_next_free_sgpr 16
		.amdhsa_reserve_vcc 1
		.amdhsa_float_round_mode_32 0
		.amdhsa_float_round_mode_16_64 0
		.amdhsa_float_denorm_mode_32 3
		.amdhsa_float_denorm_mode_16_64 3
		.amdhsa_dx10_clamp 1
		.amdhsa_ieee_mode 1
		.amdhsa_fp16_overflow 0
		.amdhsa_workgroup_processor_mode 1
		.amdhsa_memory_ordered 1
		.amdhsa_forward_progress 0
		.amdhsa_shared_vgpr_count 0
		.amdhsa_exception_fp_ieee_invalid_op 0
		.amdhsa_exception_fp_denorm_src 0
		.amdhsa_exception_fp_ieee_div_zero 0
		.amdhsa_exception_fp_ieee_overflow 0
		.amdhsa_exception_fp_ieee_underflow 0
		.amdhsa_exception_fp_ieee_inexact 0
		.amdhsa_exception_int_div_zero 0
	.end_amdhsa_kernel
	.section	.text._ZN7rocprim17ROCPRIM_304000_NS6detail31init_lookback_scan_state_kernelINS1_19lookback_scan_stateIN3c108BFloat16ELb1ELb1EEEEEvT_jjPNS7_10value_typeE,"axG",@progbits,_ZN7rocprim17ROCPRIM_304000_NS6detail31init_lookback_scan_state_kernelINS1_19lookback_scan_stateIN3c108BFloat16ELb1ELb1EEEEEvT_jjPNS7_10value_typeE,comdat
.Lfunc_end112:
	.size	_ZN7rocprim17ROCPRIM_304000_NS6detail31init_lookback_scan_state_kernelINS1_19lookback_scan_stateIN3c108BFloat16ELb1ELb1EEEEEvT_jjPNS7_10value_typeE, .Lfunc_end112-_ZN7rocprim17ROCPRIM_304000_NS6detail31init_lookback_scan_state_kernelINS1_19lookback_scan_stateIN3c108BFloat16ELb1ELb1EEEEEvT_jjPNS7_10value_typeE
                                        ; -- End function
	.section	.AMDGPU.csdata,"",@progbits
; Kernel info:
; codeLenInByte = 376
; NumSgprs: 18
; NumVgprs: 6
; ScratchSize: 0
; MemoryBound: 0
; FloatMode: 240
; IeeeMode: 1
; LDSByteSize: 0 bytes/workgroup (compile time only)
; SGPRBlocks: 2
; VGPRBlocks: 0
; NumSGPRsForWavesPerEU: 18
; NumVGPRsForWavesPerEU: 6
; Occupancy: 16
; WaveLimiterHint : 0
; COMPUTE_PGM_RSRC2:SCRATCH_EN: 0
; COMPUTE_PGM_RSRC2:USER_SGPR: 15
; COMPUTE_PGM_RSRC2:TRAP_HANDLER: 0
; COMPUTE_PGM_RSRC2:TGID_X_EN: 1
; COMPUTE_PGM_RSRC2:TGID_Y_EN: 0
; COMPUTE_PGM_RSRC2:TGID_Z_EN: 0
; COMPUTE_PGM_RSRC2:TIDIG_COMP_CNT: 0
	.section	.text._ZN7rocprim17ROCPRIM_304000_NS6detail31init_lookback_scan_state_kernelINS1_19lookback_scan_stateIN3c108BFloat16ELb0ELb1EEEEEvT_jjPNS7_10value_typeE,"axG",@progbits,_ZN7rocprim17ROCPRIM_304000_NS6detail31init_lookback_scan_state_kernelINS1_19lookback_scan_stateIN3c108BFloat16ELb0ELb1EEEEEvT_jjPNS7_10value_typeE,comdat
	.protected	_ZN7rocprim17ROCPRIM_304000_NS6detail31init_lookback_scan_state_kernelINS1_19lookback_scan_stateIN3c108BFloat16ELb0ELb1EEEEEvT_jjPNS7_10value_typeE ; -- Begin function _ZN7rocprim17ROCPRIM_304000_NS6detail31init_lookback_scan_state_kernelINS1_19lookback_scan_stateIN3c108BFloat16ELb0ELb1EEEEEvT_jjPNS7_10value_typeE
	.globl	_ZN7rocprim17ROCPRIM_304000_NS6detail31init_lookback_scan_state_kernelINS1_19lookback_scan_stateIN3c108BFloat16ELb0ELb1EEEEEvT_jjPNS7_10value_typeE
	.p2align	8
	.type	_ZN7rocprim17ROCPRIM_304000_NS6detail31init_lookback_scan_state_kernelINS1_19lookback_scan_stateIN3c108BFloat16ELb0ELb1EEEEEvT_jjPNS7_10value_typeE,@function
_ZN7rocprim17ROCPRIM_304000_NS6detail31init_lookback_scan_state_kernelINS1_19lookback_scan_stateIN3c108BFloat16ELb0ELb1EEEEEvT_jjPNS7_10value_typeE: ; @_ZN7rocprim17ROCPRIM_304000_NS6detail31init_lookback_scan_state_kernelINS1_19lookback_scan_stateIN3c108BFloat16ELb0ELb1EEEEEvT_jjPNS7_10value_typeE
; %bb.0:
	s_clause 0x2
	s_load_b32 s6, s[0:1], 0x24
	s_load_b64 s[4:5], s[0:1], 0x10
	s_load_b128 s[0:3], s[0:1], 0x0
	s_waitcnt lgkmcnt(0)
	s_and_b32 s6, s6, 0xffff
	s_cmp_eq_u64 s[4:5], 0
	v_mad_u64_u32 v[1:2], null, s15, s6, v[0:1]
	s_cbranch_scc1 .LBB113_6
; %bb.1:
	s_cmp_lt_u32 s3, s2
	s_mov_b32 s7, 0
	s_cselect_b32 s6, s3, 0
	s_mov_b32 s8, exec_lo
	s_delay_alu instid0(VALU_DEP_1)
	v_cmpx_eq_u32_e64 s6, v1
	s_cbranch_execz .LBB113_5
; %bb.2:
	s_add_i32 s6, s3, 32
	v_mov_b32_e32 v2, 0
	s_lshl_b64 s[6:7], s[6:7], 2
	s_delay_alu instid0(SALU_CYCLE_1) | instskip(SKIP_4) | instid1(VALU_DEP_1)
	s_add_u32 s6, s0, s6
	s_addc_u32 s7, s1, s7
	global_load_b32 v0, v2, s[6:7] glc
	s_waitcnt vmcnt(0)
	v_and_b32_e32 v3, 0xff0000, v0
	v_cmp_ne_u32_e32 vcc_lo, 0, v3
	s_cbranch_vccnz .LBB113_4
.LBB113_3:                              ; =>This Inner Loop Header: Depth=1
	global_load_b32 v0, v2, s[6:7] glc
	s_waitcnt vmcnt(0)
	v_and_b32_e32 v3, 0xff0000, v0
	s_delay_alu instid0(VALU_DEP_1)
	v_cmp_eq_u32_e32 vcc_lo, 0, v3
	s_cbranch_vccnz .LBB113_3
.LBB113_4:
	v_mov_b32_e32 v2, 0
	global_store_b16 v2, v0, s[4:5]
.LBB113_5:
	s_or_b32 exec_lo, exec_lo, s8
.LBB113_6:
	s_delay_alu instid0(VALU_DEP_1)
	v_cmp_gt_u32_e32 vcc_lo, s2, v1
	s_and_saveexec_b32 s2, vcc_lo
	s_cbranch_execz .LBB113_8
; %bb.7:
	v_dual_mov_b32 v3, 0 :: v_dual_add_nc_u32 v2, 32, v1
	s_delay_alu instid0(VALU_DEP_1) | instskip(NEXT) | instid1(VALU_DEP_1)
	v_lshlrev_b64 v[4:5], 2, v[2:3]
	v_add_co_u32 v4, vcc_lo, s0, v4
	s_delay_alu instid0(VALU_DEP_2)
	v_add_co_ci_u32_e32 v5, vcc_lo, s1, v5, vcc_lo
	global_store_b32 v[4:5], v3, off
.LBB113_8:
	s_or_b32 exec_lo, exec_lo, s2
	s_delay_alu instid0(SALU_CYCLE_1)
	s_mov_b32 s2, exec_lo
	v_cmpx_gt_u32_e32 32, v1
	s_cbranch_execz .LBB113_10
; %bb.9:
	v_mov_b32_e32 v2, 0
	s_delay_alu instid0(VALU_DEP_1) | instskip(SKIP_1) | instid1(VALU_DEP_2)
	v_lshlrev_b64 v[0:1], 2, v[1:2]
	v_mov_b32_e32 v2, 0xff0000
	v_add_co_u32 v0, vcc_lo, s0, v0
	s_delay_alu instid0(VALU_DEP_3)
	v_add_co_ci_u32_e32 v1, vcc_lo, s1, v1, vcc_lo
	global_store_b32 v[0:1], v2, off
.LBB113_10:
	s_nop 0
	s_sendmsg sendmsg(MSG_DEALLOC_VGPRS)
	s_endpgm
	.section	.rodata,"a",@progbits
	.p2align	6, 0x0
	.amdhsa_kernel _ZN7rocprim17ROCPRIM_304000_NS6detail31init_lookback_scan_state_kernelINS1_19lookback_scan_stateIN3c108BFloat16ELb0ELb1EEEEEvT_jjPNS7_10value_typeE
		.amdhsa_group_segment_fixed_size 0
		.amdhsa_private_segment_fixed_size 0
		.amdhsa_kernarg_size 280
		.amdhsa_user_sgpr_count 15
		.amdhsa_user_sgpr_dispatch_ptr 0
		.amdhsa_user_sgpr_queue_ptr 0
		.amdhsa_user_sgpr_kernarg_segment_ptr 1
		.amdhsa_user_sgpr_dispatch_id 0
		.amdhsa_user_sgpr_private_segment_size 0
		.amdhsa_wavefront_size32 1
		.amdhsa_uses_dynamic_stack 0
		.amdhsa_enable_private_segment 0
		.amdhsa_system_sgpr_workgroup_id_x 1
		.amdhsa_system_sgpr_workgroup_id_y 0
		.amdhsa_system_sgpr_workgroup_id_z 0
		.amdhsa_system_sgpr_workgroup_info 0
		.amdhsa_system_vgpr_workitem_id 0
		.amdhsa_next_free_vgpr 6
		.amdhsa_next_free_sgpr 16
		.amdhsa_reserve_vcc 1
		.amdhsa_float_round_mode_32 0
		.amdhsa_float_round_mode_16_64 0
		.amdhsa_float_denorm_mode_32 3
		.amdhsa_float_denorm_mode_16_64 3
		.amdhsa_dx10_clamp 1
		.amdhsa_ieee_mode 1
		.amdhsa_fp16_overflow 0
		.amdhsa_workgroup_processor_mode 1
		.amdhsa_memory_ordered 1
		.amdhsa_forward_progress 0
		.amdhsa_shared_vgpr_count 0
		.amdhsa_exception_fp_ieee_invalid_op 0
		.amdhsa_exception_fp_denorm_src 0
		.amdhsa_exception_fp_ieee_div_zero 0
		.amdhsa_exception_fp_ieee_overflow 0
		.amdhsa_exception_fp_ieee_underflow 0
		.amdhsa_exception_fp_ieee_inexact 0
		.amdhsa_exception_int_div_zero 0
	.end_amdhsa_kernel
	.section	.text._ZN7rocprim17ROCPRIM_304000_NS6detail31init_lookback_scan_state_kernelINS1_19lookback_scan_stateIN3c108BFloat16ELb0ELb1EEEEEvT_jjPNS7_10value_typeE,"axG",@progbits,_ZN7rocprim17ROCPRIM_304000_NS6detail31init_lookback_scan_state_kernelINS1_19lookback_scan_stateIN3c108BFloat16ELb0ELb1EEEEEvT_jjPNS7_10value_typeE,comdat
.Lfunc_end113:
	.size	_ZN7rocprim17ROCPRIM_304000_NS6detail31init_lookback_scan_state_kernelINS1_19lookback_scan_stateIN3c108BFloat16ELb0ELb1EEEEEvT_jjPNS7_10value_typeE, .Lfunc_end113-_ZN7rocprim17ROCPRIM_304000_NS6detail31init_lookback_scan_state_kernelINS1_19lookback_scan_stateIN3c108BFloat16ELb0ELb1EEEEEvT_jjPNS7_10value_typeE
                                        ; -- End function
	.section	.AMDGPU.csdata,"",@progbits
; Kernel info:
; codeLenInByte = 328
; NumSgprs: 18
; NumVgprs: 6
; ScratchSize: 0
; MemoryBound: 0
; FloatMode: 240
; IeeeMode: 1
; LDSByteSize: 0 bytes/workgroup (compile time only)
; SGPRBlocks: 2
; VGPRBlocks: 0
; NumSGPRsForWavesPerEU: 18
; NumVGPRsForWavesPerEU: 6
; Occupancy: 16
; WaveLimiterHint : 0
; COMPUTE_PGM_RSRC2:SCRATCH_EN: 0
; COMPUTE_PGM_RSRC2:USER_SGPR: 15
; COMPUTE_PGM_RSRC2:TRAP_HANDLER: 0
; COMPUTE_PGM_RSRC2:TGID_X_EN: 1
; COMPUTE_PGM_RSRC2:TGID_Y_EN: 0
; COMPUTE_PGM_RSRC2:TGID_Z_EN: 0
; COMPUTE_PGM_RSRC2:TIDIG_COMP_CNT: 0
	.section	.text._ZN7rocprim17ROCPRIM_304000_NS6detail20lookback_scan_kernelILNS1_25lookback_scan_determinismE0ELb0ENS1_19wrapped_scan_configINS0_14default_configEN3c108BFloat16EEEPKS7_PS7_St4plusIS7_ES7_S7_NS1_19lookback_scan_stateIS7_Lb1ELb1EEEEEvT2_T3_mT5_T4_T7_jPT6_SM_bb,"axG",@progbits,_ZN7rocprim17ROCPRIM_304000_NS6detail20lookback_scan_kernelILNS1_25lookback_scan_determinismE0ELb0ENS1_19wrapped_scan_configINS0_14default_configEN3c108BFloat16EEEPKS7_PS7_St4plusIS7_ES7_S7_NS1_19lookback_scan_stateIS7_Lb1ELb1EEEEEvT2_T3_mT5_T4_T7_jPT6_SM_bb,comdat
	.protected	_ZN7rocprim17ROCPRIM_304000_NS6detail20lookback_scan_kernelILNS1_25lookback_scan_determinismE0ELb0ENS1_19wrapped_scan_configINS0_14default_configEN3c108BFloat16EEEPKS7_PS7_St4plusIS7_ES7_S7_NS1_19lookback_scan_stateIS7_Lb1ELb1EEEEEvT2_T3_mT5_T4_T7_jPT6_SM_bb ; -- Begin function _ZN7rocprim17ROCPRIM_304000_NS6detail20lookback_scan_kernelILNS1_25lookback_scan_determinismE0ELb0ENS1_19wrapped_scan_configINS0_14default_configEN3c108BFloat16EEEPKS7_PS7_St4plusIS7_ES7_S7_NS1_19lookback_scan_stateIS7_Lb1ELb1EEEEEvT2_T3_mT5_T4_T7_jPT6_SM_bb
	.globl	_ZN7rocprim17ROCPRIM_304000_NS6detail20lookback_scan_kernelILNS1_25lookback_scan_determinismE0ELb0ENS1_19wrapped_scan_configINS0_14default_configEN3c108BFloat16EEEPKS7_PS7_St4plusIS7_ES7_S7_NS1_19lookback_scan_stateIS7_Lb1ELb1EEEEEvT2_T3_mT5_T4_T7_jPT6_SM_bb
	.p2align	8
	.type	_ZN7rocprim17ROCPRIM_304000_NS6detail20lookback_scan_kernelILNS1_25lookback_scan_determinismE0ELb0ENS1_19wrapped_scan_configINS0_14default_configEN3c108BFloat16EEEPKS7_PS7_St4plusIS7_ES7_S7_NS1_19lookback_scan_stateIS7_Lb1ELb1EEEEEvT2_T3_mT5_T4_T7_jPT6_SM_bb,@function
_ZN7rocprim17ROCPRIM_304000_NS6detail20lookback_scan_kernelILNS1_25lookback_scan_determinismE0ELb0ENS1_19wrapped_scan_configINS0_14default_configEN3c108BFloat16EEEPKS7_PS7_St4plusIS7_ES7_S7_NS1_19lookback_scan_stateIS7_Lb1ELb1EEEEEvT2_T3_mT5_T4_T7_jPT6_SM_bb: ; @_ZN7rocprim17ROCPRIM_304000_NS6detail20lookback_scan_kernelILNS1_25lookback_scan_determinismE0ELb0ENS1_19wrapped_scan_configINS0_14default_configEN3c108BFloat16EEEPKS7_PS7_St4plusIS7_ES7_S7_NS1_19lookback_scan_stateIS7_Lb1ELb1EEEEEvT2_T3_mT5_T4_T7_jPT6_SM_bb
; %bb.0:
	s_endpgm
	.section	.rodata,"a",@progbits
	.p2align	6, 0x0
	.amdhsa_kernel _ZN7rocprim17ROCPRIM_304000_NS6detail20lookback_scan_kernelILNS1_25lookback_scan_determinismE0ELb0ENS1_19wrapped_scan_configINS0_14default_configEN3c108BFloat16EEEPKS7_PS7_St4plusIS7_ES7_S7_NS1_19lookback_scan_stateIS7_Lb1ELb1EEEEEvT2_T3_mT5_T4_T7_jPT6_SM_bb
		.amdhsa_group_segment_fixed_size 0
		.amdhsa_private_segment_fixed_size 0
		.amdhsa_kernarg_size 68
		.amdhsa_user_sgpr_count 15
		.amdhsa_user_sgpr_dispatch_ptr 0
		.amdhsa_user_sgpr_queue_ptr 0
		.amdhsa_user_sgpr_kernarg_segment_ptr 1
		.amdhsa_user_sgpr_dispatch_id 0
		.amdhsa_user_sgpr_private_segment_size 0
		.amdhsa_wavefront_size32 1
		.amdhsa_uses_dynamic_stack 0
		.amdhsa_enable_private_segment 0
		.amdhsa_system_sgpr_workgroup_id_x 1
		.amdhsa_system_sgpr_workgroup_id_y 0
		.amdhsa_system_sgpr_workgroup_id_z 0
		.amdhsa_system_sgpr_workgroup_info 0
		.amdhsa_system_vgpr_workitem_id 0
		.amdhsa_next_free_vgpr 1
		.amdhsa_next_free_sgpr 1
		.amdhsa_reserve_vcc 0
		.amdhsa_float_round_mode_32 0
		.amdhsa_float_round_mode_16_64 0
		.amdhsa_float_denorm_mode_32 3
		.amdhsa_float_denorm_mode_16_64 3
		.amdhsa_dx10_clamp 1
		.amdhsa_ieee_mode 1
		.amdhsa_fp16_overflow 0
		.amdhsa_workgroup_processor_mode 1
		.amdhsa_memory_ordered 1
		.amdhsa_forward_progress 0
		.amdhsa_shared_vgpr_count 0
		.amdhsa_exception_fp_ieee_invalid_op 0
		.amdhsa_exception_fp_denorm_src 0
		.amdhsa_exception_fp_ieee_div_zero 0
		.amdhsa_exception_fp_ieee_overflow 0
		.amdhsa_exception_fp_ieee_underflow 0
		.amdhsa_exception_fp_ieee_inexact 0
		.amdhsa_exception_int_div_zero 0
	.end_amdhsa_kernel
	.section	.text._ZN7rocprim17ROCPRIM_304000_NS6detail20lookback_scan_kernelILNS1_25lookback_scan_determinismE0ELb0ENS1_19wrapped_scan_configINS0_14default_configEN3c108BFloat16EEEPKS7_PS7_St4plusIS7_ES7_S7_NS1_19lookback_scan_stateIS7_Lb1ELb1EEEEEvT2_T3_mT5_T4_T7_jPT6_SM_bb,"axG",@progbits,_ZN7rocprim17ROCPRIM_304000_NS6detail20lookback_scan_kernelILNS1_25lookback_scan_determinismE0ELb0ENS1_19wrapped_scan_configINS0_14default_configEN3c108BFloat16EEEPKS7_PS7_St4plusIS7_ES7_S7_NS1_19lookback_scan_stateIS7_Lb1ELb1EEEEEvT2_T3_mT5_T4_T7_jPT6_SM_bb,comdat
.Lfunc_end114:
	.size	_ZN7rocprim17ROCPRIM_304000_NS6detail20lookback_scan_kernelILNS1_25lookback_scan_determinismE0ELb0ENS1_19wrapped_scan_configINS0_14default_configEN3c108BFloat16EEEPKS7_PS7_St4plusIS7_ES7_S7_NS1_19lookback_scan_stateIS7_Lb1ELb1EEEEEvT2_T3_mT5_T4_T7_jPT6_SM_bb, .Lfunc_end114-_ZN7rocprim17ROCPRIM_304000_NS6detail20lookback_scan_kernelILNS1_25lookback_scan_determinismE0ELb0ENS1_19wrapped_scan_configINS0_14default_configEN3c108BFloat16EEEPKS7_PS7_St4plusIS7_ES7_S7_NS1_19lookback_scan_stateIS7_Lb1ELb1EEEEEvT2_T3_mT5_T4_T7_jPT6_SM_bb
                                        ; -- End function
	.section	.AMDGPU.csdata,"",@progbits
; Kernel info:
; codeLenInByte = 4
; NumSgprs: 0
; NumVgprs: 0
; ScratchSize: 0
; MemoryBound: 0
; FloatMode: 240
; IeeeMode: 1
; LDSByteSize: 0 bytes/workgroup (compile time only)
; SGPRBlocks: 0
; VGPRBlocks: 0
; NumSGPRsForWavesPerEU: 1
; NumVGPRsForWavesPerEU: 1
; Occupancy: 16
; WaveLimiterHint : 0
; COMPUTE_PGM_RSRC2:SCRATCH_EN: 0
; COMPUTE_PGM_RSRC2:USER_SGPR: 15
; COMPUTE_PGM_RSRC2:TRAP_HANDLER: 0
; COMPUTE_PGM_RSRC2:TGID_X_EN: 1
; COMPUTE_PGM_RSRC2:TGID_Y_EN: 0
; COMPUTE_PGM_RSRC2:TGID_Z_EN: 0
; COMPUTE_PGM_RSRC2:TIDIG_COMP_CNT: 0
	.section	.text._ZN7rocprim17ROCPRIM_304000_NS6detail20lookback_scan_kernelILNS1_25lookback_scan_determinismE0ELb0ENS1_19wrapped_scan_configINS0_14default_configEN3c108BFloat16EEEPKS7_PS7_St4plusIS7_ES7_S7_NS1_19lookback_scan_stateIS7_Lb0ELb1EEEEEvT2_T3_mT5_T4_T7_jPT6_SM_bb,"axG",@progbits,_ZN7rocprim17ROCPRIM_304000_NS6detail20lookback_scan_kernelILNS1_25lookback_scan_determinismE0ELb0ENS1_19wrapped_scan_configINS0_14default_configEN3c108BFloat16EEEPKS7_PS7_St4plusIS7_ES7_S7_NS1_19lookback_scan_stateIS7_Lb0ELb1EEEEEvT2_T3_mT5_T4_T7_jPT6_SM_bb,comdat
	.protected	_ZN7rocprim17ROCPRIM_304000_NS6detail20lookback_scan_kernelILNS1_25lookback_scan_determinismE0ELb0ENS1_19wrapped_scan_configINS0_14default_configEN3c108BFloat16EEEPKS7_PS7_St4plusIS7_ES7_S7_NS1_19lookback_scan_stateIS7_Lb0ELb1EEEEEvT2_T3_mT5_T4_T7_jPT6_SM_bb ; -- Begin function _ZN7rocprim17ROCPRIM_304000_NS6detail20lookback_scan_kernelILNS1_25lookback_scan_determinismE0ELb0ENS1_19wrapped_scan_configINS0_14default_configEN3c108BFloat16EEEPKS7_PS7_St4plusIS7_ES7_S7_NS1_19lookback_scan_stateIS7_Lb0ELb1EEEEEvT2_T3_mT5_T4_T7_jPT6_SM_bb
	.globl	_ZN7rocprim17ROCPRIM_304000_NS6detail20lookback_scan_kernelILNS1_25lookback_scan_determinismE0ELb0ENS1_19wrapped_scan_configINS0_14default_configEN3c108BFloat16EEEPKS7_PS7_St4plusIS7_ES7_S7_NS1_19lookback_scan_stateIS7_Lb0ELb1EEEEEvT2_T3_mT5_T4_T7_jPT6_SM_bb
	.p2align	8
	.type	_ZN7rocprim17ROCPRIM_304000_NS6detail20lookback_scan_kernelILNS1_25lookback_scan_determinismE0ELb0ENS1_19wrapped_scan_configINS0_14default_configEN3c108BFloat16EEEPKS7_PS7_St4plusIS7_ES7_S7_NS1_19lookback_scan_stateIS7_Lb0ELb1EEEEEvT2_T3_mT5_T4_T7_jPT6_SM_bb,@function
_ZN7rocprim17ROCPRIM_304000_NS6detail20lookback_scan_kernelILNS1_25lookback_scan_determinismE0ELb0ENS1_19wrapped_scan_configINS0_14default_configEN3c108BFloat16EEEPKS7_PS7_St4plusIS7_ES7_S7_NS1_19lookback_scan_stateIS7_Lb0ELb1EEEEEvT2_T3_mT5_T4_T7_jPT6_SM_bb: ; @_ZN7rocprim17ROCPRIM_304000_NS6detail20lookback_scan_kernelILNS1_25lookback_scan_determinismE0ELb0ENS1_19wrapped_scan_configINS0_14default_configEN3c108BFloat16EEEPKS7_PS7_St4plusIS7_ES7_S7_NS1_19lookback_scan_stateIS7_Lb0ELb1EEEEEvT2_T3_mT5_T4_T7_jPT6_SM_bb
; %bb.0:
	s_clause 0x2
	s_load_b32 s8, s[0:1], 0x28
	s_load_b64 s[2:3], s[0:1], 0x10
	s_load_b128 s[4:7], s[0:1], 0x0
	s_mov_b32 s9, 0
	v_lshlrev_b32_e32 v6, 1, v0
	s_waitcnt lgkmcnt(0)
	s_add_i32 s8, s8, -1
	s_delay_alu instid0(SALU_CYCLE_1) | instskip(NEXT) | instid1(SALU_CYCLE_1)
	s_mul_i32 s10, s8, 0x580
	s_sub_u32 s14, s2, s10
	s_subb_u32 s18, s3, 0
	s_cmp_lg_u32 s15, s8
	s_mul_i32 s8, s15, 0x580
	s_cselect_b32 s19, -1, 0
	s_lshl_b64 s[12:13], s[8:9], 1
	s_mov_b32 s3, -1
	s_add_u32 s4, s4, s12
	s_addc_u32 s5, s5, s13
	s_and_b32 vcc_lo, exec_lo, s19
	s_cbranch_vccz .LBB115_2
; %bb.1:
	s_clause 0x15
	global_load_u16 v1, v6, s[4:5]
	global_load_u16 v2, v6, s[4:5] offset:128
	global_load_u16 v3, v6, s[4:5] offset:256
	;; [unrolled: 1-line block ×21, first 2 shown]
	s_mov_b32 s3, 0
	s_waitcnt vmcnt(21)
	ds_store_b16 v6, v1
	s_waitcnt vmcnt(20)
	ds_store_b16 v6, v2 offset:128
	s_waitcnt vmcnt(19)
	ds_store_b16 v6, v3 offset:256
	;; [unrolled: 2-line block ×21, first 2 shown]
	s_waitcnt lgkmcnt(0)
	s_barrier
.LBB115_2:
	v_cmp_gt_u32_e64 s2, s14, v0
	s_and_not1_b32 vcc_lo, exec_lo, s3
	s_cbranch_vccnz .LBB115_48
; %bb.3:
	v_mov_b32_e32 v1, 0
	global_load_u16 v3, v1, s[4:5]
	v_add_co_u32 v1, s3, s4, v6
	s_delay_alu instid0(VALU_DEP_1)
	v_add_co_ci_u32_e64 v2, null, s5, 0, s3
	s_waitcnt vmcnt(0)
	v_mov_b32_e32 v4, v3
	s_and_saveexec_b32 s3, s2
	s_cbranch_execz .LBB115_5
; %bb.4:
	global_load_u16 v4, v[1:2], off
.LBB115_5:
	s_or_b32 exec_lo, exec_lo, s3
	v_or_b32_e32 v5, 64, v0
	s_delay_alu instid0(VALU_DEP_1)
	v_cmp_gt_u32_e32 vcc_lo, s14, v5
	v_mov_b32_e32 v5, v3
	s_and_saveexec_b32 s2, vcc_lo
	s_cbranch_execz .LBB115_7
; %bb.6:
	global_load_u16 v5, v[1:2], off offset:128
.LBB115_7:
	s_or_b32 exec_lo, exec_lo, s2
	v_or_b32_e32 v7, 0x80, v0
	s_delay_alu instid0(VALU_DEP_1)
	v_cmp_gt_u32_e32 vcc_lo, s14, v7
	v_mov_b32_e32 v7, v3
	s_and_saveexec_b32 s2, vcc_lo
	s_cbranch_execz .LBB115_9
; %bb.8:
	global_load_u16 v7, v[1:2], off offset:256
.LBB115_9:
	;; [unrolled: 10-line block ×20, first 2 shown]
	s_or_b32 exec_lo, exec_lo, s2
	v_or_b32_e32 v26, 0x540, v0
	s_mov_b32 s2, exec_lo
	s_delay_alu instid0(VALU_DEP_1)
	v_cmpx_gt_u32_e64 s14, v26
	s_cbranch_execz .LBB115_47
; %bb.46:
	global_load_u16 v3, v[1:2], off offset:2688
.LBB115_47:
	s_or_b32 exec_lo, exec_lo, s2
	s_waitcnt vmcnt(0)
	ds_store_b16 v6, v4
	ds_store_b16 v6, v5 offset:128
	ds_store_b16 v6, v7 offset:256
	;; [unrolled: 1-line block ×21, first 2 shown]
	s_waitcnt lgkmcnt(0)
	s_barrier
.LBB115_48:
	v_mul_u32_u24_e32 v7, 22, v0
	buffer_gl0_inv
	s_load_b64 s[16:17], s[0:1], 0x20
	v_cmp_gt_u32_e32 vcc_lo, 32, v0
	s_cmp_lg_u32 s15, 0
	v_lshlrev_b32_e32 v8, 1, v7
	ds_load_2addr_b32 v[1:2], v8 offset1:1
	ds_load_2addr_b32 v[3:4], v8 offset0:2 offset1:3
	ds_load_2addr_b32 v[9:10], v8 offset0:4 offset1:5
	;; [unrolled: 1-line block ×4, first 2 shown]
	ds_load_b32 v5, v8 offset:40
	s_waitcnt lgkmcnt(0)
	s_barrier
	buffer_gl0_inv
	v_lshrrev_b32_e32 v15, 16, v1
	v_lshrrev_b32_e32 v16, 16, v2
	v_and_b32_e32 v2, 0xffff, v2
	v_lshrrev_b32_e32 v17, 16, v3
	v_lshrrev_b32_e32 v18, 16, v4
	v_and_b32_e32 v3, 0xffff, v3
	v_and_b32_e32 v4, 0xffff, v4
	v_lshrrev_b32_e32 v19, 16, v9
	v_lshrrev_b32_e32 v30, 16, v10
	v_and_b32_e32 v9, 0xffff, v9
	;; [unrolled: 4-line block ×4, first 2 shown]
	v_and_b32_e32 v35, 0xffff, v14
	v_lshrrev_b32_e32 v36, 16, v5
	v_and_b32_e32 v5, 0xffff, v5
	v_lshlrev_b32_e32 v29, 16, v15
	v_lshlrev_b32_e32 v28, 16, v2
	;; [unrolled: 1-line block ×21, first 2 shown]
	v_lshrrev_b32_e32 v30, 5, v0
	s_cbranch_scc0 .LBB115_105
; %bb.49:
	v_lshlrev_b32_e32 v31, 16, v1
	s_delay_alu instid0(VALU_DEP_2) | instskip(NEXT) | instid1(VALU_DEP_2)
	v_add_lshl_u32 v4, v30, v0, 1
	v_add_f32_e32 v2, v31, v29
	s_delay_alu instid0(VALU_DEP_1) | instskip(NEXT) | instid1(VALU_DEP_1)
	v_bfe_u32 v3, v2, 16, 1
	v_add3_u32 v3, v2, v3, 0x7fff
	s_delay_alu instid0(VALU_DEP_1) | instskip(SKIP_1) | instid1(VALU_DEP_1)
	v_and_b32_e32 v3, 0xffff0000, v3
	v_cmp_o_f32_e64 s2, v2, v2
	v_cndmask_b32_e64 v2, 0x7fc00000, v3, s2
	s_delay_alu instid0(VALU_DEP_1) | instskip(NEXT) | instid1(VALU_DEP_1)
	v_add_f32_e32 v2, v2, v28
	v_bfe_u32 v3, v2, 16, 1
	v_cmp_o_f32_e64 s2, v2, v2
	s_delay_alu instid0(VALU_DEP_2) | instskip(NEXT) | instid1(VALU_DEP_1)
	v_add3_u32 v3, v2, v3, 0x7fff
	v_and_b32_e32 v3, 0xffff0000, v3
	s_delay_alu instid0(VALU_DEP_1) | instskip(NEXT) | instid1(VALU_DEP_1)
	v_cndmask_b32_e64 v2, 0x7fc00000, v3, s2
	v_add_f32_e32 v2, v2, v27
	s_delay_alu instid0(VALU_DEP_1) | instskip(SKIP_1) | instid1(VALU_DEP_2)
	v_bfe_u32 v3, v2, 16, 1
	v_cmp_o_f32_e64 s2, v2, v2
	v_add3_u32 v3, v2, v3, 0x7fff
	s_delay_alu instid0(VALU_DEP_1) | instskip(NEXT) | instid1(VALU_DEP_1)
	v_and_b32_e32 v3, 0xffff0000, v3
	v_cndmask_b32_e64 v2, 0x7fc00000, v3, s2
	s_delay_alu instid0(VALU_DEP_1) | instskip(NEXT) | instid1(VALU_DEP_1)
	v_add_f32_e32 v2, v2, v26
	v_bfe_u32 v3, v2, 16, 1
	v_cmp_o_f32_e64 s2, v2, v2
	s_delay_alu instid0(VALU_DEP_2) | instskip(NEXT) | instid1(VALU_DEP_1)
	v_add3_u32 v3, v2, v3, 0x7fff
	v_and_b32_e32 v3, 0xffff0000, v3
	s_delay_alu instid0(VALU_DEP_1) | instskip(NEXT) | instid1(VALU_DEP_1)
	v_cndmask_b32_e64 v2, 0x7fc00000, v3, s2
	v_add_f32_e32 v2, v2, v25
	s_delay_alu instid0(VALU_DEP_1) | instskip(SKIP_1) | instid1(VALU_DEP_2)
	v_bfe_u32 v3, v2, 16, 1
	v_cmp_o_f32_e64 s2, v2, v2
	v_add3_u32 v3, v2, v3, 0x7fff
	s_delay_alu instid0(VALU_DEP_1) | instskip(NEXT) | instid1(VALU_DEP_1)
	v_and_b32_e32 v3, 0xffff0000, v3
	;; [unrolled: 17-line block ×9, first 2 shown]
	v_cndmask_b32_e64 v2, 0x7fc00000, v3, s2
	s_delay_alu instid0(VALU_DEP_1) | instskip(NEXT) | instid1(VALU_DEP_1)
	v_add_f32_e32 v2, v2, v10
	v_bfe_u32 v3, v2, 16, 1
	v_cmp_o_f32_e64 s2, v2, v2
	s_delay_alu instid0(VALU_DEP_2) | instskip(NEXT) | instid1(VALU_DEP_1)
	v_add3_u32 v3, v2, v3, 0x7fff
	v_and_b32_e32 v3, 0xffff0000, v3
	s_delay_alu instid0(VALU_DEP_1) | instskip(NEXT) | instid1(VALU_DEP_1)
	v_cndmask_b32_e64 v2, 0x7fc00000, v3, s2
	v_add_f32_e32 v2, v2, v9
	s_delay_alu instid0(VALU_DEP_1) | instskip(SKIP_1) | instid1(VALU_DEP_2)
	v_bfe_u32 v3, v2, 16, 1
	v_cmp_o_f32_e64 s2, v2, v2
	v_add3_u32 v3, v2, v3, 0x7fff
	s_delay_alu instid0(VALU_DEP_1) | instskip(NEXT) | instid1(VALU_DEP_1)
	v_lshrrev_b32_e32 v3, 16, v3
	v_cndmask_b32_e64 v32, 0x7fc0, v3, s2
	ds_store_b16 v4, v32
	s_waitcnt lgkmcnt(0)
	s_barrier
	buffer_gl0_inv
	s_and_saveexec_b32 s3, vcc_lo
	s_cbranch_execz .LBB115_61
; %bb.50:
	v_lshrrev_b32_e32 v2, 3, v0
	s_mov_b32 s4, exec_lo
	s_delay_alu instid0(VALU_DEP_1) | instskip(NEXT) | instid1(VALU_DEP_1)
	v_and_b32_e32 v2, 6, v2
	v_lshl_or_b32 v2, v0, 2, v2
	ds_load_b32 v4, v2
	s_waitcnt lgkmcnt(0)
	v_and_b32_e32 v3, 0xffff0000, v4
	v_lshlrev_b32_e32 v4, 16, v4
	s_delay_alu instid0(VALU_DEP_1) | instskip(NEXT) | instid1(VALU_DEP_1)
	v_add_f32_e32 v5, v4, v3
	v_bfe_u32 v33, v5, 16, 1
	v_cmp_o_f32_e64 s2, v5, v5
	s_delay_alu instid0(VALU_DEP_2) | instskip(SKIP_1) | instid1(VALU_DEP_2)
	v_add3_u32 v33, v5, v33, 0x7fff
	v_mbcnt_lo_u32_b32 v5, -1, 0
	v_lshrrev_b32_e32 v33, 16, v33
	s_delay_alu instid0(VALU_DEP_2) | instskip(NEXT) | instid1(VALU_DEP_2)
	v_and_b32_e32 v35, 15, v5
	v_cndmask_b32_e64 v33, 0x7fc0, v33, s2
	s_delay_alu instid0(VALU_DEP_1) | instskip(NEXT) | instid1(VALU_DEP_1)
	v_and_b32_e32 v34, 0xffff, v33
	v_mov_b32_dpp v36, v34 row_shr:1 row_mask:0xf bank_mask:0xf
	s_delay_alu instid0(VALU_DEP_4)
	v_cmpx_ne_u32_e32 0, v35
; %bb.51:
	s_delay_alu instid0(VALU_DEP_2) | instskip(SKIP_1) | instid1(VALU_DEP_1)
	v_lshlrev_b32_e32 v33, 16, v36
	v_lshlrev_b32_e32 v34, 16, v34
	v_add_f32_e32 v33, v33, v34
	s_delay_alu instid0(VALU_DEP_1) | instskip(SKIP_1) | instid1(VALU_DEP_2)
	v_bfe_u32 v34, v33, 16, 1
	v_cmp_o_f32_e64 s2, v33, v33
	v_add3_u32 v34, v33, v34, 0x7fff
	s_delay_alu instid0(VALU_DEP_1) | instskip(NEXT) | instid1(VALU_DEP_1)
	v_lshrrev_b32_e32 v34, 16, v34
	v_cndmask_b32_e64 v33, 0x7fc0, v34, s2
	s_delay_alu instid0(VALU_DEP_1)
	v_and_b32_e32 v34, 0xffff, v33
; %bb.52:
	s_or_b32 exec_lo, exec_lo, s4
	s_delay_alu instid0(VALU_DEP_1)
	v_mov_b32_dpp v36, v34 row_shr:2 row_mask:0xf bank_mask:0xf
	s_mov_b32 s4, exec_lo
	v_cmpx_lt_u32_e32 1, v35
; %bb.53:
	s_delay_alu instid0(VALU_DEP_2) | instskip(SKIP_1) | instid1(VALU_DEP_1)
	v_lshlrev_b32_e32 v33, 16, v36
	v_lshlrev_b32_e32 v34, 16, v34
	v_add_f32_e32 v33, v34, v33
	s_delay_alu instid0(VALU_DEP_1) | instskip(SKIP_1) | instid1(VALU_DEP_2)
	v_bfe_u32 v34, v33, 16, 1
	v_cmp_o_f32_e64 s2, v33, v33
	v_add3_u32 v34, v33, v34, 0x7fff
	s_delay_alu instid0(VALU_DEP_1) | instskip(NEXT) | instid1(VALU_DEP_1)
	v_lshrrev_b32_e32 v34, 16, v34
	v_cndmask_b32_e64 v33, 0x7fc0, v34, s2
	s_delay_alu instid0(VALU_DEP_1)
	v_and_b32_e32 v34, 0xffff, v33
; %bb.54:
	s_or_b32 exec_lo, exec_lo, s4
	s_delay_alu instid0(VALU_DEP_1)
	v_mov_b32_dpp v36, v34 row_shr:4 row_mask:0xf bank_mask:0xf
	s_mov_b32 s4, exec_lo
	v_cmpx_lt_u32_e32 3, v35
	;; [unrolled: 20-line block ×3, first 2 shown]
; %bb.57:
	s_delay_alu instid0(VALU_DEP_2) | instskip(SKIP_1) | instid1(VALU_DEP_1)
	v_lshlrev_b32_e32 v33, 16, v36
	v_lshlrev_b32_e32 v34, 16, v34
	v_add_f32_e32 v33, v34, v33
	s_delay_alu instid0(VALU_DEP_1) | instskip(SKIP_1) | instid1(VALU_DEP_2)
	v_bfe_u32 v34, v33, 16, 1
	v_cmp_o_f32_e64 s2, v33, v33
	v_add3_u32 v34, v33, v34, 0x7fff
	s_delay_alu instid0(VALU_DEP_1) | instskip(NEXT) | instid1(VALU_DEP_1)
	v_lshrrev_b32_e32 v34, 16, v34
	v_cndmask_b32_e64 v33, 0x7fc0, v34, s2
	s_delay_alu instid0(VALU_DEP_1)
	v_and_b32_e32 v34, 0xffff, v33
; %bb.58:
	s_or_b32 exec_lo, exec_lo, s4
	ds_swizzle_b32 v35, v34 offset:swizzle(BROADCAST,32,15)
	v_and_b32_e32 v36, 16, v5
	s_mov_b32 s4, exec_lo
	s_delay_alu instid0(VALU_DEP_1)
	v_cmpx_ne_u32_e32 0, v36
	s_cbranch_execz .LBB115_60
; %bb.59:
	s_waitcnt lgkmcnt(0)
	v_lshlrev_b32_e32 v33, 16, v35
	v_lshlrev_b32_e32 v34, 16, v34
	s_delay_alu instid0(VALU_DEP_1) | instskip(NEXT) | instid1(VALU_DEP_1)
	v_add_f32_e32 v33, v34, v33
	v_bfe_u32 v34, v33, 16, 1
	v_cmp_o_f32_e64 s2, v33, v33
	s_delay_alu instid0(VALU_DEP_2) | instskip(NEXT) | instid1(VALU_DEP_1)
	v_add3_u32 v34, v33, v34, 0x7fff
	v_lshrrev_b32_e32 v34, 16, v34
	s_delay_alu instid0(VALU_DEP_1)
	v_cndmask_b32_e64 v33, 0x7fc0, v34, s2
.LBB115_60:
	s_or_b32 exec_lo, exec_lo, s4
	v_add_nc_u32_e32 v34, -1, v5
	s_delay_alu instid0(VALU_DEP_2) | instskip(NEXT) | instid1(VALU_DEP_2)
	v_and_b32_e32 v33, 0xffff, v33
	v_cmp_gt_i32_e64 s2, 0, v34
	s_delay_alu instid0(VALU_DEP_1) | instskip(NEXT) | instid1(VALU_DEP_1)
	v_cndmask_b32_e64 v5, v34, v5, s2
	v_lshlrev_b32_e32 v5, 2, v5
	ds_bpermute_b32 v5, v5, v33
	s_waitcnt lgkmcnt(0)
	v_lshlrev_b32_e32 v5, 16, v5
	s_delay_alu instid0(VALU_DEP_1) | instskip(NEXT) | instid1(VALU_DEP_1)
	v_add_f32_e32 v4, v4, v5
	v_bfe_u32 v5, v4, 16, 1
	v_cmp_o_f32_e64 s2, v4, v4
	s_delay_alu instid0(VALU_DEP_2) | instskip(NEXT) | instid1(VALU_DEP_1)
	v_add3_u32 v5, v4, v5, 0x7fff
	v_lshrrev_b32_e32 v5, 16, v5
	s_delay_alu instid0(VALU_DEP_1) | instskip(SKIP_1) | instid1(VALU_DEP_1)
	v_cndmask_b32_e64 v4, 0x7fc0, v5, s2
	v_cmp_eq_u32_e64 s2, 0, v0
	v_cndmask_b32_e64 v4, v4, v32, s2
	s_delay_alu instid0(VALU_DEP_1) | instskip(NEXT) | instid1(VALU_DEP_1)
	v_lshlrev_b32_e32 v5, 16, v4
	v_add_f32_e32 v3, v3, v5
	s_delay_alu instid0(VALU_DEP_1) | instskip(SKIP_1) | instid1(VALU_DEP_2)
	v_bfe_u32 v5, v3, 16, 1
	v_cmp_o_f32_e64 s2, v3, v3
	v_add3_u32 v5, v3, v5, 0x7fff
	s_delay_alu instid0(VALU_DEP_1) | instskip(NEXT) | instid1(VALU_DEP_1)
	v_lshrrev_b32_e32 v5, 16, v5
	v_cndmask_b32_e64 v3, 0x7fc0, v5, s2
	ds_store_b16 v2, v4
	ds_store_b16 v2, v3 offset:2
.LBB115_61:
	s_or_b32 exec_lo, exec_lo, s3
	v_cmp_eq_u32_e64 s3, 0, v0
	v_cmp_ne_u32_e64 s2, 0, v0
	s_waitcnt lgkmcnt(0)
	s_barrier
	buffer_gl0_inv
	s_and_saveexec_b32 s4, s2
	s_cbranch_execz .LBB115_63
; %bb.62:
	v_add_nc_u32_e32 v2, -1, v0
	s_delay_alu instid0(VALU_DEP_1) | instskip(NEXT) | instid1(VALU_DEP_1)
	v_lshrrev_b32_e32 v3, 5, v2
	v_add_lshl_u32 v2, v3, v2, 1
	ds_load_u16 v32, v2
.LBB115_63:
	s_or_b32 exec_lo, exec_lo, s4
	s_and_saveexec_b32 s5, vcc_lo
	s_cbranch_execz .LBB115_102
; %bb.64:
	v_mov_b32_e32 v4, 0
	v_mbcnt_lo_u32_b32 v5, -1, 0
	ds_load_u16 v33, v4 offset:128
	v_cmp_eq_u32_e64 s4, 0, v5
	s_delay_alu instid0(VALU_DEP_1)
	s_and_saveexec_b32 s10, s4
	s_cbranch_execz .LBB115_66
; %bb.65:
	s_add_i32 s8, s15, 32
	s_waitcnt lgkmcnt(0)
	v_or_b32_e32 v2, 0x10000, v33
	s_lshl_b64 s[8:9], s[8:9], 2
	s_delay_alu instid0(SALU_CYCLE_1)
	s_add_u32 s8, s16, s8
	s_addc_u32 s9, s17, s9
	global_store_b32 v4, v2, s[8:9]
.LBB115_66:
	s_or_b32 exec_lo, exec_lo, s10
	v_xad_u32 v2, v5, -1, s15
	s_mov_b32 s8, exec_lo
	s_delay_alu instid0(VALU_DEP_1) | instskip(NEXT) | instid1(VALU_DEP_1)
	v_add_nc_u32_e32 v3, 32, v2
	v_lshlrev_b64 v[3:4], 2, v[3:4]
	s_delay_alu instid0(VALU_DEP_1) | instskip(NEXT) | instid1(VALU_DEP_2)
	v_add_co_u32 v3, vcc_lo, s16, v3
	v_add_co_ci_u32_e32 v4, vcc_lo, s17, v4, vcc_lo
	global_load_b32 v47, v[3:4], off glc
	s_waitcnt vmcnt(0)
	v_lshrrev_b32_e32 v34, 16, v47
	s_delay_alu instid0(VALU_DEP_1) | instskip(NEXT) | instid1(VALU_DEP_1)
	v_and_b32_e32 v35, 0xff, v34
	v_cmpx_eq_u16_e32 0, v35
	s_cbranch_execz .LBB115_70
; %bb.67:
	s_mov_b32 s9, 0
.LBB115_68:                             ; =>This Inner Loop Header: Depth=1
	global_load_b32 v47, v[3:4], off glc
	s_waitcnt vmcnt(0)
	v_lshrrev_b32_e32 v34, 16, v47
	s_delay_alu instid0(VALU_DEP_1) | instskip(NEXT) | instid1(VALU_DEP_1)
	v_and_b32_e32 v35, 0xff, v34
	v_cmp_ne_u16_e32 vcc_lo, 0, v35
	s_or_b32 s9, vcc_lo, s9
	s_delay_alu instid0(SALU_CYCLE_1)
	s_and_not1_b32 exec_lo, exec_lo, s9
	s_cbranch_execnz .LBB115_68
; %bb.69:
	s_or_b32 exec_lo, exec_lo, s9
.LBB115_70:
	s_delay_alu instid0(SALU_CYCLE_1)
	s_or_b32 exec_lo, exec_lo, s8
	v_cmp_ne_u32_e32 vcc_lo, 31, v5
	v_and_b32_e32 v4, 0xffff, v47
	v_and_b32_e32 v36, 0xff, v34
	v_add_nc_u32_e32 v37, 1, v5
	s_mov_b32 s8, exec_lo
	v_add_co_ci_u32_e32 v3, vcc_lo, 0, v5, vcc_lo
	s_delay_alu instid0(VALU_DEP_3) | instskip(SKIP_1) | instid1(VALU_DEP_3)
	v_cmp_eq_u16_e32 vcc_lo, 2, v36
	v_lshlrev_b32_e64 v36, v5, -1
	v_lshlrev_b32_e32 v35, 2, v3
	s_delay_alu instid0(VALU_DEP_2) | instskip(SKIP_2) | instid1(VALU_DEP_1)
	v_and_or_b32 v3, vcc_lo, v36, 0x80000000
	ds_bpermute_b32 v38, v35, v4
	v_ctz_i32_b32_e32 v3, v3
	v_cmpx_le_u32_e64 v37, v3
	s_cbranch_execz .LBB115_72
; %bb.71:
	s_waitcnt lgkmcnt(0)
	v_lshlrev_b32_e32 v38, 16, v38
	v_lshlrev_b32_e32 v4, 16, v4
	s_delay_alu instid0(VALU_DEP_1) | instskip(NEXT) | instid1(VALU_DEP_1)
	v_add_f32_e32 v4, v4, v38
	v_bfe_u32 v38, v4, 16, 1
	v_cmp_o_f32_e32 vcc_lo, v4, v4
	s_delay_alu instid0(VALU_DEP_2) | instskip(NEXT) | instid1(VALU_DEP_1)
	v_add3_u32 v38, v4, v38, 0x7fff
	v_lshrrev_b32_e32 v38, 16, v38
	s_delay_alu instid0(VALU_DEP_1) | instskip(NEXT) | instid1(VALU_DEP_1)
	v_cndmask_b32_e32 v47, 0x7fc0, v38, vcc_lo
	v_and_b32_e32 v4, 0xffff, v47
.LBB115_72:
	s_or_b32 exec_lo, exec_lo, s8
	v_cmp_gt_u32_e32 vcc_lo, 30, v5
	v_add_nc_u32_e32 v39, 2, v5
	s_mov_b32 s8, exec_lo
	s_waitcnt lgkmcnt(0)
	v_cndmask_b32_e64 v38, 0, 1, vcc_lo
	s_delay_alu instid0(VALU_DEP_1) | instskip(NEXT) | instid1(VALU_DEP_1)
	v_lshlrev_b32_e32 v38, 1, v38
	v_add_lshl_u32 v38, v38, v5, 2
	ds_bpermute_b32 v40, v38, v4
	v_cmpx_le_u32_e64 v39, v3
	s_cbranch_execz .LBB115_74
; %bb.73:
	s_waitcnt lgkmcnt(0)
	v_lshlrev_b32_e32 v40, 16, v40
	v_lshlrev_b32_e32 v4, 16, v4
	s_delay_alu instid0(VALU_DEP_1) | instskip(NEXT) | instid1(VALU_DEP_1)
	v_add_f32_e32 v4, v4, v40
	v_bfe_u32 v40, v4, 16, 1
	v_cmp_o_f32_e32 vcc_lo, v4, v4
	s_delay_alu instid0(VALU_DEP_2) | instskip(NEXT) | instid1(VALU_DEP_1)
	v_add3_u32 v40, v4, v40, 0x7fff
	v_lshrrev_b32_e32 v40, 16, v40
	s_delay_alu instid0(VALU_DEP_1) | instskip(NEXT) | instid1(VALU_DEP_1)
	v_cndmask_b32_e32 v47, 0x7fc0, v40, vcc_lo
	v_and_b32_e32 v4, 0xffff, v47
.LBB115_74:
	s_or_b32 exec_lo, exec_lo, s8
	v_cmp_gt_u32_e32 vcc_lo, 28, v5
	v_add_nc_u32_e32 v41, 4, v5
	s_mov_b32 s8, exec_lo
	s_waitcnt lgkmcnt(0)
	v_cndmask_b32_e64 v40, 0, 1, vcc_lo
	s_delay_alu instid0(VALU_DEP_1) | instskip(NEXT) | instid1(VALU_DEP_1)
	v_lshlrev_b32_e32 v40, 2, v40
	v_add_lshl_u32 v40, v40, v5, 2
	ds_bpermute_b32 v42, v40, v4
	;; [unrolled: 27-line block ×4, first 2 shown]
	v_cmpx_le_u32_e64 v46, v3
	s_cbranch_execz .LBB115_80
; %bb.79:
	s_waitcnt lgkmcnt(0)
	v_lshlrev_b32_e32 v3, 16, v44
	v_lshlrev_b32_e32 v4, 16, v4
	s_delay_alu instid0(VALU_DEP_1) | instskip(NEXT) | instid1(VALU_DEP_1)
	v_add_f32_e32 v3, v4, v3
	v_bfe_u32 v4, v3, 16, 1
	v_cmp_o_f32_e32 vcc_lo, v3, v3
	s_delay_alu instid0(VALU_DEP_2) | instskip(NEXT) | instid1(VALU_DEP_1)
	v_add3_u32 v4, v3, v4, 0x7fff
	v_lshrrev_b32_e32 v4, 16, v4
	s_delay_alu instid0(VALU_DEP_1)
	v_cndmask_b32_e32 v47, 0x7fc0, v4, vcc_lo
.LBB115_80:
	s_or_b32 exec_lo, exec_lo, s8
	v_mov_b32_e32 v3, 0
	s_branch .LBB115_82
.LBB115_81:                             ;   in Loop: Header=BB115_82 Depth=1
	s_or_b32 exec_lo, exec_lo, s8
	s_delay_alu instid0(VALU_DEP_1) | instskip(SKIP_2) | instid1(VALU_DEP_2)
	v_lshlrev_b32_e32 v4, 16, v47
	v_lshlrev_b32_e32 v5, 16, v44
	v_subrev_nc_u32_e32 v2, 32, v2
	v_add_f32_e32 v4, v5, v4
	s_delay_alu instid0(VALU_DEP_1) | instskip(SKIP_1) | instid1(VALU_DEP_2)
	v_bfe_u32 v5, v4, 16, 1
	v_cmp_o_f32_e32 vcc_lo, v4, v4
	v_add3_u32 v5, v4, v5, 0x7fff
	s_delay_alu instid0(VALU_DEP_1) | instskip(NEXT) | instid1(VALU_DEP_1)
	v_lshrrev_b32_e32 v5, 16, v5
	v_cndmask_b32_e32 v47, 0x7fc0, v5, vcc_lo
.LBB115_82:                             ; =>This Loop Header: Depth=1
                                        ;     Child Loop BB115_85 Depth 2
	v_and_b32_e32 v4, 0xff, v34
	s_waitcnt lgkmcnt(0)
	s_delay_alu instid0(VALU_DEP_2) | instskip(NEXT) | instid1(VALU_DEP_2)
	v_mov_b32_e32 v44, v47
	v_cmp_ne_u16_e32 vcc_lo, 2, v4
	v_cndmask_b32_e64 v4, 0, 1, vcc_lo
	;;#ASMSTART
	;;#ASMEND
	s_delay_alu instid0(VALU_DEP_1)
	v_cmp_ne_u32_e32 vcc_lo, 0, v4
	s_cmp_lg_u32 vcc_lo, exec_lo
	s_cbranch_scc1 .LBB115_97
; %bb.83:                               ;   in Loop: Header=BB115_82 Depth=1
	v_lshlrev_b64 v[4:5], 2, v[2:3]
	s_mov_b32 s8, exec_lo
	s_delay_alu instid0(VALU_DEP_1) | instskip(NEXT) | instid1(VALU_DEP_2)
	v_add_co_u32 v4, vcc_lo, s16, v4
	v_add_co_ci_u32_e32 v5, vcc_lo, s17, v5, vcc_lo
	global_load_b32 v47, v[4:5], off glc
	s_waitcnt vmcnt(0)
	v_lshrrev_b32_e32 v34, 16, v47
	s_delay_alu instid0(VALU_DEP_1) | instskip(NEXT) | instid1(VALU_DEP_1)
	v_and_b32_e32 v48, 0xff, v34
	v_cmpx_eq_u16_e32 0, v48
	s_cbranch_execz .LBB115_87
; %bb.84:                               ;   in Loop: Header=BB115_82 Depth=1
	s_mov_b32 s9, 0
.LBB115_85:                             ;   Parent Loop BB115_82 Depth=1
                                        ; =>  This Inner Loop Header: Depth=2
	global_load_b32 v47, v[4:5], off glc
	s_waitcnt vmcnt(0)
	v_lshrrev_b32_e32 v34, 16, v47
	s_delay_alu instid0(VALU_DEP_1) | instskip(NEXT) | instid1(VALU_DEP_1)
	v_and_b32_e32 v48, 0xff, v34
	v_cmp_ne_u16_e32 vcc_lo, 0, v48
	s_or_b32 s9, vcc_lo, s9
	s_delay_alu instid0(SALU_CYCLE_1)
	s_and_not1_b32 exec_lo, exec_lo, s9
	s_cbranch_execnz .LBB115_85
; %bb.86:                               ;   in Loop: Header=BB115_82 Depth=1
	s_or_b32 exec_lo, exec_lo, s9
.LBB115_87:                             ;   in Loop: Header=BB115_82 Depth=1
	s_delay_alu instid0(SALU_CYCLE_1)
	s_or_b32 exec_lo, exec_lo, s8
	v_and_b32_e32 v5, 0xffff, v47
	v_and_b32_e32 v4, 0xff, v34
	s_mov_b32 s8, exec_lo
	ds_bpermute_b32 v48, v35, v5
	v_cmp_eq_u16_e32 vcc_lo, 2, v4
	v_and_or_b32 v4, vcc_lo, v36, 0x80000000
	s_delay_alu instid0(VALU_DEP_1) | instskip(NEXT) | instid1(VALU_DEP_1)
	v_ctz_i32_b32_e32 v4, v4
	v_cmpx_le_u32_e64 v37, v4
	s_cbranch_execz .LBB115_89
; %bb.88:                               ;   in Loop: Header=BB115_82 Depth=1
	s_waitcnt lgkmcnt(0)
	v_lshlrev_b32_e32 v47, 16, v48
	v_lshlrev_b32_e32 v5, 16, v5
	s_delay_alu instid0(VALU_DEP_1) | instskip(NEXT) | instid1(VALU_DEP_1)
	v_add_f32_e32 v5, v5, v47
	v_bfe_u32 v47, v5, 16, 1
	v_cmp_o_f32_e32 vcc_lo, v5, v5
	s_delay_alu instid0(VALU_DEP_2) | instskip(NEXT) | instid1(VALU_DEP_1)
	v_add3_u32 v47, v5, v47, 0x7fff
	v_lshrrev_b32_e32 v47, 16, v47
	s_delay_alu instid0(VALU_DEP_1) | instskip(NEXT) | instid1(VALU_DEP_1)
	v_cndmask_b32_e32 v47, 0x7fc0, v47, vcc_lo
	v_and_b32_e32 v5, 0xffff, v47
.LBB115_89:                             ;   in Loop: Header=BB115_82 Depth=1
	s_or_b32 exec_lo, exec_lo, s8
	s_waitcnt lgkmcnt(0)
	ds_bpermute_b32 v48, v38, v5
	s_mov_b32 s8, exec_lo
	v_cmpx_le_u32_e64 v39, v4
	s_cbranch_execz .LBB115_91
; %bb.90:                               ;   in Loop: Header=BB115_82 Depth=1
	s_waitcnt lgkmcnt(0)
	v_lshlrev_b32_e32 v47, 16, v48
	v_lshlrev_b32_e32 v5, 16, v5
	s_delay_alu instid0(VALU_DEP_1) | instskip(NEXT) | instid1(VALU_DEP_1)
	v_add_f32_e32 v5, v5, v47
	v_bfe_u32 v47, v5, 16, 1
	v_cmp_o_f32_e32 vcc_lo, v5, v5
	s_delay_alu instid0(VALU_DEP_2) | instskip(NEXT) | instid1(VALU_DEP_1)
	v_add3_u32 v47, v5, v47, 0x7fff
	v_lshrrev_b32_e32 v47, 16, v47
	s_delay_alu instid0(VALU_DEP_1) | instskip(NEXT) | instid1(VALU_DEP_1)
	v_cndmask_b32_e32 v47, 0x7fc0, v47, vcc_lo
	v_and_b32_e32 v5, 0xffff, v47
.LBB115_91:                             ;   in Loop: Header=BB115_82 Depth=1
	s_or_b32 exec_lo, exec_lo, s8
	s_waitcnt lgkmcnt(0)
	ds_bpermute_b32 v48, v40, v5
	s_mov_b32 s8, exec_lo
	;; [unrolled: 21-line block ×4, first 2 shown]
	v_cmpx_le_u32_e64 v46, v4
	s_cbranch_execz .LBB115_81
; %bb.96:                               ;   in Loop: Header=BB115_82 Depth=1
	s_waitcnt lgkmcnt(0)
	v_lshlrev_b32_e32 v4, 16, v48
	v_lshlrev_b32_e32 v5, 16, v5
	s_delay_alu instid0(VALU_DEP_1) | instskip(NEXT) | instid1(VALU_DEP_1)
	v_add_f32_e32 v4, v5, v4
	v_bfe_u32 v5, v4, 16, 1
	v_cmp_o_f32_e32 vcc_lo, v4, v4
	s_delay_alu instid0(VALU_DEP_2) | instskip(NEXT) | instid1(VALU_DEP_1)
	v_add3_u32 v5, v4, v5, 0x7fff
	v_lshrrev_b32_e32 v5, 16, v5
	s_delay_alu instid0(VALU_DEP_1)
	v_cndmask_b32_e32 v47, 0x7fc0, v5, vcc_lo
	s_branch .LBB115_81
.LBB115_97:                             ;   in Loop: Header=BB115_82 Depth=1
                                        ; implicit-def: $vgpr47
                                        ; implicit-def: $vgpr34
	s_cbranch_execz .LBB115_82
; %bb.98:
	s_and_saveexec_b32 s8, s4
	s_cbranch_execz .LBB115_100
; %bb.99:
	v_lshlrev_b32_e32 v2, 16, v44
	v_dual_mov_b32 v4, 0 :: v_dual_lshlrev_b32 v3, 16, v33
	s_add_i32 s10, s15, 32
	s_mov_b32 s11, 0
	s_delay_alu instid0(VALU_DEP_1) | instskip(SKIP_1) | instid1(SALU_CYCLE_1)
	v_add_f32_e32 v2, v3, v2
	s_lshl_b64 s[10:11], s[10:11], 2
	s_add_u32 s10, s16, s10
	s_addc_u32 s11, s17, s11
	s_delay_alu instid0(VALU_DEP_1) | instskip(SKIP_1) | instid1(VALU_DEP_2)
	v_bfe_u32 v3, v2, 16, 1
	v_cmp_o_f32_e32 vcc_lo, v2, v2
	v_add3_u32 v3, v2, v3, 0x7fff
	s_delay_alu instid0(VALU_DEP_1) | instskip(NEXT) | instid1(VALU_DEP_1)
	v_lshrrev_b32_e32 v3, 16, v3
	v_or_b32_e32 v3, 0x20000, v3
	s_delay_alu instid0(VALU_DEP_1)
	v_cndmask_b32_e32 v2, 0x27fc0, v3, vcc_lo
	global_store_b32 v4, v2, s[10:11]
.LBB115_100:
	s_or_b32 exec_lo, exec_lo, s8
	s_delay_alu instid0(SALU_CYCLE_1)
	s_and_b32 exec_lo, exec_lo, s3
	s_cbranch_execz .LBB115_102
; %bb.101:
	v_mov_b32_e32 v2, 0
	ds_store_b16 v2, v44
.LBB115_102:
	s_or_b32 exec_lo, exec_lo, s5
	v_mov_b32_e32 v2, 0
	s_waitcnt lgkmcnt(0)
	s_waitcnt_vscnt null, 0x0
	s_barrier
	buffer_gl0_inv
	ds_load_u16 v2, v2
	s_and_saveexec_b32 s3, s2
; %bb.103:
	v_lshlrev_b32_e32 v3, 16, v32
	s_delay_alu instid0(VALU_DEP_1) | instskip(NEXT) | instid1(VALU_DEP_1)
	v_add_f32_e32 v3, v31, v3
	v_bfe_u32 v4, v3, 16, 1
	s_delay_alu instid0(VALU_DEP_1) | instskip(NEXT) | instid1(VALU_DEP_1)
	v_add3_u32 v4, v3, v4, 0x7fff
	v_and_b32_e32 v4, 0xffff0000, v4
	v_cmp_o_f32_e32 vcc_lo, v3, v3
	s_delay_alu instid0(VALU_DEP_2)
	v_cndmask_b32_e32 v31, 0x7fc00000, v4, vcc_lo
; %bb.104:
	s_or_b32 exec_lo, exec_lo, s3
	s_waitcnt lgkmcnt(0)
	v_lshlrev_b32_e32 v2, 16, v2
	s_delay_alu instid0(VALU_DEP_1) | instskip(NEXT) | instid1(VALU_DEP_1)
	v_add_f32_e32 v2, v31, v2
	v_bfe_u32 v3, v2, 16, 1
	v_cmp_o_f32_e32 vcc_lo, v2, v2
	s_delay_alu instid0(VALU_DEP_2) | instskip(NEXT) | instid1(VALU_DEP_1)
	v_add3_u32 v3, v2, v3, 0x7fff
	v_lshrrev_b32_e32 v3, 16, v3
	s_delay_alu instid0(VALU_DEP_1) | instskip(NEXT) | instid1(VALU_DEP_1)
	v_cndmask_b32_e32 v2, 0x7fc0, v3, vcc_lo
	v_lshlrev_b32_e32 v3, 16, v2
	s_delay_alu instid0(VALU_DEP_1) | instskip(NEXT) | instid1(VALU_DEP_1)
	v_add_f32_e32 v3, v29, v3
	v_bfe_u32 v4, v3, 16, 1
	v_cmp_o_f32_e32 vcc_lo, v3, v3
	s_delay_alu instid0(VALU_DEP_2) | instskip(NEXT) | instid1(VALU_DEP_1)
	v_add3_u32 v4, v3, v4, 0x7fff
	v_lshrrev_b32_e32 v4, 16, v4
	s_delay_alu instid0(VALU_DEP_1) | instskip(NEXT) | instid1(VALU_DEP_1)
	v_cndmask_b32_e32 v3, 0x7fc0, v4, vcc_lo
	;; [unrolled: 10-line block ×21, first 2 shown]
	v_lshlrev_b32_e32 v48, 16, v47
	s_delay_alu instid0(VALU_DEP_1) | instskip(NEXT) | instid1(VALU_DEP_1)
	v_add_f32_e32 v48, v9, v48
	v_bfe_u32 v49, v48, 16, 1
	v_cmp_o_f32_e32 vcc_lo, v48, v48
	s_delay_alu instid0(VALU_DEP_2) | instskip(NEXT) | instid1(VALU_DEP_1)
	v_add3_u32 v49, v48, v49, 0x7fff
	v_lshrrev_b32_e32 v49, 16, v49
	s_delay_alu instid0(VALU_DEP_1)
	v_cndmask_b32_e32 v48, 0x7fc0, v49, vcc_lo
	s_load_b128 s[8:11], s[0:1], 0x30
	s_branch .LBB115_127
.LBB115_105:
                                        ; implicit-def: $vgpr2
                                        ; implicit-def: $vgpr3
                                        ; implicit-def: $vgpr4
                                        ; implicit-def: $vgpr5
                                        ; implicit-def: $vgpr31
                                        ; implicit-def: $vgpr32
                                        ; implicit-def: $vgpr33
                                        ; implicit-def: $vgpr34
                                        ; implicit-def: $vgpr35
                                        ; implicit-def: $vgpr36
                                        ; implicit-def: $vgpr37
                                        ; implicit-def: $vgpr38
                                        ; implicit-def: $vgpr39
                                        ; implicit-def: $vgpr40
                                        ; implicit-def: $vgpr41
                                        ; implicit-def: $vgpr42
                                        ; implicit-def: $vgpr43
                                        ; implicit-def: $vgpr44
                                        ; implicit-def: $vgpr45
                                        ; implicit-def: $vgpr46
                                        ; implicit-def: $vgpr47
                                        ; implicit-def: $vgpr48
	s_load_b128 s[8:11], s[0:1], 0x30
	s_cbranch_execz .LBB115_127
; %bb.106:
	s_load_b32 s2, s[0:1], 0x40
	v_cmp_eq_u32_e32 vcc_lo, 0, v0
	v_mov_b32_e32 v2, v1
	s_waitcnt lgkmcnt(0)
	s_bitcmp1_b32 s2, 0
	v_cmp_ne_u32_e64 s2, 0, v0
	s_cselect_b32 s3, -1, 0
	s_delay_alu instid0(SALU_CYCLE_1) | instskip(NEXT) | instid1(SALU_CYCLE_1)
	s_and_b32 s3, vcc_lo, s3
	s_and_saveexec_b32 s4, s3
	s_cbranch_execz .LBB115_108
; %bb.107:
	v_dual_mov_b32 v2, 0 :: v_dual_lshlrev_b32 v1, 16, v1
	global_load_u16 v2, v2, s[8:9]
	s_waitcnt vmcnt(0)
	v_lshlrev_b32_e32 v2, 16, v2
	s_delay_alu instid0(VALU_DEP_1) | instskip(NEXT) | instid1(VALU_DEP_1)
	v_add_f32_e32 v1, v1, v2
	v_bfe_u32 v2, v1, 16, 1
	v_cmp_o_f32_e64 s3, v1, v1
	s_delay_alu instid0(VALU_DEP_2) | instskip(NEXT) | instid1(VALU_DEP_1)
	v_add3_u32 v2, v1, v2, 0x7fff
	v_lshrrev_b32_e32 v2, 16, v2
	s_delay_alu instid0(VALU_DEP_1)
	v_cndmask_b32_e64 v2, 0x7fc0, v2, s3
.LBB115_108:
	s_or_b32 exec_lo, exec_lo, s4
	s_delay_alu instid0(VALU_DEP_1) | instskip(SKIP_2) | instid1(VALU_DEP_2)
	v_lshlrev_b32_e32 v4, 16, v2
	v_add_lshl_u32 v30, v30, v0, 1
	s_mov_b32 s4, exec_lo
	v_add_f32_e32 v1, v29, v4
	s_delay_alu instid0(VALU_DEP_1) | instskip(SKIP_1) | instid1(VALU_DEP_2)
	v_bfe_u32 v3, v1, 16, 1
	v_cmp_o_f32_e64 s3, v1, v1
	v_add3_u32 v3, v1, v3, 0x7fff
	s_delay_alu instid0(VALU_DEP_1) | instskip(NEXT) | instid1(VALU_DEP_1)
	v_and_b32_e32 v5, 0xffff0000, v3
	v_cndmask_b32_e64 v5, 0x7fc00000, v5, s3
	s_delay_alu instid0(VALU_DEP_1) | instskip(NEXT) | instid1(VALU_DEP_1)
	v_add_f32_e32 v5, v5, v28
	v_bfe_u32 v31, v5, 16, 1
	v_cmp_o_f32_e64 s3, v5, v5
	s_delay_alu instid0(VALU_DEP_2) | instskip(NEXT) | instid1(VALU_DEP_1)
	v_add3_u32 v31, v5, v31, 0x7fff
	v_and_b32_e32 v31, 0xffff0000, v31
	s_delay_alu instid0(VALU_DEP_1) | instskip(NEXT) | instid1(VALU_DEP_1)
	v_cndmask_b32_e64 v5, 0x7fc00000, v31, s3
	v_add_f32_e32 v5, v5, v27
	s_delay_alu instid0(VALU_DEP_1) | instskip(SKIP_1) | instid1(VALU_DEP_2)
	v_bfe_u32 v31, v5, 16, 1
	v_cmp_o_f32_e64 s3, v5, v5
	v_add3_u32 v31, v5, v31, 0x7fff
	s_delay_alu instid0(VALU_DEP_1) | instskip(NEXT) | instid1(VALU_DEP_1)
	v_and_b32_e32 v31, 0xffff0000, v31
	v_cndmask_b32_e64 v5, 0x7fc00000, v31, s3
	s_delay_alu instid0(VALU_DEP_1) | instskip(NEXT) | instid1(VALU_DEP_1)
	v_add_f32_e32 v5, v5, v26
	v_bfe_u32 v31, v5, 16, 1
	v_cmp_o_f32_e64 s3, v5, v5
	s_delay_alu instid0(VALU_DEP_2) | instskip(NEXT) | instid1(VALU_DEP_1)
	v_add3_u32 v31, v5, v31, 0x7fff
	v_and_b32_e32 v31, 0xffff0000, v31
	s_delay_alu instid0(VALU_DEP_1) | instskip(NEXT) | instid1(VALU_DEP_1)
	v_cndmask_b32_e64 v5, 0x7fc00000, v31, s3
	;; [unrolled: 17-line block ×10, first 2 shown]
	v_add_f32_e32 v5, v5, v9
	s_delay_alu instid0(VALU_DEP_1) | instskip(SKIP_1) | instid1(VALU_DEP_2)
	v_bfe_u32 v31, v5, 16, 1
	v_cmp_o_f32_e64 s3, v5, v5
	v_add3_u32 v31, v5, v31, 0x7fff
	s_delay_alu instid0(VALU_DEP_1) | instskip(NEXT) | instid1(VALU_DEP_1)
	v_lshrrev_b32_e32 v31, 16, v31
	v_cndmask_b32_e64 v5, 0x7fc0, v31, s3
	ds_store_b16 v30, v5
	s_waitcnt lgkmcnt(0)
	s_barrier
	buffer_gl0_inv
	v_cmpx_gt_u32_e32 32, v0
	s_cbranch_execz .LBB115_120
; %bb.109:
	v_lshrrev_b32_e32 v30, 3, v0
	s_mov_b32 s5, exec_lo
	s_delay_alu instid0(VALU_DEP_1) | instskip(NEXT) | instid1(VALU_DEP_1)
	v_and_b32_e32 v30, 6, v30
	v_lshl_or_b32 v30, v0, 2, v30
	ds_load_b32 v32, v30
	s_waitcnt lgkmcnt(0)
	v_and_b32_e32 v31, 0xffff0000, v32
	v_lshlrev_b32_e32 v32, 16, v32
	s_delay_alu instid0(VALU_DEP_1) | instskip(NEXT) | instid1(VALU_DEP_1)
	v_add_f32_e32 v33, v32, v31
	v_bfe_u32 v34, v33, 16, 1
	v_cmp_o_f32_e64 s3, v33, v33
	s_delay_alu instid0(VALU_DEP_2) | instskip(SKIP_1) | instid1(VALU_DEP_2)
	v_add3_u32 v34, v33, v34, 0x7fff
	v_mbcnt_lo_u32_b32 v33, -1, 0
	v_lshrrev_b32_e32 v34, 16, v34
	s_delay_alu instid0(VALU_DEP_2) | instskip(NEXT) | instid1(VALU_DEP_2)
	v_and_b32_e32 v36, 15, v33
	v_cndmask_b32_e64 v34, 0x7fc0, v34, s3
	s_delay_alu instid0(VALU_DEP_1) | instskip(NEXT) | instid1(VALU_DEP_1)
	v_and_b32_e32 v35, 0xffff, v34
	v_mov_b32_dpp v37, v35 row_shr:1 row_mask:0xf bank_mask:0xf
	s_delay_alu instid0(VALU_DEP_4)
	v_cmpx_ne_u32_e32 0, v36
; %bb.110:
	s_delay_alu instid0(VALU_DEP_2) | instskip(SKIP_1) | instid1(VALU_DEP_1)
	v_lshlrev_b32_e32 v34, 16, v37
	v_lshlrev_b32_e32 v35, 16, v35
	v_add_f32_e32 v34, v34, v35
	s_delay_alu instid0(VALU_DEP_1) | instskip(SKIP_1) | instid1(VALU_DEP_2)
	v_bfe_u32 v35, v34, 16, 1
	v_cmp_o_f32_e64 s3, v34, v34
	v_add3_u32 v35, v34, v35, 0x7fff
	s_delay_alu instid0(VALU_DEP_1) | instskip(NEXT) | instid1(VALU_DEP_1)
	v_lshrrev_b32_e32 v35, 16, v35
	v_cndmask_b32_e64 v34, 0x7fc0, v35, s3
	s_delay_alu instid0(VALU_DEP_1)
	v_and_b32_e32 v35, 0xffff, v34
; %bb.111:
	s_or_b32 exec_lo, exec_lo, s5
	s_delay_alu instid0(VALU_DEP_1)
	v_mov_b32_dpp v37, v35 row_shr:2 row_mask:0xf bank_mask:0xf
	s_mov_b32 s5, exec_lo
	v_cmpx_lt_u32_e32 1, v36
; %bb.112:
	s_delay_alu instid0(VALU_DEP_2) | instskip(SKIP_1) | instid1(VALU_DEP_1)
	v_lshlrev_b32_e32 v34, 16, v37
	v_lshlrev_b32_e32 v35, 16, v35
	v_add_f32_e32 v34, v35, v34
	s_delay_alu instid0(VALU_DEP_1) | instskip(SKIP_1) | instid1(VALU_DEP_2)
	v_bfe_u32 v35, v34, 16, 1
	v_cmp_o_f32_e64 s3, v34, v34
	v_add3_u32 v35, v34, v35, 0x7fff
	s_delay_alu instid0(VALU_DEP_1) | instskip(NEXT) | instid1(VALU_DEP_1)
	v_lshrrev_b32_e32 v35, 16, v35
	v_cndmask_b32_e64 v34, 0x7fc0, v35, s3
	s_delay_alu instid0(VALU_DEP_1)
	v_and_b32_e32 v35, 0xffff, v34
; %bb.113:
	s_or_b32 exec_lo, exec_lo, s5
	s_delay_alu instid0(VALU_DEP_1)
	v_mov_b32_dpp v37, v35 row_shr:4 row_mask:0xf bank_mask:0xf
	s_mov_b32 s5, exec_lo
	v_cmpx_lt_u32_e32 3, v36
; %bb.114:
	s_delay_alu instid0(VALU_DEP_2) | instskip(SKIP_1) | instid1(VALU_DEP_1)
	v_lshlrev_b32_e32 v34, 16, v37
	v_lshlrev_b32_e32 v35, 16, v35
	v_add_f32_e32 v34, v35, v34
	s_delay_alu instid0(VALU_DEP_1) | instskip(SKIP_1) | instid1(VALU_DEP_2)
	v_bfe_u32 v35, v34, 16, 1
	v_cmp_o_f32_e64 s3, v34, v34
	v_add3_u32 v35, v34, v35, 0x7fff
	s_delay_alu instid0(VALU_DEP_1) | instskip(NEXT) | instid1(VALU_DEP_1)
	v_lshrrev_b32_e32 v35, 16, v35
	v_cndmask_b32_e64 v34, 0x7fc0, v35, s3
	s_delay_alu instid0(VALU_DEP_1)
	v_and_b32_e32 v35, 0xffff, v34
; %bb.115:
	s_or_b32 exec_lo, exec_lo, s5
	s_delay_alu instid0(VALU_DEP_1)
	v_mov_b32_dpp v37, v35 row_shr:8 row_mask:0xf bank_mask:0xf
	s_mov_b32 s5, exec_lo
	v_cmpx_lt_u32_e32 7, v36
; %bb.116:
	s_delay_alu instid0(VALU_DEP_2) | instskip(SKIP_1) | instid1(VALU_DEP_1)
	v_lshlrev_b32_e32 v34, 16, v37
	v_lshlrev_b32_e32 v35, 16, v35
	v_add_f32_e32 v34, v35, v34
	s_delay_alu instid0(VALU_DEP_1) | instskip(SKIP_1) | instid1(VALU_DEP_2)
	v_bfe_u32 v35, v34, 16, 1
	v_cmp_o_f32_e64 s3, v34, v34
	v_add3_u32 v35, v34, v35, 0x7fff
	s_delay_alu instid0(VALU_DEP_1) | instskip(NEXT) | instid1(VALU_DEP_1)
	v_lshrrev_b32_e32 v35, 16, v35
	v_cndmask_b32_e64 v34, 0x7fc0, v35, s3
	s_delay_alu instid0(VALU_DEP_1)
	v_and_b32_e32 v35, 0xffff, v34
; %bb.117:
	s_or_b32 exec_lo, exec_lo, s5
	ds_swizzle_b32 v36, v35 offset:swizzle(BROADCAST,32,15)
	v_and_b32_e32 v37, 16, v33
	s_mov_b32 s5, exec_lo
	s_delay_alu instid0(VALU_DEP_1)
	v_cmpx_ne_u32_e32 0, v37
	s_cbranch_execz .LBB115_119
; %bb.118:
	s_waitcnt lgkmcnt(0)
	v_lshlrev_b32_e32 v34, 16, v36
	v_lshlrev_b32_e32 v35, 16, v35
	s_delay_alu instid0(VALU_DEP_1) | instskip(NEXT) | instid1(VALU_DEP_1)
	v_add_f32_e32 v34, v35, v34
	v_bfe_u32 v35, v34, 16, 1
	v_cmp_o_f32_e64 s3, v34, v34
	s_delay_alu instid0(VALU_DEP_2) | instskip(NEXT) | instid1(VALU_DEP_1)
	v_add3_u32 v35, v34, v35, 0x7fff
	v_lshrrev_b32_e32 v35, 16, v35
	s_delay_alu instid0(VALU_DEP_1)
	v_cndmask_b32_e64 v34, 0x7fc0, v35, s3
.LBB115_119:
	s_or_b32 exec_lo, exec_lo, s5
	v_add_nc_u32_e32 v35, -1, v33
	s_delay_alu instid0(VALU_DEP_2) | instskip(NEXT) | instid1(VALU_DEP_2)
	v_and_b32_e32 v34, 0xffff, v34
	v_cmp_gt_i32_e64 s3, 0, v35
	s_delay_alu instid0(VALU_DEP_1) | instskip(NEXT) | instid1(VALU_DEP_1)
	v_cndmask_b32_e64 v33, v35, v33, s3
	v_lshlrev_b32_e32 v33, 2, v33
	ds_bpermute_b32 v33, v33, v34
	s_waitcnt lgkmcnt(0)
	v_lshlrev_b32_e32 v33, 16, v33
	s_delay_alu instid0(VALU_DEP_1) | instskip(NEXT) | instid1(VALU_DEP_1)
	v_add_f32_e32 v32, v32, v33
	v_bfe_u32 v33, v32, 16, 1
	v_cmp_o_f32_e64 s3, v32, v32
	s_delay_alu instid0(VALU_DEP_2) | instskip(NEXT) | instid1(VALU_DEP_1)
	v_add3_u32 v33, v32, v33, 0x7fff
	v_lshrrev_b32_e32 v33, 16, v33
	s_delay_alu instid0(VALU_DEP_1) | instskip(NEXT) | instid1(VALU_DEP_1)
	v_cndmask_b32_e64 v32, 0x7fc0, v33, s3
	v_cndmask_b32_e32 v32, v32, v5, vcc_lo
	s_delay_alu instid0(VALU_DEP_1) | instskip(NEXT) | instid1(VALU_DEP_1)
	v_lshlrev_b32_e32 v33, 16, v32
	v_add_f32_e32 v31, v31, v33
	s_delay_alu instid0(VALU_DEP_1) | instskip(SKIP_1) | instid1(VALU_DEP_2)
	v_bfe_u32 v33, v31, 16, 1
	v_cmp_o_f32_e64 s3, v31, v31
	v_add3_u32 v33, v31, v33, 0x7fff
	s_delay_alu instid0(VALU_DEP_1) | instskip(NEXT) | instid1(VALU_DEP_1)
	v_lshrrev_b32_e32 v33, 16, v33
	v_cndmask_b32_e64 v31, 0x7fc0, v33, s3
	ds_store_b16 v30, v32
	ds_store_b16 v30, v31 offset:2
.LBB115_120:
	s_or_b32 exec_lo, exec_lo, s4
	s_waitcnt lgkmcnt(0)
	s_barrier
	buffer_gl0_inv
	s_and_saveexec_b32 s3, s2
	s_cbranch_execz .LBB115_122
; %bb.121:
	v_add_nc_u32_e32 v5, -1, v0
	s_delay_alu instid0(VALU_DEP_1) | instskip(NEXT) | instid1(VALU_DEP_1)
	v_lshrrev_b32_e32 v30, 5, v5
	v_add_lshl_u32 v5, v30, v5, 1
	ds_load_u16 v5, v5
.LBB115_122:
	s_or_b32 exec_lo, exec_lo, s3
	s_and_saveexec_b32 s3, s2
	s_cbranch_execz .LBB115_124
; %bb.123:
	s_waitcnt lgkmcnt(0)
	v_lshlrev_b32_e32 v1, 16, v5
	s_delay_alu instid0(VALU_DEP_1) | instskip(NEXT) | instid1(VALU_DEP_1)
	v_add_f32_e32 v1, v4, v1
	v_bfe_u32 v2, v1, 16, 1
	v_cmp_o_f32_e64 s2, v1, v1
	s_delay_alu instid0(VALU_DEP_2) | instskip(NEXT) | instid1(VALU_DEP_1)
	v_add3_u32 v2, v1, v2, 0x7fff
	v_lshrrev_b32_e32 v2, 16, v2
	s_delay_alu instid0(VALU_DEP_1) | instskip(NEXT) | instid1(VALU_DEP_1)
	v_cndmask_b32_e64 v2, 0x7fc0, v2, s2
	v_lshlrev_b32_e32 v1, 16, v2
	s_delay_alu instid0(VALU_DEP_1) | instskip(NEXT) | instid1(VALU_DEP_1)
	v_add_f32_e32 v1, v29, v1
	v_bfe_u32 v3, v1, 16, 1
	s_delay_alu instid0(VALU_DEP_1)
	v_add3_u32 v3, v1, v3, 0x7fff
.LBB115_124:
	s_or_b32 exec_lo, exec_lo, s3
	s_delay_alu instid0(VALU_DEP_1) | instskip(SKIP_1) | instid1(VALU_DEP_1)
	v_lshrrev_b32_e32 v3, 16, v3
	v_cmp_o_f32_e64 s2, v1, v1
	v_cndmask_b32_e64 v3, 0x7fc0, v3, s2
	s_delay_alu instid0(VALU_DEP_1) | instskip(NEXT) | instid1(VALU_DEP_1)
	v_lshlrev_b32_e32 v1, 16, v3
	v_add_f32_e32 v1, v28, v1
	s_delay_alu instid0(VALU_DEP_1) | instskip(SKIP_1) | instid1(VALU_DEP_2)
	v_bfe_u32 v4, v1, 16, 1
	v_cmp_o_f32_e64 s2, v1, v1
	v_add3_u32 v4, v1, v4, 0x7fff
	s_delay_alu instid0(VALU_DEP_1) | instskip(NEXT) | instid1(VALU_DEP_1)
	v_lshrrev_b32_e32 v4, 16, v4
	v_cndmask_b32_e64 v4, 0x7fc0, v4, s2
	s_delay_alu instid0(VALU_DEP_1) | instskip(NEXT) | instid1(VALU_DEP_1)
	v_lshlrev_b32_e32 v1, 16, v4
	v_add_f32_e32 v1, v27, v1
	s_waitcnt lgkmcnt(0)
	s_delay_alu instid0(VALU_DEP_1) | instskip(SKIP_1) | instid1(VALU_DEP_2)
	v_bfe_u32 v5, v1, 16, 1
	v_cmp_o_f32_e64 s2, v1, v1
	v_add3_u32 v5, v1, v5, 0x7fff
	s_delay_alu instid0(VALU_DEP_1) | instskip(NEXT) | instid1(VALU_DEP_1)
	v_lshrrev_b32_e32 v5, 16, v5
	v_cndmask_b32_e64 v5, 0x7fc0, v5, s2
	s_delay_alu instid0(VALU_DEP_1) | instskip(NEXT) | instid1(VALU_DEP_1)
	v_lshlrev_b32_e32 v1, 16, v5
	v_add_f32_e32 v1, v26, v1
	s_delay_alu instid0(VALU_DEP_1) | instskip(SKIP_1) | instid1(VALU_DEP_2)
	v_bfe_u32 v26, v1, 16, 1
	v_cmp_o_f32_e64 s2, v1, v1
	v_add3_u32 v26, v1, v26, 0x7fff
	s_delay_alu instid0(VALU_DEP_1) | instskip(NEXT) | instid1(VALU_DEP_1)
	v_lshrrev_b32_e32 v26, 16, v26
	v_cndmask_b32_e64 v31, 0x7fc0, v26, s2
	s_delay_alu instid0(VALU_DEP_1) | instskip(NEXT) | instid1(VALU_DEP_1)
	v_lshlrev_b32_e32 v1, 16, v31
	v_add_f32_e32 v1, v25, v1
	;; [unrolled: 10-line block ×18, first 2 shown]
	s_delay_alu instid0(VALU_DEP_1) | instskip(SKIP_1) | instid1(VALU_DEP_2)
	v_bfe_u32 v1, v9, 16, 1
	v_cmp_o_f32_e64 s2, v9, v9
	v_add3_u32 v1, v9, v1, 0x7fff
	s_delay_alu instid0(VALU_DEP_1)
	v_lshrrev_b32_e32 v1, 16, v1
	s_and_saveexec_b32 s3, vcc_lo
	s_cbranch_execz .LBB115_126
; %bb.125:
	v_mov_b32_e32 v9, 0
	ds_load_u16 v10, v9 offset:128
	s_waitcnt lgkmcnt(0)
	v_or_b32_e32 v10, 0x20000, v10
	global_store_b32 v9, v10, s[16:17] offset:128
.LBB115_126:
	s_or_b32 exec_lo, exec_lo, s3
	s_delay_alu instid0(VALU_DEP_1)
	v_cndmask_b32_e64 v48, 0x7fc0, v1, s2
.LBB115_127:
	v_perm_b32 v1, v5, v4, 0x5040100
	v_perm_b32 v2, v3, v2, 0x5040100
	;; [unrolled: 1-line block ×11, first 2 shown]
	s_add_u32 s2, s6, s12
	s_addc_u32 s3, s7, s13
	s_and_b32 vcc_lo, exec_lo, s19
	s_mov_b32 s4, -1
	s_waitcnt lgkmcnt(0)
	s_waitcnt_vscnt null, 0x0
	s_barrier
	buffer_gl0_inv
	s_cbranch_vccz .LBB115_129
; %bb.128:
	ds_store_2addr_b32 v8, v2, v1 offset1:1
	ds_store_2addr_b32 v8, v4, v3 offset0:2 offset1:3
	ds_store_2addr_b32 v8, v9, v5 offset0:4 offset1:5
	;; [unrolled: 1-line block ×4, first 2 shown]
	ds_store_b32 v8, v14 offset:40
	s_waitcnt lgkmcnt(0)
	s_barrier
	buffer_gl0_inv
	ds_load_u16 v15, v6
	ds_load_u16 v16, v6 offset:128
	ds_load_u16 v17, v6 offset:256
	;; [unrolled: 1-line block ×21, first 2 shown]
	s_mov_b32 s4, 0
	s_waitcnt lgkmcnt(21)
	global_store_b16 v6, v15, s[2:3]
	s_waitcnt lgkmcnt(20)
	global_store_b16 v6, v16, s[2:3] offset:128
	s_waitcnt lgkmcnt(19)
	global_store_b16 v6, v17, s[2:3] offset:256
	;; [unrolled: 2-line block ×21, first 2 shown]
.LBB115_129:
	s_and_not1_b32 vcc_lo, exec_lo, s4
	s_cbranch_vccnz .LBB115_256
; %bb.130:
	ds_store_2addr_b32 v8, v2, v1 offset1:1
	ds_store_2addr_b32 v8, v4, v3 offset0:2 offset1:3
	ds_store_2addr_b32 v8, v9, v5 offset0:4 offset1:5
	;; [unrolled: 1-line block ×4, first 2 shown]
	ds_store_b32 v8, v14 offset:40
	s_waitcnt lgkmcnt(0)
	s_waitcnt_vscnt null, 0x0
	s_barrier
	buffer_gl0_inv
	ds_load_u16 v5, v6
	ds_load_u16 v4, v6 offset:128
	ds_load_u16 v9, v6 offset:256
	;; [unrolled: 1-line block ×21, first 2 shown]
	v_add_co_u32 v2, s2, s2, v6
	v_mov_b32_e32 v1, 0
	v_add_co_ci_u32_e64 v3, null, s3, 0, s2
	s_mov_b32 s2, exec_lo
	v_cmpx_gt_u32_e64 s14, v0
	s_cbranch_execz .LBB115_132
; %bb.131:
	s_waitcnt lgkmcnt(21)
	global_store_b16 v[2:3], v5, off
.LBB115_132:
	s_or_b32 exec_lo, exec_lo, s2
	v_or_b32_e32 v6, 64, v0
	s_mov_b32 s2, exec_lo
	s_delay_alu instid0(VALU_DEP_1)
	v_cmpx_gt_u32_e64 s14, v6
	s_cbranch_execz .LBB115_134
; %bb.133:
	s_waitcnt lgkmcnt(20)
	global_store_b16 v[2:3], v4, off offset:128
.LBB115_134:
	s_or_b32 exec_lo, exec_lo, s2
	v_or_b32_e32 v6, 0x80, v0
	s_mov_b32 s2, exec_lo
	s_delay_alu instid0(VALU_DEP_1)
	v_cmpx_gt_u32_e64 s14, v6
	s_cbranch_execz .LBB115_136
; %bb.135:
	s_waitcnt lgkmcnt(19)
	global_store_b16 v[2:3], v9, off offset:256
.LBB115_136:
	;; [unrolled: 10-line block ×21, first 2 shown]
	s_or_b32 exec_lo, exec_lo, s2
	s_load_b32 s0, s[0:1], 0x40
	s_waitcnt lgkmcnt(0)
	s_bfe_u32 s0, s0, 0x10008
	s_delay_alu instid0(SALU_CYCLE_1)
	s_cmp_eq_u32 s0, 0
	s_cbranch_scc1 .LBB115_256
; %bb.175:
	s_add_u32 s0, s14, -1
	s_addc_u32 s1, s18, -1
	s_add_u32 s2, 0, 0x2e8b0a00
	s_addc_u32 s3, 0, 42
	s_mul_hi_u32 s5, s2, 0xffffffea
	s_add_i32 s3, s3, 0xba2e890
	s_sub_i32 s5, s5, s2
	s_mul_i32 s6, s3, 0xffffffea
	s_mul_i32 s4, s2, 0xffffffea
	s_add_i32 s5, s5, s6
	s_mul_hi_u32 s7, s3, s4
	s_mul_i32 s6, s3, s4
	s_mul_i32 s8, s2, s5
	s_mul_hi_u32 s4, s2, s4
	s_mul_hi_u32 s9, s2, s5
	s_add_u32 s4, s4, s8
	s_addc_u32 s8, 0, s9
	s_mul_hi_u32 s9, s3, s5
	s_add_u32 s4, s4, s6
	s_addc_u32 s4, s8, s7
	s_mul_i32 s5, s3, s5
	s_addc_u32 s6, s9, 0
	s_add_u32 s4, s4, s5
	s_delay_alu instid0(SALU_CYCLE_1) | instskip(SKIP_2) | instid1(VALU_DEP_1)
	v_add_co_u32 v2, s2, s2, s4
	s_addc_u32 s4, 0, s6
	s_cmp_lg_u32 s2, 0
	v_readfirstlane_b32 s2, v2
	s_addc_u32 s3, s3, s4
	s_delay_alu instid0(SALU_CYCLE_1) | instskip(SKIP_1) | instid1(VALU_DEP_1)
	s_mul_i32 s4, s0, s3
	s_mul_hi_u32 s6, s0, s3
	s_mul_hi_u32 s5, s0, s2
	s_mul_i32 s7, s1, s2
	s_add_u32 s4, s5, s4
	s_addc_u32 s5, 0, s6
	s_mul_hi_u32 s2, s1, s2
	s_mul_hi_u32 s6, s1, s3
	s_add_u32 s4, s4, s7
	s_addc_u32 s2, s5, s2
	s_mul_i32 s3, s1, s3
	s_addc_u32 s4, s6, 0
	s_add_u32 s2, s2, s3
	s_addc_u32 s3, 0, s4
	s_mul_i32 s5, s2, 22
	s_add_u32 s4, s2, 1
	v_sub_co_u32 v2, s5, s0, s5
	s_addc_u32 s6, s3, 0
	s_mul_i32 s8, s3, 22
	s_mul_hi_u32 s12, s2, 22
	s_delay_alu instid0(VALU_DEP_1)
	v_sub_co_u32 v3, s9, v2, 22
	s_add_u32 s7, s2, 2
	s_addc_u32 s13, s3, 0
	s_add_i32 s12, s12, s8
	s_cmp_lg_u32 s5, 0
	v_readfirstlane_b32 s5, v3
	s_subb_u32 s8, s1, s12
	s_cmp_lg_u32 s9, 0
	s_subb_u32 s9, s8, 0
	s_delay_alu instid0(VALU_DEP_1) | instskip(SKIP_4) | instid1(SALU_CYCLE_1)
	s_cmp_gt_u32 s5, 21
	s_cselect_b32 s5, -1, 0
	s_cmp_eq_u32 s9, 0
	v_readfirstlane_b32 s9, v2
	s_cselect_b32 s5, s5, -1
	s_cmp_lg_u32 s5, 0
	s_cselect_b32 s4, s7, s4
	s_cselect_b32 s5, s13, s6
	s_cmp_gt_u32 s9, 21
	s_cselect_b32 s6, -1, 0
	s_cmp_eq_u32 s8, 0
	s_cselect_b32 s6, s6, -1
	s_delay_alu instid0(SALU_CYCLE_1) | instskip(SKIP_2) | instid1(SALU_CYCLE_1)
	s_cmp_lg_u32 s6, 0
	s_cselect_b32 s3, s5, s3
	s_cselect_b32 s2, s4, s2
	v_cmp_eq_u64_e32 vcc_lo, s[2:3], v[0:1]
	s_and_saveexec_b32 s2, vcc_lo
	s_cbranch_execz .LBB115_256
; %bb.176:
	v_mul_hi_u32_u24_e32 v1, 22, v0
	v_sub_co_u32 v0, vcc_lo, s0, v7
	s_mov_b32 s0, 0
	s_mov_b32 s2, 0
	s_delay_alu instid0(VALU_DEP_2) | instskip(SKIP_1) | instid1(VALU_DEP_1)
	v_sub_co_ci_u32_e32 v1, vcc_lo, s1, v1, vcc_lo
	s_mov_b32 s1, exec_lo
	v_cmpx_lt_i64_e32 10, v[0:1]
	s_xor_b32 s1, exec_lo, s1
	s_cbranch_execnz .LBB115_180
; %bb.177:
	s_or_saveexec_b32 s1, s1
	s_mov_b32 s3, 0
	s_xor_b32 exec_lo, exec_lo, s1
	s_cbranch_execnz .LBB115_221
.LBB115_178:
	s_or_b32 exec_lo, exec_lo, s1
	s_and_saveexec_b32 s1, s2
	s_cbranch_execnz .LBB115_232
.LBB115_179:
	s_or_b32 exec_lo, exec_lo, s1
	s_and_saveexec_b32 s1, s0
	s_cbranch_execnz .LBB115_233
	s_branch .LBB115_237
.LBB115_180:
	s_mov_b32 s3, 0
	s_mov_b32 s2, exec_lo
	v_cmpx_lt_i64_e32 15, v[0:1]
	s_xor_b32 s2, exec_lo, s2
	s_cbranch_execz .LBB115_202
; %bb.181:
	s_mov_b32 s4, exec_lo
                                        ; implicit-def: $vgpr14
	v_cmpx_lt_i64_e32 18, v[0:1]
	s_xor_b32 s4, exec_lo, s4
	s_cbranch_execz .LBB115_191
; %bb.182:
	s_mov_b32 s5, 0
	s_mov_b32 s3, exec_lo
                                        ; implicit-def: $vgpr14
	v_cmpx_lt_i64_e32 19, v[0:1]
	s_xor_b32 s3, exec_lo, s3
	s_cbranch_execz .LBB115_188
; %bb.183:
	s_mov_b32 s5, exec_lo
	v_cmpx_lt_i64_e32 20, v[0:1]
	s_xor_b32 s5, exec_lo, s5
	s_cbranch_execz .LBB115_185
; %bb.184:
	v_mov_b32_e32 v2, 0
                                        ; implicit-def: $vgpr21
	global_store_b16 v2, v27, s[10:11]
.LBB115_185:
	s_or_saveexec_b32 s5, s5
	s_mov_b32 s6, 0
	s_xor_b32 exec_lo, exec_lo, s5
; %bb.186:
	s_delay_alu instid0(SALU_CYCLE_1)
	s_mov_b32 s6, exec_lo
; %bb.187:
	s_or_b32 exec_lo, exec_lo, s5
	v_mov_b32_e32 v14, v21
	s_and_b32 s5, s6, exec_lo
                                        ; implicit-def: $vgpr26
.LBB115_188:
	s_and_not1_saveexec_b32 s3, s3
	s_cbranch_execz .LBB115_190
; %bb.189:
	v_mov_b32_e32 v2, 0
                                        ; implicit-def: $vgpr14
	global_store_b16 v2, v26, s[10:11]
.LBB115_190:
	s_or_b32 exec_lo, exec_lo, s3
	s_delay_alu instid0(SALU_CYCLE_1)
	s_and_b32 s3, s5, exec_lo
                                        ; implicit-def: $vgpr23
                                        ; implicit-def: $vgpr20
                                        ; implicit-def: $vgpr25
.LBB115_191:
	s_and_not1_saveexec_b32 s4, s4
	s_cbranch_execz .LBB115_201
; %bb.192:
	s_mov_b32 s5, exec_lo
	v_cmpx_lt_i64_e32 16, v[0:1]
	s_xor_b32 s5, exec_lo, s5
	s_cbranch_execz .LBB115_198
; %bb.193:
	s_mov_b32 s6, exec_lo
	v_cmpx_lt_i64_e32 17, v[0:1]
	s_xor_b32 s6, exec_lo, s6
	s_cbranch_execz .LBB115_195
; %bb.194:
	v_mov_b32_e32 v2, 0
                                        ; implicit-def: $vgpr20
	global_store_b16 v2, v25, s[10:11]
.LBB115_195:
	s_and_not1_saveexec_b32 s6, s6
	s_cbranch_execz .LBB115_197
; %bb.196:
	v_mov_b32_e32 v2, 0
	global_store_b16 v2, v20, s[10:11]
.LBB115_197:
	s_or_b32 exec_lo, exec_lo, s6
                                        ; implicit-def: $vgpr23
.LBB115_198:
	s_and_not1_saveexec_b32 s5, s5
	s_cbranch_execz .LBB115_200
; %bb.199:
	v_mov_b32_e32 v2, 0
	global_store_b16 v2, v23, s[10:11]
.LBB115_200:
	s_or_b32 exec_lo, exec_lo, s5
                                        ; implicit-def: $vgpr14
.LBB115_201:
	s_delay_alu instid0(SALU_CYCLE_1) | instskip(NEXT) | instid1(SALU_CYCLE_1)
	s_or_b32 exec_lo, exec_lo, s4
	s_and_b32 s3, s3, exec_lo
                                        ; implicit-def: $vgpr22
                                        ; implicit-def: $vgpr19
                                        ; implicit-def: $vgpr18
                                        ; implicit-def: $vgpr24
.LBB115_202:
	s_and_not1_saveexec_b32 s2, s2
	s_cbranch_execz .LBB115_220
; %bb.203:
	s_mov_b32 s4, exec_lo
	v_cmpx_lt_i64_e32 12, v[0:1]
	s_xor_b32 s4, exec_lo, s4
	s_cbranch_execz .LBB115_213
; %bb.204:
	s_mov_b32 s5, exec_lo
	v_cmpx_lt_i64_e32 13, v[0:1]
	s_xor_b32 s5, exec_lo, s5
	;; [unrolled: 5-line block ×3, first 2 shown]
	s_cbranch_execz .LBB115_207
; %bb.206:
	v_mov_b32_e32 v2, 0
                                        ; implicit-def: $vgpr18
	global_store_b16 v2, v24, s[10:11]
.LBB115_207:
	s_and_not1_saveexec_b32 s6, s6
	s_cbranch_execz .LBB115_209
; %bb.208:
	v_mov_b32_e32 v2, 0
	global_store_b16 v2, v18, s[10:11]
.LBB115_209:
	s_or_b32 exec_lo, exec_lo, s6
                                        ; implicit-def: $vgpr22
.LBB115_210:
	s_and_not1_saveexec_b32 s5, s5
	s_cbranch_execz .LBB115_212
; %bb.211:
	v_mov_b32_e32 v2, 0
	global_store_b16 v2, v22, s[10:11]
.LBB115_212:
	s_or_b32 exec_lo, exec_lo, s5
                                        ; implicit-def: $vgpr14
                                        ; implicit-def: $vgpr19
.LBB115_213:
	s_or_saveexec_b32 s4, s4
	s_mov_b32 s5, s3
	s_xor_b32 exec_lo, exec_lo, s4
	s_cbranch_execz .LBB115_219
; %bb.214:
	s_mov_b32 s5, exec_lo
	v_cmpx_lt_i64_e32 11, v[0:1]
	s_xor_b32 s5, exec_lo, s5
	s_cbranch_execz .LBB115_216
; %bb.215:
	v_mov_b32_e32 v2, 0
                                        ; implicit-def: $vgpr14
	global_store_b16 v2, v19, s[10:11]
.LBB115_216:
	s_or_saveexec_b32 s5, s5
	s_mov_b32 s6, s3
	s_xor_b32 exec_lo, exec_lo, s5
; %bb.217:
	s_delay_alu instid0(SALU_CYCLE_1)
	s_or_b32 s6, s3, exec_lo
; %bb.218:
	s_or_b32 exec_lo, exec_lo, s5
	s_delay_alu instid0(SALU_CYCLE_1) | instskip(SKIP_1) | instid1(SALU_CYCLE_1)
	s_and_not1_b32 s5, s3, exec_lo
	s_and_b32 s6, s6, exec_lo
	s_or_b32 s5, s5, s6
.LBB115_219:
	s_or_b32 exec_lo, exec_lo, s4
	s_delay_alu instid0(SALU_CYCLE_1) | instskip(SKIP_1) | instid1(SALU_CYCLE_1)
	s_and_not1_b32 s3, s3, exec_lo
	s_and_b32 s4, s5, exec_lo
	s_or_b32 s3, s3, s4
.LBB115_220:
	s_or_b32 exec_lo, exec_lo, s2
	s_delay_alu instid0(SALU_CYCLE_1)
	s_and_b32 s2, s3, exec_lo
                                        ; implicit-def: $vgpr16
                                        ; implicit-def: $vgpr17
                                        ; implicit-def: $vgpr15
	s_or_saveexec_b32 s1, s1
	s_mov_b32 s3, 0
	s_xor_b32 exec_lo, exec_lo, s1
	s_cbranch_execz .LBB115_178
.LBB115_221:
	s_mov_b32 s4, 0
	s_mov_b32 s3, -1
	s_mov_b32 s5, s2
	s_mov_b32 s0, exec_lo
                                        ; implicit-def: $vgpr14
	v_cmpx_lt_i64_e32 5, v[0:1]
	s_cbranch_execz .LBB115_231
; %bb.222:
	s_mov_b32 s4, -1
	s_mov_b32 s5, s2
	s_mov_b32 s3, exec_lo
	v_cmpx_lt_i64_e32 7, v[0:1]
	s_cbranch_execz .LBB115_230
; %bb.223:
	s_mov_b32 s4, exec_lo
	v_cmpx_lt_i64_e32 8, v[0:1]
	s_cbranch_execz .LBB115_229
; %bb.224:
	s_mov_b32 s5, exec_lo
	v_cmpx_lt_i64_e32 9, v[0:1]
	s_xor_b32 s5, exec_lo, s5
; %bb.225:
                                        ; implicit-def: $vgpr17
; %bb.226:
	s_delay_alu instid0(SALU_CYCLE_1)
	s_and_not1_saveexec_b32 s5, s5
; %bb.227:
	v_mov_b32_e32 v15, v17
; %bb.228:
	s_or_b32 exec_lo, exec_lo, s5
	s_delay_alu instid0(VALU_DEP_1)
	v_mov_b32_e32 v16, v15
.LBB115_229:
	s_or_b32 exec_lo, exec_lo, s4
	s_delay_alu instid0(SALU_CYCLE_1)
	s_xor_b32 s4, exec_lo, -1
	s_or_b32 s5, s2, exec_lo
.LBB115_230:
	s_or_b32 exec_lo, exec_lo, s3
	v_mov_b32_e32 v14, v16
	s_and_not1_b32 s6, s2, exec_lo
	s_and_b32 s5, s5, exec_lo
	s_xor_b32 s3, exec_lo, -1
	s_and_b32 s4, s4, exec_lo
	s_or_b32 s5, s6, s5
.LBB115_231:
	s_or_b32 exec_lo, exec_lo, s0
	s_delay_alu instid0(SALU_CYCLE_1)
	s_and_not1_b32 s2, s2, exec_lo
	s_and_b32 s5, s5, exec_lo
	s_and_b32 s3, s3, exec_lo
	;; [unrolled: 1-line block ×3, first 2 shown]
	s_or_b32 s2, s2, s5
	s_or_b32 exec_lo, exec_lo, s1
	s_and_saveexec_b32 s1, s2
	s_cbranch_execz .LBB115_179
.LBB115_232:
	v_mov_b32_e32 v2, 0
	global_store_b16 v2, v14, s[10:11]
	s_or_b32 exec_lo, exec_lo, s1
	s_and_saveexec_b32 s1, s0
	s_cbranch_execz .LBB115_237
.LBB115_233:
	s_mov_b32 s0, exec_lo
	v_cmpx_lt_i64_e32 6, v[0:1]
	s_xor_b32 s0, exec_lo, s0
	s_cbranch_execz .LBB115_235
; %bb.234:
	v_mov_b32_e32 v2, 0
                                        ; implicit-def: $vgpr12
	global_store_b16 v2, v13, s[10:11]
.LBB115_235:
	s_and_not1_saveexec_b32 s0, s0
	s_cbranch_execz .LBB115_237
; %bb.236:
	v_mov_b32_e32 v2, 0
	global_store_b16 v2, v12, s[10:11]
.LBB115_237:
	s_or_b32 exec_lo, exec_lo, s1
	s_delay_alu instid0(SALU_CYCLE_1)
	s_and_b32 exec_lo, exec_lo, s3
	s_cbranch_execz .LBB115_256
; %bb.238:
	s_mov_b32 s0, exec_lo
	v_cmpx_lt_i64_e32 2, v[0:1]
	s_xor_b32 s0, exec_lo, s0
	s_cbranch_execz .LBB115_248
; %bb.239:
	s_mov_b32 s1, exec_lo
	v_cmpx_lt_i64_e32 3, v[0:1]
	s_xor_b32 s1, exec_lo, s1
	;; [unrolled: 5-line block ×3, first 2 shown]
	s_cbranch_execz .LBB115_242
; %bb.241:
	v_mov_b32_e32 v0, 0
                                        ; implicit-def: $vgpr8
	global_store_b16 v0, v11, s[10:11]
.LBB115_242:
	s_and_not1_saveexec_b32 s2, s2
	s_cbranch_execz .LBB115_244
; %bb.243:
	v_mov_b32_e32 v0, 0
	global_store_b16 v0, v8, s[10:11]
.LBB115_244:
	s_or_b32 exec_lo, exec_lo, s2
                                        ; implicit-def: $vgpr10
.LBB115_245:
	s_and_not1_saveexec_b32 s1, s1
	s_cbranch_execz .LBB115_247
; %bb.246:
	v_mov_b32_e32 v0, 0
	global_store_b16 v0, v10, s[10:11]
.LBB115_247:
	s_or_b32 exec_lo, exec_lo, s1
                                        ; implicit-def: $vgpr0_vgpr1
                                        ; implicit-def: $vgpr9
                                        ; implicit-def: $vgpr4
                                        ; implicit-def: $vgpr5
.LBB115_248:
	s_and_not1_saveexec_b32 s0, s0
	s_cbranch_execz .LBB115_256
; %bb.249:
	s_mov_b32 s0, exec_lo
	v_cmpx_lt_i64_e32 1, v[0:1]
	s_xor_b32 s0, exec_lo, s0
	s_cbranch_execz .LBB115_251
; %bb.250:
	v_mov_b32_e32 v0, 0
                                        ; implicit-def: $vgpr4
                                        ; implicit-def: $vgpr5
	global_store_b16 v0, v9, s[10:11]
                                        ; implicit-def: $vgpr0_vgpr1
.LBB115_251:
	s_and_not1_saveexec_b32 s0, s0
	s_cbranch_execz .LBB115_256
; %bb.252:
	s_mov_b32 s0, exec_lo
	v_cmpx_ne_u64_e32 1, v[0:1]
	s_xor_b32 s0, exec_lo, s0
	s_cbranch_execz .LBB115_254
; %bb.253:
	v_mov_b32_e32 v0, 0
                                        ; implicit-def: $vgpr4
	global_store_b16 v0, v5, s[10:11]
.LBB115_254:
	s_and_not1_saveexec_b32 s0, s0
	s_cbranch_execz .LBB115_256
; %bb.255:
	v_mov_b32_e32 v0, 0
	global_store_b16 v0, v4, s[10:11]
.LBB115_256:
	s_nop 0
	s_sendmsg sendmsg(MSG_DEALLOC_VGPRS)
	s_endpgm
	.section	.rodata,"a",@progbits
	.p2align	6, 0x0
	.amdhsa_kernel _ZN7rocprim17ROCPRIM_304000_NS6detail20lookback_scan_kernelILNS1_25lookback_scan_determinismE0ELb0ENS1_19wrapped_scan_configINS0_14default_configEN3c108BFloat16EEEPKS7_PS7_St4plusIS7_ES7_S7_NS1_19lookback_scan_stateIS7_Lb0ELb1EEEEEvT2_T3_mT5_T4_T7_jPT6_SM_bb
		.amdhsa_group_segment_fixed_size 2816
		.amdhsa_private_segment_fixed_size 0
		.amdhsa_kernarg_size 68
		.amdhsa_user_sgpr_count 15
		.amdhsa_user_sgpr_dispatch_ptr 0
		.amdhsa_user_sgpr_queue_ptr 0
		.amdhsa_user_sgpr_kernarg_segment_ptr 1
		.amdhsa_user_sgpr_dispatch_id 0
		.amdhsa_user_sgpr_private_segment_size 0
		.amdhsa_wavefront_size32 1
		.amdhsa_uses_dynamic_stack 0
		.amdhsa_enable_private_segment 0
		.amdhsa_system_sgpr_workgroup_id_x 1
		.amdhsa_system_sgpr_workgroup_id_y 0
		.amdhsa_system_sgpr_workgroup_id_z 0
		.amdhsa_system_sgpr_workgroup_info 0
		.amdhsa_system_vgpr_workitem_id 0
		.amdhsa_next_free_vgpr 50
		.amdhsa_next_free_sgpr 20
		.amdhsa_reserve_vcc 1
		.amdhsa_float_round_mode_32 0
		.amdhsa_float_round_mode_16_64 0
		.amdhsa_float_denorm_mode_32 3
		.amdhsa_float_denorm_mode_16_64 3
		.amdhsa_dx10_clamp 1
		.amdhsa_ieee_mode 1
		.amdhsa_fp16_overflow 0
		.amdhsa_workgroup_processor_mode 1
		.amdhsa_memory_ordered 1
		.amdhsa_forward_progress 0
		.amdhsa_shared_vgpr_count 0
		.amdhsa_exception_fp_ieee_invalid_op 0
		.amdhsa_exception_fp_denorm_src 0
		.amdhsa_exception_fp_ieee_div_zero 0
		.amdhsa_exception_fp_ieee_overflow 0
		.amdhsa_exception_fp_ieee_underflow 0
		.amdhsa_exception_fp_ieee_inexact 0
		.amdhsa_exception_int_div_zero 0
	.end_amdhsa_kernel
	.section	.text._ZN7rocprim17ROCPRIM_304000_NS6detail20lookback_scan_kernelILNS1_25lookback_scan_determinismE0ELb0ENS1_19wrapped_scan_configINS0_14default_configEN3c108BFloat16EEEPKS7_PS7_St4plusIS7_ES7_S7_NS1_19lookback_scan_stateIS7_Lb0ELb1EEEEEvT2_T3_mT5_T4_T7_jPT6_SM_bb,"axG",@progbits,_ZN7rocprim17ROCPRIM_304000_NS6detail20lookback_scan_kernelILNS1_25lookback_scan_determinismE0ELb0ENS1_19wrapped_scan_configINS0_14default_configEN3c108BFloat16EEEPKS7_PS7_St4plusIS7_ES7_S7_NS1_19lookback_scan_stateIS7_Lb0ELb1EEEEEvT2_T3_mT5_T4_T7_jPT6_SM_bb,comdat
.Lfunc_end115:
	.size	_ZN7rocprim17ROCPRIM_304000_NS6detail20lookback_scan_kernelILNS1_25lookback_scan_determinismE0ELb0ENS1_19wrapped_scan_configINS0_14default_configEN3c108BFloat16EEEPKS7_PS7_St4plusIS7_ES7_S7_NS1_19lookback_scan_stateIS7_Lb0ELb1EEEEEvT2_T3_mT5_T4_T7_jPT6_SM_bb, .Lfunc_end115-_ZN7rocprim17ROCPRIM_304000_NS6detail20lookback_scan_kernelILNS1_25lookback_scan_determinismE0ELb0ENS1_19wrapped_scan_configINS0_14default_configEN3c108BFloat16EEEPKS7_PS7_St4plusIS7_ES7_S7_NS1_19lookback_scan_stateIS7_Lb0ELb1EEEEEvT2_T3_mT5_T4_T7_jPT6_SM_bb
                                        ; -- End function
	.section	.AMDGPU.csdata,"",@progbits
; Kernel info:
; codeLenInByte = 14732
; NumSgprs: 22
; NumVgprs: 50
; ScratchSize: 0
; MemoryBound: 0
; FloatMode: 240
; IeeeMode: 1
; LDSByteSize: 2816 bytes/workgroup (compile time only)
; SGPRBlocks: 2
; VGPRBlocks: 6
; NumSGPRsForWavesPerEU: 22
; NumVGPRsForWavesPerEU: 50
; Occupancy: 16
; WaveLimiterHint : 1
; COMPUTE_PGM_RSRC2:SCRATCH_EN: 0
; COMPUTE_PGM_RSRC2:USER_SGPR: 15
; COMPUTE_PGM_RSRC2:TRAP_HANDLER: 0
; COMPUTE_PGM_RSRC2:TGID_X_EN: 1
; COMPUTE_PGM_RSRC2:TGID_Y_EN: 0
; COMPUTE_PGM_RSRC2:TGID_Z_EN: 0
; COMPUTE_PGM_RSRC2:TIDIG_COMP_CNT: 0
	.section	.text._ZN7rocprim17ROCPRIM_304000_NS6detail16transform_kernelINS1_24wrapped_transform_configINS0_14default_configEN3c108BFloat16EEES6_PS6_S8_NS0_8identityIS6_EEEEvT1_mT2_T3_,"axG",@progbits,_ZN7rocprim17ROCPRIM_304000_NS6detail16transform_kernelINS1_24wrapped_transform_configINS0_14default_configEN3c108BFloat16EEES6_PS6_S8_NS0_8identityIS6_EEEEvT1_mT2_T3_,comdat
	.protected	_ZN7rocprim17ROCPRIM_304000_NS6detail16transform_kernelINS1_24wrapped_transform_configINS0_14default_configEN3c108BFloat16EEES6_PS6_S8_NS0_8identityIS6_EEEEvT1_mT2_T3_ ; -- Begin function _ZN7rocprim17ROCPRIM_304000_NS6detail16transform_kernelINS1_24wrapped_transform_configINS0_14default_configEN3c108BFloat16EEES6_PS6_S8_NS0_8identityIS6_EEEEvT1_mT2_T3_
	.globl	_ZN7rocprim17ROCPRIM_304000_NS6detail16transform_kernelINS1_24wrapped_transform_configINS0_14default_configEN3c108BFloat16EEES6_PS6_S8_NS0_8identityIS6_EEEEvT1_mT2_T3_
	.p2align	8
	.type	_ZN7rocprim17ROCPRIM_304000_NS6detail16transform_kernelINS1_24wrapped_transform_configINS0_14default_configEN3c108BFloat16EEES6_PS6_S8_NS0_8identityIS6_EEEEvT1_mT2_T3_,@function
_ZN7rocprim17ROCPRIM_304000_NS6detail16transform_kernelINS1_24wrapped_transform_configINS0_14default_configEN3c108BFloat16EEES6_PS6_S8_NS0_8identityIS6_EEEEvT1_mT2_T3_: ; @_ZN7rocprim17ROCPRIM_304000_NS6detail16transform_kernelINS1_24wrapped_transform_configINS0_14default_configEN3c108BFloat16EEES6_PS6_S8_NS0_8identityIS6_EEEEvT1_mT2_T3_
; %bb.0:
	s_clause 0x2
	s_load_b32 s10, s[0:1], 0x20
	s_load_b128 s[4:7], s[0:1], 0x0
	s_load_b64 s[0:1], s[0:1], 0x10
	s_mov_b32 s9, 0
	s_lshl_b32 s8, s15, 11
	v_lshlrev_b32_e32 v3, 1, v0
	s_lshl_b64 s[2:3], s[8:9], 1
	s_waitcnt lgkmcnt(0)
	s_add_i32 s10, s10, -1
	s_add_u32 s4, s4, s2
	s_addc_u32 s5, s5, s3
	v_add_co_u32 v1, s4, s4, v3
	s_delay_alu instid0(VALU_DEP_1)
	v_add_co_ci_u32_e64 v2, null, s5, 0, s4
	s_cmp_lg_u32 s15, s10
	s_mov_b32 s4, -1
	s_cbranch_scc0 .LBB116_2
; %bb.1:
	s_clause 0x1
	global_load_u16 v5, v[1:2], off
	global_load_u16 v4, v[1:2], off offset:2048
	s_add_u32 s10, s0, s2
	s_addc_u32 s11, s1, s3
	s_mov_b32 s9, -1
	s_waitcnt vmcnt(1)
	global_store_b16 v3, v5, s[10:11]
	s_cbranch_execz .LBB116_3
	s_branch .LBB116_10
.LBB116_2:
                                        ; implicit-def: $vgpr4
	s_and_not1_b32 vcc_lo, exec_lo, s4
	s_cbranch_vccnz .LBB116_10
.LBB116_3:
	s_sub_i32 s4, s6, s8
                                        ; implicit-def: $vgpr5
	s_delay_alu instid0(SALU_CYCLE_1)
	v_cmp_gt_u32_e32 vcc_lo, s4, v0
	s_and_saveexec_b32 s5, vcc_lo
	s_cbranch_execz .LBB116_5
; %bb.4:
	global_load_u16 v5, v[1:2], off
.LBB116_5:
	s_or_b32 exec_lo, exec_lo, s5
	v_or_b32_e32 v0, 0x400, v0
                                        ; implicit-def: $vgpr4
	s_delay_alu instid0(VALU_DEP_1) | instskip(NEXT) | instid1(VALU_DEP_1)
	v_cmp_gt_u32_e64 s9, s4, v0
	s_and_saveexec_b32 s4, s9
	s_cbranch_execz .LBB116_7
; %bb.6:
	global_load_u16 v4, v[1:2], off offset:2048
.LBB116_7:
	s_or_b32 exec_lo, exec_lo, s4
	s_and_saveexec_b32 s4, vcc_lo
	s_delay_alu instid0(SALU_CYCLE_1)
	s_xor_b32 s4, exec_lo, s4
	s_cbranch_execz .LBB116_9
; %bb.8:
	s_add_u32 s6, s0, s2
	s_addc_u32 s7, s1, s3
	s_waitcnt vmcnt(0)
	global_store_b16 v3, v5, s[6:7]
.LBB116_9:
	s_or_b32 exec_lo, exec_lo, s4
.LBB116_10:
	s_and_saveexec_b32 s4, s9
	s_cbranch_execnz .LBB116_12
; %bb.11:
	s_nop 0
	s_sendmsg sendmsg(MSG_DEALLOC_VGPRS)
	s_endpgm
.LBB116_12:
	s_add_u32 s0, s0, s2
	s_addc_u32 s1, s1, s3
	s_waitcnt vmcnt(0)
	global_store_b16 v3, v4, s[0:1] offset:2048
	s_nop 0
	s_sendmsg sendmsg(MSG_DEALLOC_VGPRS)
	s_endpgm
	.section	.rodata,"a",@progbits
	.p2align	6, 0x0
	.amdhsa_kernel _ZN7rocprim17ROCPRIM_304000_NS6detail16transform_kernelINS1_24wrapped_transform_configINS0_14default_configEN3c108BFloat16EEES6_PS6_S8_NS0_8identityIS6_EEEEvT1_mT2_T3_
		.amdhsa_group_segment_fixed_size 0
		.amdhsa_private_segment_fixed_size 0
		.amdhsa_kernarg_size 288
		.amdhsa_user_sgpr_count 15
		.amdhsa_user_sgpr_dispatch_ptr 0
		.amdhsa_user_sgpr_queue_ptr 0
		.amdhsa_user_sgpr_kernarg_segment_ptr 1
		.amdhsa_user_sgpr_dispatch_id 0
		.amdhsa_user_sgpr_private_segment_size 0
		.amdhsa_wavefront_size32 1
		.amdhsa_uses_dynamic_stack 0
		.amdhsa_enable_private_segment 0
		.amdhsa_system_sgpr_workgroup_id_x 1
		.amdhsa_system_sgpr_workgroup_id_y 0
		.amdhsa_system_sgpr_workgroup_id_z 0
		.amdhsa_system_sgpr_workgroup_info 0
		.amdhsa_system_vgpr_workitem_id 0
		.amdhsa_next_free_vgpr 6
		.amdhsa_next_free_sgpr 16
		.amdhsa_reserve_vcc 1
		.amdhsa_float_round_mode_32 0
		.amdhsa_float_round_mode_16_64 0
		.amdhsa_float_denorm_mode_32 3
		.amdhsa_float_denorm_mode_16_64 3
		.amdhsa_dx10_clamp 1
		.amdhsa_ieee_mode 1
		.amdhsa_fp16_overflow 0
		.amdhsa_workgroup_processor_mode 1
		.amdhsa_memory_ordered 1
		.amdhsa_forward_progress 0
		.amdhsa_shared_vgpr_count 0
		.amdhsa_exception_fp_ieee_invalid_op 0
		.amdhsa_exception_fp_denorm_src 0
		.amdhsa_exception_fp_ieee_div_zero 0
		.amdhsa_exception_fp_ieee_overflow 0
		.amdhsa_exception_fp_ieee_underflow 0
		.amdhsa_exception_fp_ieee_inexact 0
		.amdhsa_exception_int_div_zero 0
	.end_amdhsa_kernel
	.section	.text._ZN7rocprim17ROCPRIM_304000_NS6detail16transform_kernelINS1_24wrapped_transform_configINS0_14default_configEN3c108BFloat16EEES6_PS6_S8_NS0_8identityIS6_EEEEvT1_mT2_T3_,"axG",@progbits,_ZN7rocprim17ROCPRIM_304000_NS6detail16transform_kernelINS1_24wrapped_transform_configINS0_14default_configEN3c108BFloat16EEES6_PS6_S8_NS0_8identityIS6_EEEEvT1_mT2_T3_,comdat
.Lfunc_end116:
	.size	_ZN7rocprim17ROCPRIM_304000_NS6detail16transform_kernelINS1_24wrapped_transform_configINS0_14default_configEN3c108BFloat16EEES6_PS6_S8_NS0_8identityIS6_EEEEvT1_mT2_T3_, .Lfunc_end116-_ZN7rocprim17ROCPRIM_304000_NS6detail16transform_kernelINS1_24wrapped_transform_configINS0_14default_configEN3c108BFloat16EEES6_PS6_S8_NS0_8identityIS6_EEEEvT1_mT2_T3_
                                        ; -- End function
	.section	.AMDGPU.csdata,"",@progbits
; Kernel info:
; codeLenInByte = 316
; NumSgprs: 18
; NumVgprs: 6
; ScratchSize: 0
; MemoryBound: 0
; FloatMode: 240
; IeeeMode: 1
; LDSByteSize: 0 bytes/workgroup (compile time only)
; SGPRBlocks: 2
; VGPRBlocks: 0
; NumSGPRsForWavesPerEU: 18
; NumVGPRsForWavesPerEU: 6
; Occupancy: 16
; WaveLimiterHint : 1
; COMPUTE_PGM_RSRC2:SCRATCH_EN: 0
; COMPUTE_PGM_RSRC2:USER_SGPR: 15
; COMPUTE_PGM_RSRC2:TRAP_HANDLER: 0
; COMPUTE_PGM_RSRC2:TGID_X_EN: 1
; COMPUTE_PGM_RSRC2:TGID_Y_EN: 0
; COMPUTE_PGM_RSRC2:TGID_Z_EN: 0
; COMPUTE_PGM_RSRC2:TIDIG_COMP_CNT: 0
	.section	.text._ZN7rocprim17ROCPRIM_304000_NS6detail18single_scan_kernelILb0ENS1_19wrapped_scan_configINS0_14default_configEN3c108BFloat16EEEPKS6_PS6_St4plusIS6_ES6_S6_EEvT1_mT4_T2_T3_,"axG",@progbits,_ZN7rocprim17ROCPRIM_304000_NS6detail18single_scan_kernelILb0ENS1_19wrapped_scan_configINS0_14default_configEN3c108BFloat16EEEPKS6_PS6_St4plusIS6_ES6_S6_EEvT1_mT4_T2_T3_,comdat
	.protected	_ZN7rocprim17ROCPRIM_304000_NS6detail18single_scan_kernelILb0ENS1_19wrapped_scan_configINS0_14default_configEN3c108BFloat16EEEPKS6_PS6_St4plusIS6_ES6_S6_EEvT1_mT4_T2_T3_ ; -- Begin function _ZN7rocprim17ROCPRIM_304000_NS6detail18single_scan_kernelILb0ENS1_19wrapped_scan_configINS0_14default_configEN3c108BFloat16EEEPKS6_PS6_St4plusIS6_ES6_S6_EEvT1_mT4_T2_T3_
	.globl	_ZN7rocprim17ROCPRIM_304000_NS6detail18single_scan_kernelILb0ENS1_19wrapped_scan_configINS0_14default_configEN3c108BFloat16EEEPKS6_PS6_St4plusIS6_ES6_S6_EEvT1_mT4_T2_T3_
	.p2align	8
	.type	_ZN7rocprim17ROCPRIM_304000_NS6detail18single_scan_kernelILb0ENS1_19wrapped_scan_configINS0_14default_configEN3c108BFloat16EEEPKS6_PS6_St4plusIS6_ES6_S6_EEvT1_mT4_T2_T3_,@function
_ZN7rocprim17ROCPRIM_304000_NS6detail18single_scan_kernelILb0ENS1_19wrapped_scan_configINS0_14default_configEN3c108BFloat16EEEPKS6_PS6_St4plusIS6_ES6_S6_EEvT1_mT4_T2_T3_: ; @_ZN7rocprim17ROCPRIM_304000_NS6detail18single_scan_kernelILb0ENS1_19wrapped_scan_configINS0_14default_configEN3c108BFloat16EEEPKS6_PS6_St4plusIS6_ES6_S6_EEvT1_mT4_T2_T3_
; %bb.0:
	s_load_b128 s[20:23], s[0:1], 0x0
	v_mov_b32_e32 v1, 0
	v_lshlrev_b32_e32 v3, 1, v0
	s_waitcnt lgkmcnt(0)
	global_load_u16 v4, v1, s[20:21]
	v_add_co_u32 v1, s2, s20, v3
	s_delay_alu instid0(VALU_DEP_1)
	v_add_co_ci_u32_e64 v2, null, s21, 0, s2
	v_cmp_gt_u32_e32 vcc_lo, s22, v0
	s_waitcnt vmcnt(0)
	v_mov_b32_e32 v5, v4
	s_and_saveexec_b32 s2, vcc_lo
	s_cbranch_execz .LBB117_2
; %bb.1:
	global_load_u16 v5, v[1:2], off
.LBB117_2:
	s_or_b32 exec_lo, exec_lo, s2
	v_or_b32_e32 v6, 64, v0
	s_delay_alu instid0(VALU_DEP_1) | instskip(SKIP_1) | instid1(VALU_DEP_2)
	v_cmp_gt_u32_e64 s2, s22, v6
	v_mov_b32_e32 v6, v4
	s_and_saveexec_b32 s3, s2
	s_cbranch_execz .LBB117_4
; %bb.3:
	global_load_u16 v6, v[1:2], off offset:128
.LBB117_4:
	s_or_b32 exec_lo, exec_lo, s3
	v_or_b32_e32 v7, 0x80, v0
	s_delay_alu instid0(VALU_DEP_1) | instskip(SKIP_1) | instid1(VALU_DEP_2)
	v_cmp_gt_u32_e64 s3, s22, v7
	v_mov_b32_e32 v7, v4
	s_and_saveexec_b32 s4, s3
	s_cbranch_execz .LBB117_6
; %bb.5:
	global_load_u16 v7, v[1:2], off offset:256
.LBB117_6:
	s_or_b32 exec_lo, exec_lo, s4
	v_or_b32_e32 v8, 0xc0, v0
	s_delay_alu instid0(VALU_DEP_1) | instskip(SKIP_1) | instid1(VALU_DEP_2)
	v_cmp_gt_u32_e64 s4, s22, v8
	v_mov_b32_e32 v8, v4
	s_and_saveexec_b32 s5, s4
	s_cbranch_execz .LBB117_8
; %bb.7:
	global_load_u16 v8, v[1:2], off offset:384
.LBB117_8:
	s_or_b32 exec_lo, exec_lo, s5
	v_or_b32_e32 v9, 0x100, v0
	s_delay_alu instid0(VALU_DEP_1) | instskip(SKIP_1) | instid1(VALU_DEP_2)
	v_cmp_gt_u32_e64 s5, s22, v9
	v_mov_b32_e32 v9, v4
	s_and_saveexec_b32 s6, s5
	s_cbranch_execz .LBB117_10
; %bb.9:
	global_load_u16 v9, v[1:2], off offset:512
.LBB117_10:
	s_or_b32 exec_lo, exec_lo, s6
	v_or_b32_e32 v10, 0x140, v0
	s_delay_alu instid0(VALU_DEP_1) | instskip(SKIP_1) | instid1(VALU_DEP_2)
	v_cmp_gt_u32_e64 s6, s22, v10
	v_mov_b32_e32 v10, v4
	s_and_saveexec_b32 s7, s6
	s_cbranch_execz .LBB117_12
; %bb.11:
	global_load_u16 v10, v[1:2], off offset:640
.LBB117_12:
	s_or_b32 exec_lo, exec_lo, s7
	v_or_b32_e32 v11, 0x180, v0
	s_delay_alu instid0(VALU_DEP_1) | instskip(SKIP_1) | instid1(VALU_DEP_2)
	v_cmp_gt_u32_e64 s7, s22, v11
	v_mov_b32_e32 v11, v4
	s_and_saveexec_b32 s8, s7
	s_cbranch_execz .LBB117_14
; %bb.13:
	global_load_u16 v11, v[1:2], off offset:768
.LBB117_14:
	s_or_b32 exec_lo, exec_lo, s8
	v_or_b32_e32 v12, 0x1c0, v0
	s_delay_alu instid0(VALU_DEP_1) | instskip(SKIP_1) | instid1(VALU_DEP_2)
	v_cmp_gt_u32_e64 s8, s22, v12
	v_mov_b32_e32 v12, v4
	s_and_saveexec_b32 s9, s8
	s_cbranch_execz .LBB117_16
; %bb.15:
	global_load_u16 v12, v[1:2], off offset:896
.LBB117_16:
	s_or_b32 exec_lo, exec_lo, s9
	v_or_b32_e32 v13, 0x200, v0
	s_delay_alu instid0(VALU_DEP_1) | instskip(SKIP_1) | instid1(VALU_DEP_2)
	v_cmp_gt_u32_e64 s9, s22, v13
	v_mov_b32_e32 v13, v4
	s_and_saveexec_b32 s10, s9
	s_cbranch_execz .LBB117_18
; %bb.17:
	global_load_u16 v13, v[1:2], off offset:1024
.LBB117_18:
	s_or_b32 exec_lo, exec_lo, s10
	v_or_b32_e32 v14, 0x240, v0
	s_delay_alu instid0(VALU_DEP_1) | instskip(SKIP_1) | instid1(VALU_DEP_2)
	v_cmp_gt_u32_e64 s10, s22, v14
	v_mov_b32_e32 v14, v4
	s_and_saveexec_b32 s11, s10
	s_cbranch_execz .LBB117_20
; %bb.19:
	global_load_u16 v14, v[1:2], off offset:1152
.LBB117_20:
	s_or_b32 exec_lo, exec_lo, s11
	v_or_b32_e32 v15, 0x280, v0
	s_delay_alu instid0(VALU_DEP_1) | instskip(SKIP_1) | instid1(VALU_DEP_2)
	v_cmp_gt_u32_e64 s11, s22, v15
	v_mov_b32_e32 v15, v4
	s_and_saveexec_b32 s12, s11
	s_cbranch_execz .LBB117_22
; %bb.21:
	global_load_u16 v15, v[1:2], off offset:1280
.LBB117_22:
	s_or_b32 exec_lo, exec_lo, s12
	v_or_b32_e32 v16, 0x2c0, v0
	s_delay_alu instid0(VALU_DEP_1) | instskip(SKIP_1) | instid1(VALU_DEP_2)
	v_cmp_gt_u32_e64 s12, s22, v16
	v_mov_b32_e32 v16, v4
	s_and_saveexec_b32 s13, s12
	s_cbranch_execz .LBB117_24
; %bb.23:
	global_load_u16 v16, v[1:2], off offset:1408
.LBB117_24:
	s_or_b32 exec_lo, exec_lo, s13
	v_or_b32_e32 v17, 0x300, v0
	s_delay_alu instid0(VALU_DEP_1) | instskip(SKIP_1) | instid1(VALU_DEP_2)
	v_cmp_gt_u32_e64 s13, s22, v17
	v_mov_b32_e32 v17, v4
	s_and_saveexec_b32 s14, s13
	s_cbranch_execz .LBB117_26
; %bb.25:
	global_load_u16 v17, v[1:2], off offset:1536
.LBB117_26:
	s_or_b32 exec_lo, exec_lo, s14
	v_or_b32_e32 v18, 0x340, v0
	s_delay_alu instid0(VALU_DEP_1) | instskip(SKIP_1) | instid1(VALU_DEP_2)
	v_cmp_gt_u32_e64 s14, s22, v18
	v_mov_b32_e32 v18, v4
	s_and_saveexec_b32 s15, s14
	s_cbranch_execz .LBB117_28
; %bb.27:
	global_load_u16 v18, v[1:2], off offset:1664
.LBB117_28:
	s_or_b32 exec_lo, exec_lo, s15
	v_or_b32_e32 v19, 0x380, v0
	s_delay_alu instid0(VALU_DEP_1) | instskip(SKIP_1) | instid1(VALU_DEP_2)
	v_cmp_gt_u32_e64 s15, s22, v19
	v_mov_b32_e32 v19, v4
	s_and_saveexec_b32 s16, s15
	s_cbranch_execz .LBB117_30
; %bb.29:
	global_load_u16 v19, v[1:2], off offset:1792
.LBB117_30:
	s_or_b32 exec_lo, exec_lo, s16
	v_or_b32_e32 v20, 0x3c0, v0
	s_delay_alu instid0(VALU_DEP_1) | instskip(SKIP_1) | instid1(VALU_DEP_2)
	v_cmp_gt_u32_e64 s16, s22, v20
	v_mov_b32_e32 v20, v4
	s_and_saveexec_b32 s17, s16
	s_cbranch_execz .LBB117_32
; %bb.31:
	global_load_u16 v20, v[1:2], off offset:1920
.LBB117_32:
	s_or_b32 exec_lo, exec_lo, s17
	v_or_b32_e32 v21, 0x400, v0
	s_delay_alu instid0(VALU_DEP_1) | instskip(SKIP_1) | instid1(VALU_DEP_2)
	v_cmp_gt_u32_e64 s17, s22, v21
	v_mov_b32_e32 v21, v4
	s_and_saveexec_b32 s18, s17
	s_cbranch_execz .LBB117_34
; %bb.33:
	global_load_u16 v21, v[1:2], off offset:2048
.LBB117_34:
	s_or_b32 exec_lo, exec_lo, s18
	v_or_b32_e32 v22, 0x440, v0
	s_delay_alu instid0(VALU_DEP_1) | instskip(SKIP_1) | instid1(VALU_DEP_2)
	v_cmp_gt_u32_e64 s18, s22, v22
	v_mov_b32_e32 v22, v4
	s_and_saveexec_b32 s19, s18
	s_cbranch_execz .LBB117_36
; %bb.35:
	global_load_u16 v22, v[1:2], off offset:2176
.LBB117_36:
	s_or_b32 exec_lo, exec_lo, s19
	v_or_b32_e32 v23, 0x480, v0
	s_delay_alu instid0(VALU_DEP_1) | instskip(SKIP_1) | instid1(VALU_DEP_2)
	v_cmp_gt_u32_e64 s19, s22, v23
	v_mov_b32_e32 v23, v4
	s_and_saveexec_b32 s20, s19
	s_cbranch_execz .LBB117_38
; %bb.37:
	global_load_u16 v23, v[1:2], off offset:2304
.LBB117_38:
	s_or_b32 exec_lo, exec_lo, s20
	v_or_b32_e32 v24, 0x4c0, v0
	s_delay_alu instid0(VALU_DEP_1) | instskip(SKIP_1) | instid1(VALU_DEP_2)
	v_cmp_gt_u32_e64 s20, s22, v24
	v_mov_b32_e32 v24, v4
	s_and_saveexec_b32 s21, s20
	s_cbranch_execz .LBB117_40
; %bb.39:
	global_load_u16 v24, v[1:2], off offset:2432
.LBB117_40:
	s_or_b32 exec_lo, exec_lo, s21
	v_or_b32_e32 v25, 0x500, v0
	s_delay_alu instid0(VALU_DEP_1) | instskip(SKIP_1) | instid1(VALU_DEP_2)
	v_cmp_gt_u32_e64 s21, s22, v25
	v_mov_b32_e32 v25, v4
	s_and_saveexec_b32 s23, s21
	s_cbranch_execz .LBB117_42
; %bb.41:
	global_load_u16 v25, v[1:2], off offset:2560
.LBB117_42:
	s_or_b32 exec_lo, exec_lo, s23
	v_or_b32_e32 v26, 0x540, v0
	s_delay_alu instid0(VALU_DEP_1) | instskip(NEXT) | instid1(VALU_DEP_1)
	v_cmp_gt_u32_e64 s22, s22, v26
	s_and_saveexec_b32 s23, s22
	s_cbranch_execz .LBB117_44
; %bb.43:
	global_load_u16 v4, v[1:2], off offset:2688
.LBB117_44:
	s_or_b32 exec_lo, exec_lo, s23
	v_mad_u32_u24 v26, v0, 42, v3
	s_waitcnt vmcnt(0)
	ds_store_b16 v3, v5
	ds_store_b16 v3, v6 offset:128
	ds_store_b16 v3, v7 offset:256
	;; [unrolled: 1-line block ×21, first 2 shown]
	s_waitcnt lgkmcnt(0)
	s_barrier
	buffer_gl0_inv
	ds_load_2addr_b32 v[1:2], v26 offset1:1
	ds_load_2addr_b32 v[9:10], v26 offset0:2 offset1:3
	ds_load_2addr_b32 v[15:16], v26 offset0:4 offset1:5
	;; [unrolled: 1-line block ×4, first 2 shown]
	ds_load_b32 v26, v26 offset:40
	v_lshrrev_b32_e32 v29, 4, v0
	s_mov_b32 s24, exec_lo
	s_waitcnt lgkmcnt(0)
	s_barrier
	buffer_gl0_inv
	v_and_b32_e32 v29, 2, v29
	s_delay_alu instid0(VALU_DEP_1) | instskip(SKIP_2) | instid1(VALU_DEP_1)
	v_add_nc_u32_e32 v29, v3, v29
	v_and_b32_e32 v8, 0xffff0000, v1
	v_lshlrev_b32_e32 v14, 16, v1
	v_add_f32_e32 v7, v14, v8
	s_delay_alu instid0(VALU_DEP_1) | instskip(NEXT) | instid1(VALU_DEP_1)
	v_bfe_u32 v4, v7, 16, 1
	v_add3_u32 v11, v7, v4, 0x7fff
	v_lshlrev_b32_e32 v4, 16, v2
	v_cmp_o_f32_e64 s23, v7, v7
	v_and_b32_e32 v2, 0xffff0000, v2
	s_delay_alu instid0(VALU_DEP_4) | instskip(NEXT) | instid1(VALU_DEP_1)
	v_and_b32_e32 v5, 0xffff0000, v11
	v_cndmask_b32_e64 v5, 0x7fc00000, v5, s23
	s_delay_alu instid0(VALU_DEP_1) | instskip(NEXT) | instid1(VALU_DEP_1)
	v_add_f32_e32 v5, v5, v4
	v_bfe_u32 v6, v5, 16, 1
	v_cmp_o_f32_e64 s23, v5, v5
	s_delay_alu instid0(VALU_DEP_2) | instskip(NEXT) | instid1(VALU_DEP_1)
	v_add3_u32 v6, v5, v6, 0x7fff
	v_and_b32_e32 v6, 0xffff0000, v6
	s_delay_alu instid0(VALU_DEP_1) | instskip(NEXT) | instid1(VALU_DEP_1)
	v_cndmask_b32_e64 v5, 0x7fc00000, v6, s23
	v_add_f32_e32 v6, v5, v2
	s_delay_alu instid0(VALU_DEP_1) | instskip(NEXT) | instid1(VALU_DEP_1)
	v_bfe_u32 v5, v6, 16, 1
	v_add3_u32 v5, v6, v5, 0x7fff
	s_delay_alu instid0(VALU_DEP_1) | instskip(SKIP_2) | instid1(VALU_DEP_1)
	v_and_b32_e32 v12, 0xffff0000, v5
	v_lshlrev_b32_e32 v5, 16, v9
	v_cmp_o_f32_e64 s23, v6, v6
	v_cndmask_b32_e64 v6, 0x7fc00000, v12, s23
	s_delay_alu instid0(VALU_DEP_1) | instskip(NEXT) | instid1(VALU_DEP_1)
	v_add_f32_e32 v12, v6, v5
	v_bfe_u32 v6, v12, 16, 1
	s_delay_alu instid0(VALU_DEP_1) | instskip(NEXT) | instid1(VALU_DEP_1)
	v_add3_u32 v6, v12, v6, 0x7fff
	v_and_b32_e32 v13, 0xffff0000, v6
	v_cmp_o_f32_e64 s23, v12, v12
	v_and_b32_e32 v6, 0xffff0000, v9
	s_delay_alu instid0(VALU_DEP_2) | instskip(NEXT) | instid1(VALU_DEP_1)
	v_cndmask_b32_e64 v9, 0x7fc00000, v13, s23
	v_add_f32_e32 v12, v9, v6
	s_delay_alu instid0(VALU_DEP_1) | instskip(SKIP_1) | instid1(VALU_DEP_2)
	v_bfe_u32 v9, v12, 16, 1
	v_cmp_o_f32_e64 s23, v12, v12
	v_add3_u32 v9, v12, v9, 0x7fff
	s_delay_alu instid0(VALU_DEP_1) | instskip(SKIP_2) | instid1(VALU_DEP_3)
	v_and_b32_e32 v13, 0xffff0000, v9
	v_lshlrev_b32_e32 v9, 16, v10
	v_and_b32_e32 v10, 0xffff0000, v10
	v_cndmask_b32_e64 v12, 0x7fc00000, v13, s23
	s_delay_alu instid0(VALU_DEP_1) | instskip(NEXT) | instid1(VALU_DEP_1)
	v_add_f32_e32 v12, v12, v9
	v_bfe_u32 v13, v12, 16, 1
	v_cmp_o_f32_e64 s23, v12, v12
	s_delay_alu instid0(VALU_DEP_2) | instskip(NEXT) | instid1(VALU_DEP_1)
	v_add3_u32 v13, v12, v13, 0x7fff
	v_and_b32_e32 v13, 0xffff0000, v13
	s_delay_alu instid0(VALU_DEP_1) | instskip(NEXT) | instid1(VALU_DEP_1)
	v_cndmask_b32_e64 v12, 0x7fc00000, v13, s23
	v_add_f32_e32 v13, v12, v10
	s_delay_alu instid0(VALU_DEP_1) | instskip(SKIP_1) | instid1(VALU_DEP_2)
	v_bfe_u32 v12, v13, 16, 1
	v_cmp_o_f32_e64 s23, v13, v13
	v_add3_u32 v12, v13, v12, 0x7fff
	s_delay_alu instid0(VALU_DEP_1) | instskip(SKIP_1) | instid1(VALU_DEP_2)
	v_and_b32_e32 v17, 0xffff0000, v12
	v_lshlrev_b32_e32 v12, 16, v15
	v_cndmask_b32_e64 v13, 0x7fc00000, v17, s23
	s_delay_alu instid0(VALU_DEP_1) | instskip(NEXT) | instid1(VALU_DEP_1)
	v_add_f32_e32 v17, v13, v12
	v_bfe_u32 v13, v17, 16, 1
	v_cmp_o_f32_e64 s23, v17, v17
	s_delay_alu instid0(VALU_DEP_2) | instskip(NEXT) | instid1(VALU_DEP_1)
	v_add3_u32 v13, v17, v13, 0x7fff
	v_and_b32_e32 v18, 0xffff0000, v13
	v_and_b32_e32 v13, 0xffff0000, v15
	s_delay_alu instid0(VALU_DEP_2) | instskip(NEXT) | instid1(VALU_DEP_1)
	v_cndmask_b32_e64 v15, 0x7fc00000, v18, s23
	v_add_f32_e32 v17, v15, v13
	s_delay_alu instid0(VALU_DEP_1) | instskip(SKIP_1) | instid1(VALU_DEP_2)
	v_bfe_u32 v15, v17, 16, 1
	v_cmp_o_f32_e64 s23, v17, v17
	v_add3_u32 v15, v17, v15, 0x7fff
	s_delay_alu instid0(VALU_DEP_1) | instskip(SKIP_2) | instid1(VALU_DEP_3)
	v_and_b32_e32 v18, 0xffff0000, v15
	v_lshlrev_b32_e32 v15, 16, v16
	v_and_b32_e32 v16, 0xffff0000, v16
	v_cndmask_b32_e64 v17, 0x7fc00000, v18, s23
	s_delay_alu instid0(VALU_DEP_1) | instskip(NEXT) | instid1(VALU_DEP_1)
	v_add_f32_e32 v17, v17, v15
	v_bfe_u32 v18, v17, 16, 1
	v_cmp_o_f32_e64 s23, v17, v17
	s_delay_alu instid0(VALU_DEP_2) | instskip(NEXT) | instid1(VALU_DEP_1)
	v_add3_u32 v18, v17, v18, 0x7fff
	v_and_b32_e32 v18, 0xffff0000, v18
	s_delay_alu instid0(VALU_DEP_1) | instskip(NEXT) | instid1(VALU_DEP_1)
	v_cndmask_b32_e64 v17, 0x7fc00000, v18, s23
	v_add_f32_e32 v18, v17, v16
	s_delay_alu instid0(VALU_DEP_1) | instskip(SKIP_1) | instid1(VALU_DEP_2)
	v_bfe_u32 v17, v18, 16, 1
	v_cmp_o_f32_e64 s23, v18, v18
	v_add3_u32 v17, v18, v17, 0x7fff
	s_delay_alu instid0(VALU_DEP_1) | instskip(SKIP_1) | instid1(VALU_DEP_2)
	v_and_b32_e32 v21, 0xffff0000, v17
	v_lshlrev_b32_e32 v17, 16, v19
	v_cndmask_b32_e64 v18, 0x7fc00000, v21, s23
	s_delay_alu instid0(VALU_DEP_1) | instskip(NEXT) | instid1(VALU_DEP_1)
	v_add_f32_e32 v21, v18, v17
	v_bfe_u32 v18, v21, 16, 1
	v_cmp_o_f32_e64 s23, v21, v21
	s_delay_alu instid0(VALU_DEP_2) | instskip(NEXT) | instid1(VALU_DEP_1)
	v_add3_u32 v18, v21, v18, 0x7fff
	v_and_b32_e32 v22, 0xffff0000, v18
	;; [unrolled: 38-line block ×3, first 2 shown]
	v_and_b32_e32 v22, 0xffff0000, v23
	s_delay_alu instid0(VALU_DEP_2) | instskip(NEXT) | instid1(VALU_DEP_1)
	v_cndmask_b32_e64 v23, 0x7fc00000, v27, s23
	v_add_f32_e32 v25, v23, v22
	s_delay_alu instid0(VALU_DEP_1) | instskip(SKIP_1) | instid1(VALU_DEP_2)
	v_bfe_u32 v23, v25, 16, 1
	v_cmp_o_f32_e64 s23, v25, v25
	v_add3_u32 v23, v25, v23, 0x7fff
	s_delay_alu instid0(VALU_DEP_1) | instskip(SKIP_2) | instid1(VALU_DEP_3)
	v_and_b32_e32 v27, 0xffff0000, v23
	v_lshlrev_b32_e32 v23, 16, v24
	v_and_b32_e32 v24, 0xffff0000, v24
	v_cndmask_b32_e64 v25, 0x7fc00000, v27, s23
	s_delay_alu instid0(VALU_DEP_1) | instskip(NEXT) | instid1(VALU_DEP_1)
	v_add_f32_e32 v25, v25, v23
	v_bfe_u32 v27, v25, 16, 1
	v_cmp_o_f32_e64 s23, v25, v25
	s_delay_alu instid0(VALU_DEP_2) | instskip(NEXT) | instid1(VALU_DEP_1)
	v_add3_u32 v27, v25, v27, 0x7fff
	v_and_b32_e32 v27, 0xffff0000, v27
	s_delay_alu instid0(VALU_DEP_1) | instskip(NEXT) | instid1(VALU_DEP_1)
	v_cndmask_b32_e64 v25, 0x7fc00000, v27, s23
	v_add_f32_e32 v27, v25, v24
	s_delay_alu instid0(VALU_DEP_1) | instskip(SKIP_1) | instid1(VALU_DEP_2)
	v_bfe_u32 v25, v27, 16, 1
	v_cmp_o_f32_e64 s23, v27, v27
	v_add3_u32 v25, v27, v25, 0x7fff
	s_delay_alu instid0(VALU_DEP_1) | instskip(SKIP_2) | instid1(VALU_DEP_3)
	v_and_b32_e32 v28, 0xffff0000, v25
	v_lshlrev_b32_e32 v25, 16, v26
	v_and_b32_e32 v26, 0xffff0000, v26
	v_cndmask_b32_e64 v27, 0x7fc00000, v28, s23
	s_delay_alu instid0(VALU_DEP_1) | instskip(NEXT) | instid1(VALU_DEP_1)
	v_add_f32_e32 v27, v27, v25
	v_bfe_u32 v28, v27, 16, 1
	v_cmp_o_f32_e64 s23, v27, v27
	s_delay_alu instid0(VALU_DEP_2) | instskip(NEXT) | instid1(VALU_DEP_1)
	v_add3_u32 v28, v27, v28, 0x7fff
	v_and_b32_e32 v28, 0xffff0000, v28
	s_delay_alu instid0(VALU_DEP_1) | instskip(NEXT) | instid1(VALU_DEP_1)
	v_cndmask_b32_e64 v27, 0x7fc00000, v28, s23
	v_add_f32_e32 v27, v27, v26
	s_delay_alu instid0(VALU_DEP_1) | instskip(SKIP_1) | instid1(VALU_DEP_2)
	v_bfe_u32 v28, v27, 16, 1
	v_cmp_o_f32_e64 s23, v27, v27
	v_add3_u32 v28, v27, v28, 0x7fff
	s_delay_alu instid0(VALU_DEP_1) | instskip(NEXT) | instid1(VALU_DEP_1)
	v_lshrrev_b32_e32 v28, 16, v28
	v_cndmask_b32_e64 v27, 0x7fc0, v28, s23
	ds_store_b16 v29, v27
	s_waitcnt lgkmcnt(0)
	s_barrier
	buffer_gl0_inv
	v_cmpx_gt_u32_e32 32, v0
	s_cbranch_execz .LBB117_56
; %bb.45:
	v_lshrrev_b32_e32 v28, 3, v0
	s_mov_b32 s25, exec_lo
	s_delay_alu instid0(VALU_DEP_1) | instskip(NEXT) | instid1(VALU_DEP_1)
	v_and_b32_e32 v28, 6, v28
	v_lshl_or_b32 v28, v0, 2, v28
	ds_load_b32 v30, v28
	s_waitcnt lgkmcnt(0)
	v_and_b32_e32 v29, 0xffff0000, v30
	v_lshlrev_b32_e32 v30, 16, v30
	s_delay_alu instid0(VALU_DEP_1) | instskip(NEXT) | instid1(VALU_DEP_1)
	v_add_f32_e32 v31, v30, v29
	v_bfe_u32 v32, v31, 16, 1
	v_cmp_o_f32_e64 s23, v31, v31
	s_delay_alu instid0(VALU_DEP_2) | instskip(SKIP_1) | instid1(VALU_DEP_2)
	v_add3_u32 v32, v31, v32, 0x7fff
	v_mbcnt_lo_u32_b32 v31, -1, 0
	v_lshrrev_b32_e32 v32, 16, v32
	s_delay_alu instid0(VALU_DEP_2) | instskip(NEXT) | instid1(VALU_DEP_2)
	v_and_b32_e32 v34, 15, v31
	v_cndmask_b32_e64 v32, 0x7fc0, v32, s23
	s_delay_alu instid0(VALU_DEP_1) | instskip(NEXT) | instid1(VALU_DEP_1)
	v_and_b32_e32 v33, 0xffff, v32
	v_mov_b32_dpp v35, v33 row_shr:1 row_mask:0xf bank_mask:0xf
	s_delay_alu instid0(VALU_DEP_4)
	v_cmpx_ne_u32_e32 0, v34
; %bb.46:
	s_delay_alu instid0(VALU_DEP_2) | instskip(SKIP_1) | instid1(VALU_DEP_1)
	v_lshlrev_b32_e32 v32, 16, v35
	v_lshlrev_b32_e32 v33, 16, v33
	v_add_f32_e32 v32, v32, v33
	s_delay_alu instid0(VALU_DEP_1) | instskip(SKIP_1) | instid1(VALU_DEP_2)
	v_bfe_u32 v33, v32, 16, 1
	v_cmp_o_f32_e64 s23, v32, v32
	v_add3_u32 v33, v32, v33, 0x7fff
	s_delay_alu instid0(VALU_DEP_1) | instskip(NEXT) | instid1(VALU_DEP_1)
	v_lshrrev_b32_e32 v33, 16, v33
	v_cndmask_b32_e64 v32, 0x7fc0, v33, s23
	s_delay_alu instid0(VALU_DEP_1)
	v_and_b32_e32 v33, 0xffff, v32
; %bb.47:
	s_or_b32 exec_lo, exec_lo, s25
	s_delay_alu instid0(VALU_DEP_1)
	v_mov_b32_dpp v35, v33 row_shr:2 row_mask:0xf bank_mask:0xf
	s_mov_b32 s25, exec_lo
	v_cmpx_lt_u32_e32 1, v34
; %bb.48:
	s_delay_alu instid0(VALU_DEP_2) | instskip(SKIP_1) | instid1(VALU_DEP_1)
	v_lshlrev_b32_e32 v32, 16, v35
	v_lshlrev_b32_e32 v33, 16, v33
	v_add_f32_e32 v32, v33, v32
	s_delay_alu instid0(VALU_DEP_1) | instskip(SKIP_1) | instid1(VALU_DEP_2)
	v_bfe_u32 v33, v32, 16, 1
	v_cmp_o_f32_e64 s23, v32, v32
	v_add3_u32 v33, v32, v33, 0x7fff
	s_delay_alu instid0(VALU_DEP_1) | instskip(NEXT) | instid1(VALU_DEP_1)
	v_lshrrev_b32_e32 v33, 16, v33
	v_cndmask_b32_e64 v32, 0x7fc0, v33, s23
	s_delay_alu instid0(VALU_DEP_1)
	v_and_b32_e32 v33, 0xffff, v32
; %bb.49:
	s_or_b32 exec_lo, exec_lo, s25
	s_delay_alu instid0(VALU_DEP_1)
	v_mov_b32_dpp v35, v33 row_shr:4 row_mask:0xf bank_mask:0xf
	s_mov_b32 s25, exec_lo
	v_cmpx_lt_u32_e32 3, v34
	;; [unrolled: 20-line block ×3, first 2 shown]
; %bb.52:
	s_delay_alu instid0(VALU_DEP_2) | instskip(SKIP_1) | instid1(VALU_DEP_1)
	v_lshlrev_b32_e32 v32, 16, v35
	v_lshlrev_b32_e32 v33, 16, v33
	v_add_f32_e32 v32, v33, v32
	s_delay_alu instid0(VALU_DEP_1) | instskip(SKIP_1) | instid1(VALU_DEP_2)
	v_bfe_u32 v33, v32, 16, 1
	v_cmp_o_f32_e64 s23, v32, v32
	v_add3_u32 v33, v32, v33, 0x7fff
	s_delay_alu instid0(VALU_DEP_1) | instskip(NEXT) | instid1(VALU_DEP_1)
	v_lshrrev_b32_e32 v33, 16, v33
	v_cndmask_b32_e64 v32, 0x7fc0, v33, s23
	s_delay_alu instid0(VALU_DEP_1)
	v_and_b32_e32 v33, 0xffff, v32
; %bb.53:
	s_or_b32 exec_lo, exec_lo, s25
	ds_swizzle_b32 v34, v33 offset:swizzle(BROADCAST,32,15)
	v_and_b32_e32 v35, 16, v31
	s_mov_b32 s25, exec_lo
	s_delay_alu instid0(VALU_DEP_1)
	v_cmpx_ne_u32_e32 0, v35
	s_cbranch_execz .LBB117_55
; %bb.54:
	s_waitcnt lgkmcnt(0)
	v_lshlrev_b32_e32 v32, 16, v34
	v_lshlrev_b32_e32 v33, 16, v33
	s_delay_alu instid0(VALU_DEP_1) | instskip(NEXT) | instid1(VALU_DEP_1)
	v_add_f32_e32 v32, v33, v32
	v_bfe_u32 v33, v32, 16, 1
	v_cmp_o_f32_e64 s23, v32, v32
	s_delay_alu instid0(VALU_DEP_2) | instskip(NEXT) | instid1(VALU_DEP_1)
	v_add3_u32 v33, v32, v33, 0x7fff
	v_lshrrev_b32_e32 v33, 16, v33
	s_delay_alu instid0(VALU_DEP_1)
	v_cndmask_b32_e64 v32, 0x7fc0, v33, s23
.LBB117_55:
	s_or_b32 exec_lo, exec_lo, s25
	v_add_nc_u32_e32 v33, -1, v31
	s_delay_alu instid0(VALU_DEP_2) | instskip(NEXT) | instid1(VALU_DEP_2)
	v_and_b32_e32 v32, 0xffff, v32
	v_cmp_gt_i32_e64 s23, 0, v33
	s_delay_alu instid0(VALU_DEP_1) | instskip(NEXT) | instid1(VALU_DEP_1)
	v_cndmask_b32_e64 v31, v33, v31, s23
	v_lshlrev_b32_e32 v31, 2, v31
	ds_bpermute_b32 v31, v31, v32
	s_waitcnt lgkmcnt(0)
	v_lshlrev_b32_e32 v31, 16, v31
	s_delay_alu instid0(VALU_DEP_1) | instskip(NEXT) | instid1(VALU_DEP_1)
	v_add_f32_e32 v30, v30, v31
	v_bfe_u32 v31, v30, 16, 1
	v_cmp_o_f32_e64 s23, v30, v30
	s_delay_alu instid0(VALU_DEP_2) | instskip(NEXT) | instid1(VALU_DEP_1)
	v_add3_u32 v31, v30, v31, 0x7fff
	v_lshrrev_b32_e32 v31, 16, v31
	s_delay_alu instid0(VALU_DEP_1) | instskip(SKIP_1) | instid1(VALU_DEP_1)
	v_cndmask_b32_e64 v30, 0x7fc0, v31, s23
	v_cmp_eq_u32_e64 s23, 0, v0
	v_cndmask_b32_e64 v30, v30, v27, s23
	s_delay_alu instid0(VALU_DEP_1) | instskip(NEXT) | instid1(VALU_DEP_1)
	v_lshlrev_b32_e32 v31, 16, v30
	v_add_f32_e32 v29, v29, v31
	s_delay_alu instid0(VALU_DEP_1) | instskip(SKIP_1) | instid1(VALU_DEP_2)
	v_bfe_u32 v31, v29, 16, 1
	v_cmp_o_f32_e64 s23, v29, v29
	v_add3_u32 v31, v29, v31, 0x7fff
	s_delay_alu instid0(VALU_DEP_1) | instskip(NEXT) | instid1(VALU_DEP_1)
	v_lshrrev_b32_e32 v31, 16, v31
	v_cndmask_b32_e64 v29, 0x7fc0, v31, s23
	ds_store_b16 v28, v30
	ds_store_b16 v28, v29 offset:2
.LBB117_56:
	s_or_b32 exec_lo, exec_lo, s24
	v_mul_u32_u24_e32 v28, 42, v0
	v_cmp_ne_u32_e64 s23, 0, v0
	s_waitcnt lgkmcnt(0)
	s_barrier
	buffer_gl0_inv
	s_and_saveexec_b32 s24, s23
	s_cbranch_execz .LBB117_58
; %bb.57:
	v_add_nc_u32_e32 v0, -1, v0
	s_delay_alu instid0(VALU_DEP_1) | instskip(NEXT) | instid1(VALU_DEP_1)
	v_lshrrev_b32_e32 v27, 5, v0
	v_add_lshl_u32 v0, v27, v0, 1
	ds_load_u16 v27, v0
.LBB117_58:
	s_or_b32 exec_lo, exec_lo, s24
	s_and_saveexec_b32 s24, s23
	s_cbranch_execz .LBB117_60
; %bb.59:
	s_waitcnt lgkmcnt(0)
	v_lshlrev_b32_e32 v0, 16, v27
	s_delay_alu instid0(VALU_DEP_1) | instskip(NEXT) | instid1(VALU_DEP_1)
	v_add_f32_e32 v0, v14, v0
	v_bfe_u32 v1, v0, 16, 1
	v_cmp_o_f32_e64 s23, v0, v0
	s_delay_alu instid0(VALU_DEP_2) | instskip(NEXT) | instid1(VALU_DEP_1)
	v_add3_u32 v1, v0, v1, 0x7fff
	v_lshrrev_b32_e32 v1, 16, v1
	s_delay_alu instid0(VALU_DEP_1) | instskip(NEXT) | instid1(VALU_DEP_1)
	v_cndmask_b32_e64 v1, 0x7fc0, v1, s23
	v_lshlrev_b32_e32 v0, 16, v1
	s_delay_alu instid0(VALU_DEP_1) | instskip(NEXT) | instid1(VALU_DEP_1)
	v_add_f32_e32 v7, v8, v0
	v_bfe_u32 v0, v7, 16, 1
	s_delay_alu instid0(VALU_DEP_1)
	v_add3_u32 v11, v7, v0, 0x7fff
.LBB117_60:
	s_or_b32 exec_lo, exec_lo, s24
	s_delay_alu instid0(VALU_DEP_1)
	v_lshrrev_b32_e32 v0, 16, v11
	v_cmp_o_f32_e64 s23, v7, v7
	s_load_b64 s[24:25], s[0:1], 0x18
	s_waitcnt lgkmcnt(0)
	s_barrier
	buffer_gl0_inv
	v_cndmask_b32_e64 v0, 0x7fc0, v0, s23
	s_delay_alu instid0(VALU_DEP_1) | instskip(SKIP_1) | instid1(VALU_DEP_2)
	v_lshlrev_b32_e32 v7, 16, v0
	v_perm_b32 v0, v0, v1, 0x5040100
	v_add_f32_e32 v4, v4, v7
	s_delay_alu instid0(VALU_DEP_1) | instskip(SKIP_1) | instid1(VALU_DEP_2)
	v_bfe_u32 v7, v4, 16, 1
	v_cmp_o_f32_e64 s23, v4, v4
	v_add3_u32 v7, v4, v7, 0x7fff
	s_delay_alu instid0(VALU_DEP_1) | instskip(NEXT) | instid1(VALU_DEP_1)
	v_lshrrev_b32_e32 v7, 16, v7
	v_cndmask_b32_e64 v4, 0x7fc0, v7, s23
	s_delay_alu instid0(VALU_DEP_1) | instskip(NEXT) | instid1(VALU_DEP_1)
	v_lshlrev_b32_e32 v7, 16, v4
	v_add_f32_e32 v2, v2, v7
	s_delay_alu instid0(VALU_DEP_1) | instskip(SKIP_1) | instid1(VALU_DEP_2)
	v_bfe_u32 v7, v2, 16, 1
	v_cmp_o_f32_e64 s23, v2, v2
	v_add3_u32 v7, v2, v7, 0x7fff
	s_delay_alu instid0(VALU_DEP_1) | instskip(NEXT) | instid1(VALU_DEP_1)
	v_lshrrev_b32_e32 v7, 16, v7
	v_cndmask_b32_e64 v2, 0x7fc0, v7, s23
	s_delay_alu instid0(VALU_DEP_1) | instskip(SKIP_1) | instid1(VALU_DEP_2)
	v_lshlrev_b32_e32 v7, 16, v2
	v_perm_b32 v1, v2, v4, 0x5040100
	v_add_f32_e32 v5, v5, v7
	s_delay_alu instid0(VALU_DEP_1) | instskip(SKIP_1) | instid1(VALU_DEP_2)
	v_bfe_u32 v7, v5, 16, 1
	v_cmp_o_f32_e64 s23, v5, v5
	v_add3_u32 v7, v5, v7, 0x7fff
	s_delay_alu instid0(VALU_DEP_1) | instskip(NEXT) | instid1(VALU_DEP_1)
	v_lshrrev_b32_e32 v7, 16, v7
	v_cndmask_b32_e64 v5, 0x7fc0, v7, s23
	s_delay_alu instid0(VALU_DEP_1) | instskip(NEXT) | instid1(VALU_DEP_1)
	v_lshlrev_b32_e32 v7, 16, v5
	v_add_f32_e32 v6, v6, v7
	s_delay_alu instid0(VALU_DEP_1) | instskip(SKIP_1) | instid1(VALU_DEP_2)
	v_bfe_u32 v7, v6, 16, 1
	v_cmp_o_f32_e64 s23, v6, v6
	v_add3_u32 v7, v6, v7, 0x7fff
	s_delay_alu instid0(VALU_DEP_1) | instskip(NEXT) | instid1(VALU_DEP_1)
	v_lshrrev_b32_e32 v7, 16, v7
	;; [unrolled: 21-line block ×8, first 2 shown]
	v_cndmask_b32_e64 v18, 0x7fc0, v19, s23
	s_delay_alu instid0(VALU_DEP_1) | instskip(SKIP_1) | instid1(VALU_DEP_2)
	v_lshlrev_b32_e32 v19, 16, v18
	v_perm_b32 v10, v18, v17, 0x5040100
	v_add_f32_e32 v19, v23, v19
	s_delay_alu instid0(VALU_DEP_1) | instskip(SKIP_1) | instid1(VALU_DEP_2)
	v_bfe_u32 v20, v19, 16, 1
	v_cmp_o_f32_e64 s23, v19, v19
	v_add3_u32 v20, v19, v20, 0x7fff
	s_delay_alu instid0(VALU_DEP_1) | instskip(NEXT) | instid1(VALU_DEP_1)
	v_lshrrev_b32_e32 v20, 16, v20
	v_cndmask_b32_e64 v19, 0x7fc0, v20, s23
	s_delay_alu instid0(VALU_DEP_1) | instskip(NEXT) | instid1(VALU_DEP_1)
	v_lshlrev_b32_e32 v20, 16, v19
	v_add_f32_e32 v20, v24, v20
	v_add_nc_u32_e32 v24, v3, v28
	s_delay_alu instid0(VALU_DEP_2) | instskip(SKIP_1) | instid1(VALU_DEP_2)
	v_bfe_u32 v21, v20, 16, 1
	v_cmp_o_f32_e64 s23, v20, v20
	v_add3_u32 v21, v20, v21, 0x7fff
	s_delay_alu instid0(VALU_DEP_1) | instskip(NEXT) | instid1(VALU_DEP_1)
	v_lshrrev_b32_e32 v21, 16, v21
	v_cndmask_b32_e64 v20, 0x7fc0, v21, s23
	s_delay_alu instid0(VALU_DEP_1) | instskip(SKIP_1) | instid1(VALU_DEP_2)
	v_lshlrev_b32_e32 v21, 16, v20
	v_perm_b32 v11, v20, v19, 0x5040100
	v_add_f32_e32 v21, v25, v21
	s_delay_alu instid0(VALU_DEP_1) | instskip(SKIP_1) | instid1(VALU_DEP_2)
	v_bfe_u32 v22, v21, 16, 1
	v_cmp_o_f32_e64 s23, v21, v21
	v_add3_u32 v22, v21, v22, 0x7fff
	s_delay_alu instid0(VALU_DEP_1) | instskip(NEXT) | instid1(VALU_DEP_1)
	v_lshrrev_b32_e32 v22, 16, v22
	v_cndmask_b32_e64 v21, 0x7fc0, v22, s23
	s_delay_alu instid0(VALU_DEP_1) | instskip(NEXT) | instid1(VALU_DEP_1)
	v_lshlrev_b32_e32 v22, 16, v21
	v_add_f32_e32 v22, v26, v22
	s_delay_alu instid0(VALU_DEP_1) | instskip(SKIP_1) | instid1(VALU_DEP_2)
	v_bfe_u32 v23, v22, 16, 1
	v_cmp_o_f32_e64 s0, v22, v22
	v_add3_u32 v23, v22, v23, 0x7fff
	s_delay_alu instid0(VALU_DEP_1) | instskip(NEXT) | instid1(VALU_DEP_1)
	v_lshrrev_b32_e32 v4, 16, v23
	v_cndmask_b32_e64 v4, 0x7fc0, v4, s0
	s_delay_alu instid0(VALU_DEP_1)
	v_perm_b32 v4, v4, v21, 0x5040100
	ds_store_2addr_b32 v24, v0, v1 offset1:1
	ds_store_2addr_b32 v24, v2, v5 offset0:2 offset1:3
	ds_store_2addr_b32 v24, v6, v7 offset0:4 offset1:5
	;; [unrolled: 1-line block ×4, first 2 shown]
	ds_store_b32 v24, v4 offset:40
	s_waitcnt lgkmcnt(0)
	s_barrier
	buffer_gl0_inv
	ds_load_u16 v23, v3 offset:128
	ds_load_u16 v22, v3 offset:256
	;; [unrolled: 1-line block ×21, first 2 shown]
	v_add_co_u32 v0, s0, s24, v3
	s_delay_alu instid0(VALU_DEP_1)
	v_add_co_ci_u32_e64 v1, null, s25, 0, s0
	s_and_saveexec_b32 s0, vcc_lo
	s_cbranch_execnz .LBB117_83
; %bb.61:
	s_or_b32 exec_lo, exec_lo, s0
	s_and_saveexec_b32 s0, s2
	s_cbranch_execnz .LBB117_84
.LBB117_62:
	s_or_b32 exec_lo, exec_lo, s0
	s_and_saveexec_b32 s0, s3
	s_cbranch_execnz .LBB117_85
.LBB117_63:
	s_or_b32 exec_lo, exec_lo, s0
	s_and_saveexec_b32 s0, s4
	s_cbranch_execnz .LBB117_86
.LBB117_64:
	s_or_b32 exec_lo, exec_lo, s0
	s_and_saveexec_b32 s0, s5
	s_cbranch_execnz .LBB117_87
.LBB117_65:
	s_or_b32 exec_lo, exec_lo, s0
	s_and_saveexec_b32 s0, s6
	s_cbranch_execnz .LBB117_88
.LBB117_66:
	s_or_b32 exec_lo, exec_lo, s0
	s_and_saveexec_b32 s0, s7
	s_cbranch_execnz .LBB117_89
.LBB117_67:
	s_or_b32 exec_lo, exec_lo, s0
	s_and_saveexec_b32 s0, s8
	s_cbranch_execnz .LBB117_90
.LBB117_68:
	s_or_b32 exec_lo, exec_lo, s0
	s_and_saveexec_b32 s0, s9
	s_cbranch_execnz .LBB117_91
.LBB117_69:
	s_or_b32 exec_lo, exec_lo, s0
	s_and_saveexec_b32 s0, s10
	s_cbranch_execnz .LBB117_92
.LBB117_70:
	s_or_b32 exec_lo, exec_lo, s0
	s_and_saveexec_b32 s0, s11
	s_cbranch_execnz .LBB117_93
.LBB117_71:
	s_or_b32 exec_lo, exec_lo, s0
	s_and_saveexec_b32 s0, s12
	s_cbranch_execnz .LBB117_94
.LBB117_72:
	s_or_b32 exec_lo, exec_lo, s0
	s_and_saveexec_b32 s0, s13
	s_cbranch_execnz .LBB117_95
.LBB117_73:
	s_or_b32 exec_lo, exec_lo, s0
	s_and_saveexec_b32 s0, s14
	s_cbranch_execnz .LBB117_96
.LBB117_74:
	s_or_b32 exec_lo, exec_lo, s0
	s_and_saveexec_b32 s0, s15
	s_cbranch_execnz .LBB117_97
.LBB117_75:
	s_or_b32 exec_lo, exec_lo, s0
	s_and_saveexec_b32 s0, s16
	s_cbranch_execnz .LBB117_98
.LBB117_76:
	s_or_b32 exec_lo, exec_lo, s0
	s_and_saveexec_b32 s0, s17
	s_cbranch_execnz .LBB117_99
.LBB117_77:
	s_or_b32 exec_lo, exec_lo, s0
	s_and_saveexec_b32 s0, s18
	s_cbranch_execnz .LBB117_100
.LBB117_78:
	s_or_b32 exec_lo, exec_lo, s0
	s_and_saveexec_b32 s0, s19
	s_cbranch_execnz .LBB117_101
.LBB117_79:
	s_or_b32 exec_lo, exec_lo, s0
	s_and_saveexec_b32 s0, s20
	s_cbranch_execnz .LBB117_102
.LBB117_80:
	s_or_b32 exec_lo, exec_lo, s0
	s_and_saveexec_b32 s0, s21
	s_cbranch_execnz .LBB117_103
.LBB117_81:
	s_or_b32 exec_lo, exec_lo, s0
	s_and_saveexec_b32 s0, s22
	s_cbranch_execnz .LBB117_104
.LBB117_82:
	s_nop 0
	s_sendmsg sendmsg(MSG_DEALLOC_VGPRS)
	s_endpgm
.LBB117_83:
	ds_load_u16 v3, v3
	s_waitcnt lgkmcnt(0)
	global_store_b16 v[0:1], v3, off
	s_or_b32 exec_lo, exec_lo, s0
	s_and_saveexec_b32 s0, s2
	s_cbranch_execz .LBB117_62
.LBB117_84:
	s_waitcnt lgkmcnt(20)
	global_store_b16 v[0:1], v23, off offset:128
	s_or_b32 exec_lo, exec_lo, s0
	s_and_saveexec_b32 s0, s3
	s_cbranch_execz .LBB117_63
.LBB117_85:
	s_waitcnt lgkmcnt(19)
	global_store_b16 v[0:1], v22, off offset:256
	s_or_b32 exec_lo, exec_lo, s0
	s_and_saveexec_b32 s0, s4
	s_cbranch_execz .LBB117_64
.LBB117_86:
	s_waitcnt lgkmcnt(18)
	global_store_b16 v[0:1], v21, off offset:384
	s_or_b32 exec_lo, exec_lo, s0
	s_and_saveexec_b32 s0, s5
	s_cbranch_execz .LBB117_65
.LBB117_87:
	s_waitcnt lgkmcnt(17)
	global_store_b16 v[0:1], v20, off offset:512
	s_or_b32 exec_lo, exec_lo, s0
	s_and_saveexec_b32 s0, s6
	s_cbranch_execz .LBB117_66
.LBB117_88:
	s_waitcnt lgkmcnt(16)
	global_store_b16 v[0:1], v19, off offset:640
	s_or_b32 exec_lo, exec_lo, s0
	s_and_saveexec_b32 s0, s7
	s_cbranch_execz .LBB117_67
.LBB117_89:
	s_waitcnt lgkmcnt(15)
	global_store_b16 v[0:1], v18, off offset:768
	s_or_b32 exec_lo, exec_lo, s0
	s_and_saveexec_b32 s0, s8
	s_cbranch_execz .LBB117_68
.LBB117_90:
	s_waitcnt lgkmcnt(14)
	global_store_b16 v[0:1], v17, off offset:896
	s_or_b32 exec_lo, exec_lo, s0
	s_and_saveexec_b32 s0, s9
	s_cbranch_execz .LBB117_69
.LBB117_91:
	s_waitcnt lgkmcnt(13)
	global_store_b16 v[0:1], v16, off offset:1024
	s_or_b32 exec_lo, exec_lo, s0
	s_and_saveexec_b32 s0, s10
	s_cbranch_execz .LBB117_70
.LBB117_92:
	s_waitcnt lgkmcnt(12)
	global_store_b16 v[0:1], v15, off offset:1152
	s_or_b32 exec_lo, exec_lo, s0
	s_and_saveexec_b32 s0, s11
	s_cbranch_execz .LBB117_71
.LBB117_93:
	s_waitcnt lgkmcnt(11)
	global_store_b16 v[0:1], v14, off offset:1280
	s_or_b32 exec_lo, exec_lo, s0
	s_and_saveexec_b32 s0, s12
	s_cbranch_execz .LBB117_72
.LBB117_94:
	s_waitcnt lgkmcnt(10)
	global_store_b16 v[0:1], v13, off offset:1408
	s_or_b32 exec_lo, exec_lo, s0
	s_and_saveexec_b32 s0, s13
	s_cbranch_execz .LBB117_73
.LBB117_95:
	s_waitcnt lgkmcnt(9)
	global_store_b16 v[0:1], v12, off offset:1536
	s_or_b32 exec_lo, exec_lo, s0
	s_and_saveexec_b32 s0, s14
	s_cbranch_execz .LBB117_74
.LBB117_96:
	s_waitcnt lgkmcnt(8)
	global_store_b16 v[0:1], v11, off offset:1664
	s_or_b32 exec_lo, exec_lo, s0
	s_and_saveexec_b32 s0, s15
	s_cbranch_execz .LBB117_75
.LBB117_97:
	s_waitcnt lgkmcnt(7)
	global_store_b16 v[0:1], v10, off offset:1792
	s_or_b32 exec_lo, exec_lo, s0
	s_and_saveexec_b32 s0, s16
	s_cbranch_execz .LBB117_76
.LBB117_98:
	s_waitcnt lgkmcnt(6)
	global_store_b16 v[0:1], v9, off offset:1920
	s_or_b32 exec_lo, exec_lo, s0
	s_and_saveexec_b32 s0, s17
	s_cbranch_execz .LBB117_77
.LBB117_99:
	s_waitcnt lgkmcnt(5)
	global_store_b16 v[0:1], v8, off offset:2048
	s_or_b32 exec_lo, exec_lo, s0
	s_and_saveexec_b32 s0, s18
	s_cbranch_execz .LBB117_78
.LBB117_100:
	s_waitcnt lgkmcnt(4)
	global_store_b16 v[0:1], v7, off offset:2176
	s_or_b32 exec_lo, exec_lo, s0
	s_and_saveexec_b32 s0, s19
	s_cbranch_execz .LBB117_79
.LBB117_101:
	s_waitcnt lgkmcnt(3)
	global_store_b16 v[0:1], v6, off offset:2304
	s_or_b32 exec_lo, exec_lo, s0
	s_and_saveexec_b32 s0, s20
	s_cbranch_execz .LBB117_80
.LBB117_102:
	s_waitcnt lgkmcnt(2)
	global_store_b16 v[0:1], v5, off offset:2432
	s_or_b32 exec_lo, exec_lo, s0
	s_and_saveexec_b32 s0, s21
	s_cbranch_execz .LBB117_81
.LBB117_103:
	s_waitcnt lgkmcnt(1)
	global_store_b16 v[0:1], v4, off offset:2560
	s_or_b32 exec_lo, exec_lo, s0
	s_and_saveexec_b32 s0, s22
	s_cbranch_execz .LBB117_82
.LBB117_104:
	s_waitcnt lgkmcnt(0)
	global_store_b16 v[0:1], v2, off offset:2688
	s_nop 0
	s_sendmsg sendmsg(MSG_DEALLOC_VGPRS)
	s_endpgm
	.section	.rodata,"a",@progbits
	.p2align	6, 0x0
	.amdhsa_kernel _ZN7rocprim17ROCPRIM_304000_NS6detail18single_scan_kernelILb0ENS1_19wrapped_scan_configINS0_14default_configEN3c108BFloat16EEEPKS6_PS6_St4plusIS6_ES6_S6_EEvT1_mT4_T2_T3_
		.amdhsa_group_segment_fixed_size 2816
		.amdhsa_private_segment_fixed_size 0
		.amdhsa_kernarg_size 36
		.amdhsa_user_sgpr_count 15
		.amdhsa_user_sgpr_dispatch_ptr 0
		.amdhsa_user_sgpr_queue_ptr 0
		.amdhsa_user_sgpr_kernarg_segment_ptr 1
		.amdhsa_user_sgpr_dispatch_id 0
		.amdhsa_user_sgpr_private_segment_size 0
		.amdhsa_wavefront_size32 1
		.amdhsa_uses_dynamic_stack 0
		.amdhsa_enable_private_segment 0
		.amdhsa_system_sgpr_workgroup_id_x 1
		.amdhsa_system_sgpr_workgroup_id_y 0
		.amdhsa_system_sgpr_workgroup_id_z 0
		.amdhsa_system_sgpr_workgroup_info 0
		.amdhsa_system_vgpr_workitem_id 0
		.amdhsa_next_free_vgpr 36
		.amdhsa_next_free_sgpr 26
		.amdhsa_reserve_vcc 1
		.amdhsa_float_round_mode_32 0
		.amdhsa_float_round_mode_16_64 0
		.amdhsa_float_denorm_mode_32 3
		.amdhsa_float_denorm_mode_16_64 3
		.amdhsa_dx10_clamp 1
		.amdhsa_ieee_mode 1
		.amdhsa_fp16_overflow 0
		.amdhsa_workgroup_processor_mode 1
		.amdhsa_memory_ordered 1
		.amdhsa_forward_progress 0
		.amdhsa_shared_vgpr_count 0
		.amdhsa_exception_fp_ieee_invalid_op 0
		.amdhsa_exception_fp_denorm_src 0
		.amdhsa_exception_fp_ieee_div_zero 0
		.amdhsa_exception_fp_ieee_overflow 0
		.amdhsa_exception_fp_ieee_underflow 0
		.amdhsa_exception_fp_ieee_inexact 0
		.amdhsa_exception_int_div_zero 0
	.end_amdhsa_kernel
	.section	.text._ZN7rocprim17ROCPRIM_304000_NS6detail18single_scan_kernelILb0ENS1_19wrapped_scan_configINS0_14default_configEN3c108BFloat16EEEPKS6_PS6_St4plusIS6_ES6_S6_EEvT1_mT4_T2_T3_,"axG",@progbits,_ZN7rocprim17ROCPRIM_304000_NS6detail18single_scan_kernelILb0ENS1_19wrapped_scan_configINS0_14default_configEN3c108BFloat16EEEPKS6_PS6_St4plusIS6_ES6_S6_EEvT1_mT4_T2_T3_,comdat
.Lfunc_end117:
	.size	_ZN7rocprim17ROCPRIM_304000_NS6detail18single_scan_kernelILb0ENS1_19wrapped_scan_configINS0_14default_configEN3c108BFloat16EEEPKS6_PS6_St4plusIS6_ES6_S6_EEvT1_mT4_T2_T3_, .Lfunc_end117-_ZN7rocprim17ROCPRIM_304000_NS6detail18single_scan_kernelILb0ENS1_19wrapped_scan_configINS0_14default_configEN3c108BFloat16EEEPKS6_PS6_St4plusIS6_ES6_S6_EEvT1_mT4_T2_T3_
                                        ; -- End function
	.section	.AMDGPU.csdata,"",@progbits
; Kernel info:
; codeLenInByte = 6324
; NumSgprs: 28
; NumVgprs: 36
; ScratchSize: 0
; MemoryBound: 0
; FloatMode: 240
; IeeeMode: 1
; LDSByteSize: 2816 bytes/workgroup (compile time only)
; SGPRBlocks: 3
; VGPRBlocks: 4
; NumSGPRsForWavesPerEU: 28
; NumVGPRsForWavesPerEU: 36
; Occupancy: 16
; WaveLimiterHint : 0
; COMPUTE_PGM_RSRC2:SCRATCH_EN: 0
; COMPUTE_PGM_RSRC2:USER_SGPR: 15
; COMPUTE_PGM_RSRC2:TRAP_HANDLER: 0
; COMPUTE_PGM_RSRC2:TGID_X_EN: 1
; COMPUTE_PGM_RSRC2:TGID_Y_EN: 0
; COMPUTE_PGM_RSRC2:TGID_Z_EN: 0
; COMPUTE_PGM_RSRC2:TIDIG_COMP_CNT: 0
	.section	.text._ZN2at6native32tensor_kernel_scan_innermost_dimIN3c108BFloat16ESt4plusIS3_EEEvPT_PKS6_jjjS6_T0_,"axG",@progbits,_ZN2at6native32tensor_kernel_scan_innermost_dimIN3c108BFloat16ESt4plusIS3_EEEvPT_PKS6_jjjS6_T0_,comdat
	.protected	_ZN2at6native32tensor_kernel_scan_innermost_dimIN3c108BFloat16ESt4plusIS3_EEEvPT_PKS6_jjjS6_T0_ ; -- Begin function _ZN2at6native32tensor_kernel_scan_innermost_dimIN3c108BFloat16ESt4plusIS3_EEEvPT_PKS6_jjjS6_T0_
	.globl	_ZN2at6native32tensor_kernel_scan_innermost_dimIN3c108BFloat16ESt4plusIS3_EEEvPT_PKS6_jjjS6_T0_
	.p2align	8
	.type	_ZN2at6native32tensor_kernel_scan_innermost_dimIN3c108BFloat16ESt4plusIS3_EEEvPT_PKS6_jjjS6_T0_,@function
_ZN2at6native32tensor_kernel_scan_innermost_dimIN3c108BFloat16ESt4plusIS3_EEEvPT_PKS6_jjjS6_T0_: ; @_ZN2at6native32tensor_kernel_scan_innermost_dimIN3c108BFloat16ESt4plusIS3_EEEvPT_PKS6_jjjS6_T0_
; %bb.0:
	s_load_b256 s[16:23], s[0:1], 0x0
	v_bfe_u32 v9, v0, 10, 10
	s_waitcnt lgkmcnt(0)
	s_lshl_b32 s5, 2, s22
	s_mul_hi_u32 s2, s20, s21
	s_delay_alu instid0(VALU_DEP_1) | instskip(SKIP_3) | instid1(VALU_DEP_1)
	v_mul_lo_u32 v1, s5, v9
	s_mov_b32 s6, s20
	s_cmp_lg_u32 s2, 0
	s_mov_b32 s2, -1
	v_lshl_add_u32 v10, v1, 1, 0
	s_cbranch_scc1 .LBB118_26
; %bb.1:
	s_load_b32 s4, s[0:1], 0x2c
	s_add_u32 s2, s0, 32
	s_addc_u32 s3, s1, 0
	s_waitcnt lgkmcnt(0)
	s_lshr_b32 s4, s4, 16
	s_delay_alu instid0(SALU_CYCLE_1) | instskip(NEXT) | instid1(SALU_CYCLE_1)
	s_mul_i32 s7, s15, s4
	s_cmp_ge_u32 s7, s20
	s_cbranch_scc1 .LBB118_25
; %bb.2:
	s_load_b32 s10, s[2:3], 0x0
	v_dual_mov_b32 v2, 0 :: v_dual_and_b32 v5, 0x3ff, v0
	v_add_nc_u32_e32 v6, -2, v10
	s_lshl_b32 s8, 1, s22
	s_cmp_lg_u32 s21, 0
	s_delay_alu instid0(VALU_DEP_2)
	v_lshl_add_u32 v7, v5, 1, v10
	v_cmp_eq_u32_e64 s2, 0, v5
	v_lshl_add_u32 v8, s5, 1, v6
	s_cselect_b32 s9, -1, 0
	s_add_i32 s11, s22, 1
	v_lshl_add_u32 v11, s8, 1, v7
	s_waitcnt lgkmcnt(0)
	s_mul_i32 s10, s10, s4
	s_branch .LBB118_4
.LBB118_3:                              ;   in Loop: Header=BB118_4 Depth=1
	s_add_i32 s7, s7, s10
	s_delay_alu instid0(SALU_CYCLE_1)
	s_cmp_ge_u32 s7, s20
	s_cbranch_scc1 .LBB118_25
.LBB118_4:                              ; =>This Loop Header: Depth=1
                                        ;     Child Loop BB118_7 Depth 2
                                        ;       Child Loop BB118_16 Depth 3
	s_and_not1_b32 vcc_lo, exec_lo, s9
	s_cbranch_vccnz .LBB118_3
; %bb.5:                                ;   in Loop: Header=BB118_4 Depth=1
	v_add_nc_u32_e32 v12, s7, v9
	v_mov_b32_e32 v16, s23
	s_mov_b32 s12, 0
	s_delay_alu instid0(VALU_DEP_2) | instskip(SKIP_2) | instid1(VALU_DEP_3)
	v_mul_lo_u32 v1, v12, s21
	v_cmp_gt_u32_e32 vcc_lo, s20, v12
	v_cmp_le_u32_e64 s3, s20, v12
	v_lshlrev_b64 v[3:4], 1, v[1:2]
	s_delay_alu instid0(VALU_DEP_1) | instskip(NEXT) | instid1(VALU_DEP_1)
	v_add_co_u32 v12, s4, s18, v3
	v_add_co_ci_u32_e64 v13, s4, s19, v4, s4
	v_add_co_u32 v14, s4, s16, v3
	s_delay_alu instid0(VALU_DEP_1)
	v_add_co_ci_u32_e64 v15, s4, s17, v4, s4
	s_branch .LBB118_7
.LBB118_6:                              ;   in Loop: Header=BB118_7 Depth=2
	s_or_b32 exec_lo, exec_lo, s13
	ds_load_u16 v16, v8
	s_add_i32 s12, s12, s5
	s_waitcnt lgkmcnt(0)
	s_waitcnt_vscnt null, 0x0
	s_cmp_ge_u32 s12, s21
	s_barrier
	buffer_gl0_inv
	s_cbranch_scc1 .LBB118_3
.LBB118_7:                              ;   Parent Loop BB118_4 Depth=1
                                        ; =>  This Loop Header: Depth=2
                                        ;       Child Loop BB118_16 Depth 3
	v_add_nc_u32_e32 v1, s12, v5
	s_delay_alu instid0(VALU_DEP_1)
	v_add_nc_u32_e32 v3, s8, v1
	s_and_saveexec_b32 s13, vcc_lo
	s_cbranch_execz .LBB118_14
; %bb.8:                                ;   in Loop: Header=BB118_7 Depth=2
	v_mov_b32_e32 v4, s23
	s_mov_b32 s14, exec_lo
	v_cmpx_gt_u32_e64 s21, v1
	s_cbranch_execz .LBB118_10
; %bb.9:                                ;   in Loop: Header=BB118_7 Depth=2
	v_lshlrev_b64 v[17:18], 1, v[1:2]
	s_delay_alu instid0(VALU_DEP_1) | instskip(NEXT) | instid1(VALU_DEP_1)
	v_add_co_u32 v17, s4, v12, v17
	v_add_co_ci_u32_e64 v18, s4, v13, v18, s4
	global_load_u16 v4, v[17:18], off
.LBB118_10:                             ;   in Loop: Header=BB118_7 Depth=2
	s_or_b32 exec_lo, exec_lo, s14
	v_mov_b32_e32 v17, s23
	s_mov_b32 s14, exec_lo
	s_waitcnt vmcnt(0)
	ds_store_b16 v7, v4
	v_cmpx_gt_u32_e64 s21, v3
	s_cbranch_execz .LBB118_12
; %bb.11:                               ;   in Loop: Header=BB118_7 Depth=2
	v_mov_b32_e32 v4, v2
	s_delay_alu instid0(VALU_DEP_1) | instskip(NEXT) | instid1(VALU_DEP_1)
	v_lshlrev_b64 v[17:18], 1, v[3:4]
	v_add_co_u32 v17, s4, v12, v17
	s_delay_alu instid0(VALU_DEP_1)
	v_add_co_ci_u32_e64 v18, s4, v13, v18, s4
	global_load_u16 v17, v[17:18], off
.LBB118_12:                             ;   in Loop: Header=BB118_7 Depth=2
	s_or_b32 exec_lo, exec_lo, s14
	s_waitcnt vmcnt(0)
	ds_store_b16 v11, v17
	s_and_b32 exec_lo, exec_lo, s2
	s_cbranch_execz .LBB118_14
; %bb.13:                               ;   in Loop: Header=BB118_7 Depth=2
	ds_load_u16 v4, v10
	v_lshlrev_b32_e32 v16, 16, v16
	s_waitcnt lgkmcnt(0)
	v_lshlrev_b32_e32 v4, 16, v4
	s_delay_alu instid0(VALU_DEP_1) | instskip(NEXT) | instid1(VALU_DEP_1)
	v_add_f32_e32 v4, v16, v4
	v_bfe_u32 v16, v4, 16, 1
	v_cmp_o_f32_e64 s4, v4, v4
	s_delay_alu instid0(VALU_DEP_2) | instskip(NEXT) | instid1(VALU_DEP_1)
	v_add3_u32 v16, v4, v16, 0x7fff
	v_lshrrev_b32_e32 v16, 16, v16
	s_delay_alu instid0(VALU_DEP_1)
	v_cndmask_b32_e64 v4, 0x7fc0, v16, s4
	ds_store_b16 v10, v4
.LBB118_14:                             ;   in Loop: Header=BB118_7 Depth=2
	s_or_b32 exec_lo, exec_lo, s13
	v_mov_b32_e32 v4, 0
	s_mov_b32 s13, 0
	s_waitcnt lgkmcnt(0)
	s_barrier
	buffer_gl0_inv
	s_branch .LBB118_16
.LBB118_15:                             ;   in Loop: Header=BB118_16 Depth=3
	s_or_b32 exec_lo, exec_lo, s14
	s_delay_alu instid0(VALU_DEP_1) | instskip(SKIP_4) | instid1(SALU_CYCLE_1)
	v_cmp_eq_u32_e64 s4, s11, v4
	s_waitcnt lgkmcnt(0)
	s_barrier
	buffer_gl0_inv
	s_or_b32 s13, s4, s13
	s_and_not1_b32 exec_lo, exec_lo, s13
	s_cbranch_execz .LBB118_20
.LBB118_16:                             ;   Parent Loop BB118_4 Depth=1
                                        ;     Parent Loop BB118_7 Depth=2
                                        ; =>    This Inner Loop Header: Depth=3
	v_add_nc_u32_e32 v16, 1, v4
	s_and_saveexec_b32 s4, s3
	s_delay_alu instid0(SALU_CYCLE_1)
	s_xor_b32 s4, exec_lo, s4
; %bb.17:                               ;   in Loop: Header=BB118_16 Depth=3
	v_add_nc_u32_e32 v4, 1, v4
                                        ; implicit-def: $vgpr16
; %bb.18:                               ;   in Loop: Header=BB118_16 Depth=3
	s_and_not1_saveexec_b32 s14, s4
	s_cbranch_execz .LBB118_15
; %bb.19:                               ;   in Loop: Header=BB118_16 Depth=3
	s_delay_alu instid0(VALU_DEP_1) | instskip(SKIP_2) | instid1(VALU_DEP_2)
	v_lshlrev_b32_e64 v17, v4, 1
	v_lshrrev_b32_e32 v18, v4, v5
	v_bfm_b32 v4, v4, 0
	v_lshl_or_b32 v17, v18, v16, v17
	s_delay_alu instid0(VALU_DEP_2) | instskip(NEXT) | instid1(VALU_DEP_2)
	v_and_b32_e32 v4, v4, v5
	v_lshlrev_b32_e32 v17, 1, v17
	s_delay_alu instid0(VALU_DEP_2) | instskip(NEXT) | instid1(VALU_DEP_2)
	v_lshlrev_b32_e32 v4, 1, v4
	v_add_nc_u32_e32 v18, v6, v17
	s_delay_alu instid0(VALU_DEP_2)
	v_add3_u32 v17, v10, v17, v4
	ds_load_u16 v4, v18
	ds_load_u16 v18, v17
	s_waitcnt lgkmcnt(1)
	v_lshlrev_b32_e32 v4, 16, v4
	s_waitcnt lgkmcnt(0)
	v_lshlrev_b32_e32 v18, 16, v18
	s_delay_alu instid0(VALU_DEP_1) | instskip(NEXT) | instid1(VALU_DEP_1)
	v_add_f32_e32 v4, v18, v4
	v_bfe_u32 v18, v4, 16, 1
	v_cmp_o_f32_e64 s4, v4, v4
	s_delay_alu instid0(VALU_DEP_2) | instskip(SKIP_1) | instid1(VALU_DEP_2)
	v_add3_u32 v18, v4, v18, 0x7fff
	v_mov_b32_e32 v4, v16
	v_lshrrev_b32_e32 v18, 16, v18
	s_delay_alu instid0(VALU_DEP_1)
	v_cndmask_b32_e64 v18, 0x7fc0, v18, s4
	ds_store_b16 v17, v18
	s_branch .LBB118_15
.LBB118_20:                             ;   in Loop: Header=BB118_7 Depth=2
	s_or_b32 exec_lo, exec_lo, s13
	s_and_saveexec_b32 s13, vcc_lo
	s_cbranch_execz .LBB118_6
; %bb.21:                               ;   in Loop: Header=BB118_7 Depth=2
	s_mov_b32 s14, exec_lo
	v_cmpx_gt_u32_e64 s21, v1
	s_cbranch_execz .LBB118_23
; %bb.22:                               ;   in Loop: Header=BB118_7 Depth=2
	ds_load_u16 v4, v7
	v_lshlrev_b64 v[16:17], 1, v[1:2]
	s_delay_alu instid0(VALU_DEP_1) | instskip(NEXT) | instid1(VALU_DEP_1)
	v_add_co_u32 v16, s4, v14, v16
	v_add_co_ci_u32_e64 v17, s4, v15, v17, s4
	s_waitcnt lgkmcnt(0)
	global_store_b16 v[16:17], v4, off
.LBB118_23:                             ;   in Loop: Header=BB118_7 Depth=2
	s_or_b32 exec_lo, exec_lo, s14
	v_cmp_gt_u32_e64 s4, s21, v3
	s_delay_alu instid0(VALU_DEP_1)
	s_and_b32 exec_lo, exec_lo, s4
	s_cbranch_execz .LBB118_6
; %bb.24:                               ;   in Loop: Header=BB118_7 Depth=2
	ds_load_u16 v1, v11
	v_mov_b32_e32 v4, v2
	s_delay_alu instid0(VALU_DEP_1) | instskip(NEXT) | instid1(VALU_DEP_1)
	v_lshlrev_b64 v[3:4], 1, v[3:4]
	v_add_co_u32 v3, s4, v14, v3
	s_delay_alu instid0(VALU_DEP_1)
	v_add_co_ci_u32_e64 v4, s4, v15, v4, s4
	s_waitcnt lgkmcnt(0)
	global_store_b16 v[3:4], v1, off
	s_branch .LBB118_6
.LBB118_25:
	s_mov_b32 s2, 0
.LBB118_26:
	s_delay_alu instid0(SALU_CYCLE_1)
	s_and_not1_b32 vcc_lo, exec_lo, s2
	s_cbranch_vccnz .LBB118_53
; %bb.27:
	s_load_b32 s2, s[0:1], 0x2c
	s_add_u32 s0, s0, 32
	s_addc_u32 s1, s1, 0
	s_mov_b32 s7, 0
	s_waitcnt lgkmcnt(0)
	s_lshr_b32 s2, s2, 16
	s_delay_alu instid0(SALU_CYCLE_1) | instskip(SKIP_1) | instid1(SALU_CYCLE_1)
	s_mul_hi_u32 s5, s2, s15
	s_mul_i32 s4, s2, s15
	v_cmp_ge_u64_e64 s3, s[4:5], s[6:7]
	s_delay_alu instid0(VALU_DEP_1)
	s_and_b32 vcc_lo, exec_lo, s3
	s_cbranch_vccnz .LBB118_53
; %bb.28:
	s_load_b32 s1, s[0:1], 0x0
	v_dual_mov_b32 v1, 0 :: v_dual_and_b32 v0, 0x3ff, v0
	s_lshl_b32 s8, 1, s22
	s_and_b32 s2, 0xffff, s2
	s_ashr_i32 s9, s8, 31
	s_cmp_lg_u32 s21, 0
	v_lshl_add_u32 v11, v0, 1, v10
	s_cselect_b32 s3, -1, 0
	s_lshl_b64 s[12:13], s[8:9], 1
	v_cmp_eq_u32_e64 s0, 0, v0
	s_lshl_b32 s11, s12, 1
	v_lshl_add_u32 v13, s8, 1, v11
	v_add3_u32 v12, v10, s11, -2
	s_mov_b32 s10, s21
	s_mov_b32 s11, s7
	s_add_i32 s21, s22, 1
	s_waitcnt lgkmcnt(0)
	s_mul_i32 s20, s1, s2
	s_branch .LBB118_30
.LBB118_29:                             ;   in Loop: Header=BB118_30 Depth=1
	s_add_u32 s4, s4, s20
	s_addc_u32 s5, s5, 0
	s_delay_alu instid0(SALU_CYCLE_1) | instskip(NEXT) | instid1(VALU_DEP_1)
	v_cmp_ge_u64_e64 s1, s[4:5], s[6:7]
	s_and_b32 vcc_lo, exec_lo, s1
	s_cbranch_vccnz .LBB118_53
.LBB118_30:                             ; =>This Loop Header: Depth=1
                                        ;     Child Loop BB118_33 Depth 2
                                        ;       Child Loop BB118_43 Depth 3
	s_and_not1_b32 vcc_lo, exec_lo, s3
	s_cbranch_vccnz .LBB118_29
; %bb.31:                               ;   in Loop: Header=BB118_30 Depth=1
	v_add_co_u32 v2, s1, s4, v9
	s_delay_alu instid0(VALU_DEP_1) | instskip(SKIP_1) | instid1(VALU_DEP_2)
	v_add_co_ci_u32_e64 v3, null, s5, 0, s1
	s_mov_b64 s[14:15], 0
	v_mad_u64_u32 v[4:5], null, v2, s10, 0
	s_delay_alu instid0(VALU_DEP_2) | instskip(SKIP_1) | instid1(VALU_DEP_3)
	v_cmp_gt_u64_e64 s1, s[6:7], v[2:3]
	v_cmp_le_u64_e64 s2, s[6:7], v[2:3]
	v_mad_u64_u32 v[6:7], null, v3, s10, v[5:6]
	s_delay_alu instid0(VALU_DEP_1) | instskip(NEXT) | instid1(VALU_DEP_1)
	v_dual_mov_b32 v5, v6 :: v_dual_mov_b32 v6, s23
	v_lshlrev_b64 v[4:5], 1, v[4:5]
	s_delay_alu instid0(VALU_DEP_1) | instskip(NEXT) | instid1(VALU_DEP_2)
	v_add_co_u32 v14, vcc_lo, s18, v4
	v_add_co_ci_u32_e32 v15, vcc_lo, s19, v5, vcc_lo
	v_add_co_u32 v16, vcc_lo, s16, v4
	v_add_co_ci_u32_e32 v17, vcc_lo, s17, v5, vcc_lo
	s_branch .LBB118_33
.LBB118_32:                             ;   in Loop: Header=BB118_33 Depth=2
	s_or_b32 exec_lo, exec_lo, s22
	ds_load_u16 v6, v12
	s_add_u32 s14, s14, s12
	s_addc_u32 s15, s15, s13
	s_waitcnt lgkmcnt(0)
	s_waitcnt_vscnt null, 0x0
	v_cmp_ge_u64_e64 s22, s[14:15], s[10:11]
	s_barrier
	buffer_gl0_inv
	s_and_b32 vcc_lo, exec_lo, s22
	s_cbranch_vccnz .LBB118_29
.LBB118_33:                             ;   Parent Loop BB118_30 Depth=1
                                        ; =>  This Loop Header: Depth=2
                                        ;       Child Loop BB118_43 Depth 3
	v_add_co_u32 v4, s22, s14, v0
	s_delay_alu instid0(VALU_DEP_1) | instskip(NEXT) | instid1(VALU_DEP_2)
	v_add_co_ci_u32_e64 v5, null, s15, 0, s22
	v_add_co_u32 v2, vcc_lo, v4, s8
	s_delay_alu instid0(VALU_DEP_2)
	v_add_co_ci_u32_e32 v3, vcc_lo, s9, v5, vcc_lo
	s_and_saveexec_b32 s22, s1
	s_cbranch_execz .LBB118_40
; %bb.34:                               ;   in Loop: Header=BB118_33 Depth=2
	v_mov_b32_e32 v7, s23
	s_mov_b32 s24, exec_lo
	v_cmpx_gt_u64_e64 s[10:11], v[4:5]
	s_cbranch_execz .LBB118_36
; %bb.35:                               ;   in Loop: Header=BB118_33 Depth=2
	v_lshlrev_b64 v[7:8], 1, v[4:5]
	s_delay_alu instid0(VALU_DEP_1) | instskip(NEXT) | instid1(VALU_DEP_2)
	v_add_co_u32 v7, vcc_lo, v14, v7
	v_add_co_ci_u32_e32 v8, vcc_lo, v15, v8, vcc_lo
	global_load_u16 v7, v[7:8], off
.LBB118_36:                             ;   in Loop: Header=BB118_33 Depth=2
	s_or_b32 exec_lo, exec_lo, s24
	v_mov_b32_e32 v8, s23
	s_mov_b32 s24, exec_lo
	s_waitcnt vmcnt(0)
	ds_store_b16 v11, v7
	v_cmpx_gt_u64_e64 s[10:11], v[2:3]
	s_cbranch_execz .LBB118_38
; %bb.37:                               ;   in Loop: Header=BB118_33 Depth=2
	v_lshlrev_b64 v[7:8], 1, v[2:3]
	s_delay_alu instid0(VALU_DEP_1) | instskip(NEXT) | instid1(VALU_DEP_2)
	v_add_co_u32 v7, vcc_lo, v14, v7
	v_add_co_ci_u32_e32 v8, vcc_lo, v15, v8, vcc_lo
	global_load_u16 v8, v[7:8], off
.LBB118_38:                             ;   in Loop: Header=BB118_33 Depth=2
	s_or_b32 exec_lo, exec_lo, s24
	s_waitcnt vmcnt(0)
	ds_store_b16 v13, v8
	s_and_b32 exec_lo, exec_lo, s0
	s_cbranch_execz .LBB118_40
; %bb.39:                               ;   in Loop: Header=BB118_33 Depth=2
	ds_load_u16 v7, v10
	v_lshlrev_b32_e32 v6, 16, v6
	s_waitcnt lgkmcnt(0)
	v_lshlrev_b32_e32 v7, 16, v7
	s_delay_alu instid0(VALU_DEP_1) | instskip(NEXT) | instid1(VALU_DEP_1)
	v_add_f32_e32 v6, v6, v7
	v_bfe_u32 v7, v6, 16, 1
	v_cmp_o_f32_e32 vcc_lo, v6, v6
	s_delay_alu instid0(VALU_DEP_2) | instskip(NEXT) | instid1(VALU_DEP_1)
	v_add3_u32 v7, v6, v7, 0x7fff
	v_lshrrev_b32_e32 v7, 16, v7
	s_delay_alu instid0(VALU_DEP_1)
	v_cndmask_b32_e32 v6, 0x7fc0, v7, vcc_lo
	ds_store_b16 v10, v6
.LBB118_40:                             ;   in Loop: Header=BB118_33 Depth=2
	s_or_b32 exec_lo, exec_lo, s22
	v_mov_b32_e32 v19, 0
	s_mov_b32 s22, 0
	s_waitcnt lgkmcnt(0)
	s_barrier
	buffer_gl0_inv
	s_branch .LBB118_43
.LBB118_41:                             ;   in Loop: Header=BB118_43 Depth=3
	s_or_b32 exec_lo, exec_lo, s25
	v_lshrrev_b32_e32 v8, v19, v0
	s_delay_alu instid0(VALU_DEP_1) | instskip(NEXT) | instid1(VALU_DEP_1)
	v_lshl_or_b32 v6, v8, v18, v6
	v_lshl_add_u32 v6, v6, 1, v10
	s_delay_alu instid0(VALU_DEP_1)
	v_add_nc_u32_e32 v8, -2, v6
	v_lshl_add_u32 v6, v7, 1, v6
	ds_load_u16 v7, v8
	ds_load_u16 v8, v6
	s_waitcnt lgkmcnt(1)
	v_lshlrev_b32_e32 v7, 16, v7
	s_waitcnt lgkmcnt(0)
	v_lshlrev_b32_e32 v8, 16, v8
	s_delay_alu instid0(VALU_DEP_1) | instskip(NEXT) | instid1(VALU_DEP_1)
	v_add_f32_e32 v7, v8, v7
	v_bfe_u32 v8, v7, 16, 1
	v_cmp_o_f32_e32 vcc_lo, v7, v7
	s_delay_alu instid0(VALU_DEP_2) | instskip(NEXT) | instid1(VALU_DEP_1)
	v_add3_u32 v8, v7, v8, 0x7fff
	v_lshrrev_b32_e32 v8, 16, v8
	s_delay_alu instid0(VALU_DEP_1)
	v_cndmask_b32_e32 v7, 0x7fc0, v8, vcc_lo
	ds_store_b16 v6, v7
.LBB118_42:                             ;   in Loop: Header=BB118_43 Depth=3
	s_or_b32 exec_lo, exec_lo, s24
	s_delay_alu instid0(VALU_DEP_1)
	v_cmp_eq_u32_e32 vcc_lo, s21, v18
	v_mov_b32_e32 v19, v18
	s_waitcnt lgkmcnt(0)
	s_barrier
	buffer_gl0_inv
	s_or_b32 s22, vcc_lo, s22
	s_delay_alu instid0(SALU_CYCLE_1)
	s_and_not1_b32 exec_lo, exec_lo, s22
	s_cbranch_execz .LBB118_48
.LBB118_43:                             ;   Parent Loop BB118_30 Depth=1
                                        ;     Parent Loop BB118_33 Depth=2
                                        ; =>    This Inner Loop Header: Depth=3
	v_add_nc_u32_e32 v18, 1, v19
	s_and_saveexec_b32 s24, s2
	s_delay_alu instid0(SALU_CYCLE_1)
	s_xor_b32 s24, exec_lo, s24
; %bb.44:                               ;   in Loop: Header=BB118_43 Depth=3
	v_add_nc_u32_e32 v18, 1, v19
                                        ; implicit-def: $vgpr19
; %bb.45:                               ;   in Loop: Header=BB118_43 Depth=3
	s_and_not1_saveexec_b32 s24, s24
	s_cbranch_execz .LBB118_42
; %bb.46:                               ;   in Loop: Header=BB118_43 Depth=3
	v_lshlrev_b32_e64 v6, v19, 1
	s_delay_alu instid0(VALU_DEP_1) | instskip(NEXT) | instid1(VALU_DEP_1)
	v_ashrrev_i32_e32 v7, 31, v6
	v_cmp_ge_u64_e32 vcc_lo, v[0:1], v[6:7]
	v_dual_mov_b32 v8, v1 :: v_dual_mov_b32 v7, v0
	s_and_saveexec_b32 s25, vcc_lo
	s_cbranch_execz .LBB118_41
; %bb.47:                               ;   in Loop: Header=BB118_43 Depth=3
	v_cvt_f32_u32_e32 v7, v6
	v_sub_nc_u32_e32 v8, 0, v6
	s_delay_alu instid0(VALU_DEP_2) | instskip(SKIP_2) | instid1(VALU_DEP_1)
	v_rcp_iflag_f32_e32 v7, v7
	s_waitcnt_depctr 0xfff
	v_mul_f32_e32 v7, 0x4f7ffffe, v7
	v_cvt_u32_f32_e32 v7, v7
	s_delay_alu instid0(VALU_DEP_1) | instskip(NEXT) | instid1(VALU_DEP_1)
	v_mul_lo_u32 v8, v8, v7
	v_mul_hi_u32 v8, v7, v8
	s_delay_alu instid0(VALU_DEP_1) | instskip(NEXT) | instid1(VALU_DEP_1)
	v_add_nc_u32_e32 v7, v7, v8
	v_mul_hi_u32 v7, v0, v7
	s_delay_alu instid0(VALU_DEP_1) | instskip(NEXT) | instid1(VALU_DEP_1)
	v_mul_lo_u32 v7, v7, v6
	v_sub_nc_u32_e32 v7, v0, v7
	s_delay_alu instid0(VALU_DEP_1) | instskip(SKIP_1) | instid1(VALU_DEP_2)
	v_sub_nc_u32_e32 v8, v7, v6
	v_cmp_ge_u32_e32 vcc_lo, v7, v6
	v_cndmask_b32_e32 v7, v7, v8, vcc_lo
	s_delay_alu instid0(VALU_DEP_1) | instskip(SKIP_1) | instid1(VALU_DEP_2)
	v_sub_nc_u32_e32 v8, v7, v6
	v_cmp_ge_u32_e32 vcc_lo, v7, v6
	v_cndmask_b32_e32 v7, v7, v8, vcc_lo
	s_branch .LBB118_41
.LBB118_48:                             ;   in Loop: Header=BB118_33 Depth=2
	s_or_b32 exec_lo, exec_lo, s22
	s_and_saveexec_b32 s22, s1
	s_cbranch_execz .LBB118_32
; %bb.49:                               ;   in Loop: Header=BB118_33 Depth=2
	s_mov_b32 s24, exec_lo
	v_cmpx_gt_u64_e64 s[10:11], v[4:5]
	s_cbranch_execz .LBB118_51
; %bb.50:                               ;   in Loop: Header=BB118_33 Depth=2
	ds_load_u16 v6, v11
	v_lshlrev_b64 v[4:5], 1, v[4:5]
	s_delay_alu instid0(VALU_DEP_1) | instskip(NEXT) | instid1(VALU_DEP_2)
	v_add_co_u32 v4, vcc_lo, v16, v4
	v_add_co_ci_u32_e32 v5, vcc_lo, v17, v5, vcc_lo
	s_waitcnt lgkmcnt(0)
	global_store_b16 v[4:5], v6, off
.LBB118_51:                             ;   in Loop: Header=BB118_33 Depth=2
	s_or_b32 exec_lo, exec_lo, s24
	v_cmp_gt_u64_e32 vcc_lo, s[10:11], v[2:3]
	s_and_b32 exec_lo, exec_lo, vcc_lo
	s_cbranch_execz .LBB118_32
; %bb.52:                               ;   in Loop: Header=BB118_33 Depth=2
	ds_load_u16 v4, v13
	v_lshlrev_b64 v[2:3], 1, v[2:3]
	s_delay_alu instid0(VALU_DEP_1) | instskip(NEXT) | instid1(VALU_DEP_2)
	v_add_co_u32 v2, vcc_lo, v16, v2
	v_add_co_ci_u32_e32 v3, vcc_lo, v17, v3, vcc_lo
	s_waitcnt lgkmcnt(0)
	global_store_b16 v[2:3], v4, off
	s_branch .LBB118_32
.LBB118_53:
	s_endpgm
	.section	.rodata,"a",@progbits
	.p2align	6, 0x0
	.amdhsa_kernel _ZN2at6native32tensor_kernel_scan_innermost_dimIN3c108BFloat16ESt4plusIS3_EEEvPT_PKS6_jjjS6_T0_
		.amdhsa_group_segment_fixed_size 0
		.amdhsa_private_segment_fixed_size 0
		.amdhsa_kernarg_size 288
		.amdhsa_user_sgpr_count 15
		.amdhsa_user_sgpr_dispatch_ptr 0
		.amdhsa_user_sgpr_queue_ptr 0
		.amdhsa_user_sgpr_kernarg_segment_ptr 1
		.amdhsa_user_sgpr_dispatch_id 0
		.amdhsa_user_sgpr_private_segment_size 0
		.amdhsa_wavefront_size32 1
		.amdhsa_uses_dynamic_stack 0
		.amdhsa_enable_private_segment 0
		.amdhsa_system_sgpr_workgroup_id_x 1
		.amdhsa_system_sgpr_workgroup_id_y 0
		.amdhsa_system_sgpr_workgroup_id_z 0
		.amdhsa_system_sgpr_workgroup_info 0
		.amdhsa_system_vgpr_workitem_id 1
		.amdhsa_next_free_vgpr 20
		.amdhsa_next_free_sgpr 26
		.amdhsa_reserve_vcc 1
		.amdhsa_float_round_mode_32 0
		.amdhsa_float_round_mode_16_64 0
		.amdhsa_float_denorm_mode_32 3
		.amdhsa_float_denorm_mode_16_64 3
		.amdhsa_dx10_clamp 1
		.amdhsa_ieee_mode 1
		.amdhsa_fp16_overflow 0
		.amdhsa_workgroup_processor_mode 1
		.amdhsa_memory_ordered 1
		.amdhsa_forward_progress 0
		.amdhsa_shared_vgpr_count 0
		.amdhsa_exception_fp_ieee_invalid_op 0
		.amdhsa_exception_fp_denorm_src 0
		.amdhsa_exception_fp_ieee_div_zero 0
		.amdhsa_exception_fp_ieee_overflow 0
		.amdhsa_exception_fp_ieee_underflow 0
		.amdhsa_exception_fp_ieee_inexact 0
		.amdhsa_exception_int_div_zero 0
	.end_amdhsa_kernel
	.section	.text._ZN2at6native32tensor_kernel_scan_innermost_dimIN3c108BFloat16ESt4plusIS3_EEEvPT_PKS6_jjjS6_T0_,"axG",@progbits,_ZN2at6native32tensor_kernel_scan_innermost_dimIN3c108BFloat16ESt4plusIS3_EEEvPT_PKS6_jjjS6_T0_,comdat
.Lfunc_end118:
	.size	_ZN2at6native32tensor_kernel_scan_innermost_dimIN3c108BFloat16ESt4plusIS3_EEEvPT_PKS6_jjjS6_T0_, .Lfunc_end118-_ZN2at6native32tensor_kernel_scan_innermost_dimIN3c108BFloat16ESt4plusIS3_EEEvPT_PKS6_jjjS6_T0_
                                        ; -- End function
	.section	.AMDGPU.csdata,"",@progbits
; Kernel info:
; codeLenInByte = 2252
; NumSgprs: 28
; NumVgprs: 20
; ScratchSize: 0
; MemoryBound: 0
; FloatMode: 240
; IeeeMode: 1
; LDSByteSize: 0 bytes/workgroup (compile time only)
; SGPRBlocks: 3
; VGPRBlocks: 2
; NumSGPRsForWavesPerEU: 28
; NumVGPRsForWavesPerEU: 20
; Occupancy: 16
; WaveLimiterHint : 0
; COMPUTE_PGM_RSRC2:SCRATCH_EN: 0
; COMPUTE_PGM_RSRC2:USER_SGPR: 15
; COMPUTE_PGM_RSRC2:TRAP_HANDLER: 0
; COMPUTE_PGM_RSRC2:TGID_X_EN: 1
; COMPUTE_PGM_RSRC2:TGID_Y_EN: 0
; COMPUTE_PGM_RSRC2:TGID_Z_EN: 0
; COMPUTE_PGM_RSRC2:TIDIG_COMP_CNT: 1
	.section	.text._ZN2at6native28tensor_kernel_scan_outer_dimIN3c108BFloat16EjSt4plusIS3_EEEvPT_PKS6_jjjS6_T1_,"axG",@progbits,_ZN2at6native28tensor_kernel_scan_outer_dimIN3c108BFloat16EjSt4plusIS3_EEEvPT_PKS6_jjjS6_T1_,comdat
	.protected	_ZN2at6native28tensor_kernel_scan_outer_dimIN3c108BFloat16EjSt4plusIS3_EEEvPT_PKS6_jjjS6_T1_ ; -- Begin function _ZN2at6native28tensor_kernel_scan_outer_dimIN3c108BFloat16EjSt4plusIS3_EEEvPT_PKS6_jjjS6_T1_
	.globl	_ZN2at6native28tensor_kernel_scan_outer_dimIN3c108BFloat16EjSt4plusIS3_EEEvPT_PKS6_jjjS6_T1_
	.p2align	8
	.type	_ZN2at6native28tensor_kernel_scan_outer_dimIN3c108BFloat16EjSt4plusIS3_EEEvPT_PKS6_jjjS6_T1_,@function
_ZN2at6native28tensor_kernel_scan_outer_dimIN3c108BFloat16EjSt4plusIS3_EEEvPT_PKS6_jjjS6_T1_: ; @_ZN2at6native28tensor_kernel_scan_outer_dimIN3c108BFloat16EjSt4plusIS3_EEEvPT_PKS6_jjjS6_T1_
; %bb.0:
	s_load_b128 s[4:7], s[0:1], 0x10
	s_waitcnt lgkmcnt(0)
	s_cmp_ge_u32 s14, s4
	s_cbranch_scc1 .LBB119_9
; %bb.1:
	s_clause 0x2
	s_load_b32 s12, s[0:1], 0x2c
	s_load_b32 s20, s[0:1], 0x20
	s_load_b128 s[8:11], s[0:1], 0x0
	s_add_u32 s2, s0, 32
	s_addc_u32 s3, s1, 0
	s_mul_i32 s0, s14, s6
	v_mov_b32_e32 v3, 0
	s_mul_i32 s1, s0, s5
	s_mov_b32 s13, 0
	s_waitcnt lgkmcnt(0)
	s_and_b32 s21, s12, 0xffff
	s_mov_b32 s12, s5
	v_mad_u64_u32 v[1:2], null, s15, s21, v[0:1]
	s_cmp_lg_u32 s6, 0
	s_mul_i32 s22, s20, s6
	s_cselect_b32 s15, -1, 0
	s_mul_i32 s22, s22, s5
	s_lshl_b64 s[16:17], s[12:13], 1
	s_mov_b32 s12, s1
	s_delay_alu instid0(VALU_DEP_1)
	v_cmp_gt_u32_e64 s0, s5, v1
	s_branch .LBB119_3
.LBB119_2:                              ;   in Loop: Header=BB119_3 Depth=1
	s_set_inst_prefetch_distance 0x2
	s_or_b32 exec_lo, exec_lo, s23
	s_add_i32 s14, s20, s14
	s_add_i32 s12, s12, s22
	s_cmp_ge_u32 s14, s4
	s_cbranch_scc1 .LBB119_9
.LBB119_3:                              ; =>This Loop Header: Depth=1
                                        ;     Child Loop BB119_6 Depth 2
                                        ;       Child Loop BB119_8 Depth 3
	s_delay_alu instid0(VALU_DEP_1)
	s_and_saveexec_b32 s23, s0
	s_cbranch_execz .LBB119_2
; %bb.4:                                ;   in Loop: Header=BB119_3 Depth=1
	s_load_b32 s24, s[2:3], 0x4
	v_mov_b32_e32 v2, v1
	s_lshl_b64 s[18:19], s[12:13], 1
	s_mov_b32 s25, 0
	s_waitcnt lgkmcnt(0)
	s_mul_i32 s24, s24, s21
	s_set_inst_prefetch_distance 0x1
	s_branch .LBB119_6
	.p2align	6
.LBB119_5:                              ;   in Loop: Header=BB119_6 Depth=2
	v_add_nc_u32_e32 v2, s24, v2
	s_delay_alu instid0(VALU_DEP_1) | instskip(SKIP_1) | instid1(SALU_CYCLE_1)
	v_cmp_le_u32_e32 vcc_lo, s5, v2
	s_or_b32 s25, vcc_lo, s25
	s_and_not1_b32 exec_lo, exec_lo, s25
	s_cbranch_execz .LBB119_2
.LBB119_6:                              ;   Parent Loop BB119_3 Depth=1
                                        ; =>  This Loop Header: Depth=2
                                        ;       Child Loop BB119_8 Depth 3
	s_and_not1_b32 vcc_lo, exec_lo, s15
	s_cbranch_vccnz .LBB119_5
; %bb.7:                                ;   in Loop: Header=BB119_6 Depth=2
	v_lshlrev_b64 v[4:5], 1, v[2:3]
	s_mov_b32 s26, s6
	s_delay_alu instid0(VALU_DEP_1) | instskip(NEXT) | instid1(VALU_DEP_2)
	v_add_co_u32 v0, vcc_lo, s18, v4
	v_add_co_ci_u32_e32 v4, vcc_lo, s19, v5, vcc_lo
	v_mov_b32_e32 v5, s7
	.p2align	6
.LBB119_8:                              ;   Parent Loop BB119_3 Depth=1
                                        ;     Parent Loop BB119_6 Depth=2
                                        ; =>    This Inner Loop Header: Depth=3
	s_delay_alu instid0(VALU_DEP_3) | instskip(NEXT) | instid1(VALU_DEP_3)
	v_add_co_u32 v6, vcc_lo, s10, v0
	v_add_co_ci_u32_e32 v7, vcc_lo, s11, v4, vcc_lo
	s_delay_alu instid0(VALU_DEP_3) | instskip(SKIP_1) | instid1(SALU_CYCLE_1)
	v_lshlrev_b32_e32 v5, 16, v5
	s_add_i32 s26, s26, -1
	s_cmp_eq_u32 s26, 0
	global_load_u16 v6, v[6:7], off
	s_waitcnt vmcnt(0)
	v_lshlrev_b32_e32 v6, 16, v6
	s_delay_alu instid0(VALU_DEP_1) | instskip(SKIP_1) | instid1(VALU_DEP_2)
	v_add_f32_e32 v5, v5, v6
	v_add_co_u32 v6, vcc_lo, s8, v0
	v_bfe_u32 v7, v5, 16, 1
	v_cmp_o_f32_e64 s1, v5, v5
	s_delay_alu instid0(VALU_DEP_2) | instskip(SKIP_2) | instid1(VALU_DEP_3)
	v_add3_u32 v8, v5, v7, 0x7fff
	v_add_co_ci_u32_e32 v7, vcc_lo, s9, v4, vcc_lo
	v_add_co_u32 v0, vcc_lo, v0, s16
	v_lshrrev_b32_e32 v8, 16, v8
	v_add_co_ci_u32_e32 v4, vcc_lo, s17, v4, vcc_lo
	s_delay_alu instid0(VALU_DEP_2)
	v_cndmask_b32_e64 v5, 0x7fc0, v8, s1
	global_store_b16 v[6:7], v5, off
	s_cbranch_scc0 .LBB119_8
	s_branch .LBB119_5
.LBB119_9:
	s_nop 0
	s_sendmsg sendmsg(MSG_DEALLOC_VGPRS)
	s_endpgm
	.section	.rodata,"a",@progbits
	.p2align	6, 0x0
	.amdhsa_kernel _ZN2at6native28tensor_kernel_scan_outer_dimIN3c108BFloat16EjSt4plusIS3_EEEvPT_PKS6_jjjS6_T1_
		.amdhsa_group_segment_fixed_size 0
		.amdhsa_private_segment_fixed_size 0
		.amdhsa_kernarg_size 288
		.amdhsa_user_sgpr_count 14
		.amdhsa_user_sgpr_dispatch_ptr 0
		.amdhsa_user_sgpr_queue_ptr 0
		.amdhsa_user_sgpr_kernarg_segment_ptr 1
		.amdhsa_user_sgpr_dispatch_id 0
		.amdhsa_user_sgpr_private_segment_size 0
		.amdhsa_wavefront_size32 1
		.amdhsa_uses_dynamic_stack 0
		.amdhsa_enable_private_segment 0
		.amdhsa_system_sgpr_workgroup_id_x 1
		.amdhsa_system_sgpr_workgroup_id_y 1
		.amdhsa_system_sgpr_workgroup_id_z 0
		.amdhsa_system_sgpr_workgroup_info 0
		.amdhsa_system_vgpr_workitem_id 0
		.amdhsa_next_free_vgpr 9
		.amdhsa_next_free_sgpr 27
		.amdhsa_reserve_vcc 1
		.amdhsa_float_round_mode_32 0
		.amdhsa_float_round_mode_16_64 0
		.amdhsa_float_denorm_mode_32 3
		.amdhsa_float_denorm_mode_16_64 3
		.amdhsa_dx10_clamp 1
		.amdhsa_ieee_mode 1
		.amdhsa_fp16_overflow 0
		.amdhsa_workgroup_processor_mode 1
		.amdhsa_memory_ordered 1
		.amdhsa_forward_progress 0
		.amdhsa_shared_vgpr_count 0
		.amdhsa_exception_fp_ieee_invalid_op 0
		.amdhsa_exception_fp_denorm_src 0
		.amdhsa_exception_fp_ieee_div_zero 0
		.amdhsa_exception_fp_ieee_overflow 0
		.amdhsa_exception_fp_ieee_underflow 0
		.amdhsa_exception_fp_ieee_inexact 0
		.amdhsa_exception_int_div_zero 0
	.end_amdhsa_kernel
	.section	.text._ZN2at6native28tensor_kernel_scan_outer_dimIN3c108BFloat16EjSt4plusIS3_EEEvPT_PKS6_jjjS6_T1_,"axG",@progbits,_ZN2at6native28tensor_kernel_scan_outer_dimIN3c108BFloat16EjSt4plusIS3_EEEvPT_PKS6_jjjS6_T1_,comdat
.Lfunc_end119:
	.size	_ZN2at6native28tensor_kernel_scan_outer_dimIN3c108BFloat16EjSt4plusIS3_EEEvPT_PKS6_jjjS6_T1_, .Lfunc_end119-_ZN2at6native28tensor_kernel_scan_outer_dimIN3c108BFloat16EjSt4plusIS3_EEEvPT_PKS6_jjjS6_T1_
                                        ; -- End function
	.section	.AMDGPU.csdata,"",@progbits
; Kernel info:
; codeLenInByte = 432
; NumSgprs: 29
; NumVgprs: 9
; ScratchSize: 0
; MemoryBound: 0
; FloatMode: 240
; IeeeMode: 1
; LDSByteSize: 0 bytes/workgroup (compile time only)
; SGPRBlocks: 3
; VGPRBlocks: 1
; NumSGPRsForWavesPerEU: 29
; NumVGPRsForWavesPerEU: 9
; Occupancy: 16
; WaveLimiterHint : 0
; COMPUTE_PGM_RSRC2:SCRATCH_EN: 0
; COMPUTE_PGM_RSRC2:USER_SGPR: 14
; COMPUTE_PGM_RSRC2:TRAP_HANDLER: 0
; COMPUTE_PGM_RSRC2:TGID_X_EN: 1
; COMPUTE_PGM_RSRC2:TGID_Y_EN: 1
; COMPUTE_PGM_RSRC2:TGID_Z_EN: 0
; COMPUTE_PGM_RSRC2:TIDIG_COMP_CNT: 0
	.section	.text._ZN2at6native28tensor_kernel_scan_outer_dimIN3c108BFloat16EmSt4plusIS3_EEEvPT_PKS6_jjjS6_T1_,"axG",@progbits,_ZN2at6native28tensor_kernel_scan_outer_dimIN3c108BFloat16EmSt4plusIS3_EEEvPT_PKS6_jjjS6_T1_,comdat
	.protected	_ZN2at6native28tensor_kernel_scan_outer_dimIN3c108BFloat16EmSt4plusIS3_EEEvPT_PKS6_jjjS6_T1_ ; -- Begin function _ZN2at6native28tensor_kernel_scan_outer_dimIN3c108BFloat16EmSt4plusIS3_EEEvPT_PKS6_jjjS6_T1_
	.globl	_ZN2at6native28tensor_kernel_scan_outer_dimIN3c108BFloat16EmSt4plusIS3_EEEvPT_PKS6_jjjS6_T1_
	.p2align	8
	.type	_ZN2at6native28tensor_kernel_scan_outer_dimIN3c108BFloat16EmSt4plusIS3_EEEvPT_PKS6_jjjS6_T1_,@function
_ZN2at6native28tensor_kernel_scan_outer_dimIN3c108BFloat16EmSt4plusIS3_EEEvPT_PKS6_jjjS6_T1_: ; @_ZN2at6native28tensor_kernel_scan_outer_dimIN3c108BFloat16EmSt4plusIS3_EEEvPT_PKS6_jjjS6_T1_
; %bb.0:
	s_load_b128 s[4:7], s[0:1], 0x10
	s_waitcnt lgkmcnt(0)
	s_cmp_ge_u32 s14, s4
	s_cbranch_scc1 .LBB120_9
; %bb.1:
	s_clause 0x2
	s_load_b32 s12, s[0:1], 0x2c
	s_load_b128 s[8:11], s[0:1], 0x0
	s_load_b32 s18, s[0:1], 0x20
	s_add_u32 s2, s0, 32
	s_addc_u32 s3, s1, 0
	v_mov_b32_e32 v3, 0
	s_mov_b32 s17, 0
	s_mul_hi_u32 s13, s6, s5
	s_mov_b32 s16, s5
	s_waitcnt lgkmcnt(0)
	s_and_b32 s19, s12, 0xffff
	s_cmp_lg_u32 s6, 0
	v_mad_u64_u32 v[1:2], null, s15, s19, v[0:1]
	s_mul_i32 s12, s6, s5
	s_cselect_b32 s15, -1, 0
	s_lshl_b64 s[12:13], s[12:13], 1
	s_lshl_b64 s[16:17], s[16:17], 1
	s_delay_alu instid0(VALU_DEP_1)
	v_cmp_gt_u32_e64 s0, s5, v1
	s_branch .LBB120_3
.LBB120_2:                              ;   in Loop: Header=BB120_3 Depth=1
	s_set_inst_prefetch_distance 0x2
	s_or_b32 exec_lo, exec_lo, s20
	s_add_i32 s14, s14, s18
	s_delay_alu instid0(SALU_CYCLE_1)
	s_cmp_ge_u32 s14, s4
	s_cbranch_scc1 .LBB120_9
.LBB120_3:                              ; =>This Loop Header: Depth=1
                                        ;     Child Loop BB120_6 Depth 2
                                        ;       Child Loop BB120_8 Depth 3
	s_delay_alu instid0(VALU_DEP_1)
	s_and_saveexec_b32 s20, s0
	s_cbranch_execz .LBB120_2
; %bb.4:                                ;   in Loop: Header=BB120_3 Depth=1
	s_load_b32 s23, s[2:3], 0x4
	v_mov_b32_e32 v2, v1
	s_mul_i32 s1, s13, s14
	s_mul_hi_u32 s22, s12, s14
	s_mul_i32 s21, s12, s14
	s_add_i32 s22, s22, s1
	s_mov_b32 s24, 0
	s_waitcnt lgkmcnt(0)
	s_mul_i32 s23, s23, s19
	s_set_inst_prefetch_distance 0x1
	s_branch .LBB120_6
	.p2align	6
.LBB120_5:                              ;   in Loop: Header=BB120_6 Depth=2
	v_add_nc_u32_e32 v2, s23, v2
	s_delay_alu instid0(VALU_DEP_1) | instskip(SKIP_1) | instid1(SALU_CYCLE_1)
	v_cmp_le_u32_e32 vcc_lo, s5, v2
	s_or_b32 s24, vcc_lo, s24
	s_and_not1_b32 exec_lo, exec_lo, s24
	s_cbranch_execz .LBB120_2
.LBB120_6:                              ;   Parent Loop BB120_3 Depth=1
                                        ; =>  This Loop Header: Depth=2
                                        ;       Child Loop BB120_8 Depth 3
	s_and_not1_b32 vcc_lo, exec_lo, s15
	s_cbranch_vccnz .LBB120_5
; %bb.7:                                ;   in Loop: Header=BB120_6 Depth=2
	v_lshlrev_b64 v[4:5], 1, v[2:3]
	s_mov_b32 s25, s6
	s_delay_alu instid0(VALU_DEP_1) | instskip(NEXT) | instid1(VALU_DEP_2)
	v_add_co_u32 v0, vcc_lo, s21, v4
	v_add_co_ci_u32_e32 v4, vcc_lo, s22, v5, vcc_lo
	v_mov_b32_e32 v5, s7
	.p2align	6
.LBB120_8:                              ;   Parent Loop BB120_3 Depth=1
                                        ;     Parent Loop BB120_6 Depth=2
                                        ; =>    This Inner Loop Header: Depth=3
	s_delay_alu instid0(VALU_DEP_3) | instskip(NEXT) | instid1(VALU_DEP_3)
	v_add_co_u32 v6, vcc_lo, s10, v0
	v_add_co_ci_u32_e32 v7, vcc_lo, s11, v4, vcc_lo
	s_delay_alu instid0(VALU_DEP_3) | instskip(SKIP_1) | instid1(SALU_CYCLE_1)
	v_lshlrev_b32_e32 v5, 16, v5
	s_add_i32 s25, s25, -1
	s_cmp_eq_u32 s25, 0
	global_load_u16 v6, v[6:7], off
	s_waitcnt vmcnt(0)
	v_lshlrev_b32_e32 v6, 16, v6
	s_delay_alu instid0(VALU_DEP_1) | instskip(SKIP_1) | instid1(VALU_DEP_2)
	v_add_f32_e32 v5, v5, v6
	v_add_co_u32 v6, vcc_lo, s8, v0
	v_bfe_u32 v7, v5, 16, 1
	v_cmp_o_f32_e64 s1, v5, v5
	s_delay_alu instid0(VALU_DEP_2) | instskip(SKIP_2) | instid1(VALU_DEP_3)
	v_add3_u32 v8, v5, v7, 0x7fff
	v_add_co_ci_u32_e32 v7, vcc_lo, s9, v4, vcc_lo
	v_add_co_u32 v0, vcc_lo, v0, s16
	v_lshrrev_b32_e32 v8, 16, v8
	v_add_co_ci_u32_e32 v4, vcc_lo, s17, v4, vcc_lo
	s_delay_alu instid0(VALU_DEP_2)
	v_cndmask_b32_e64 v5, 0x7fc0, v8, s1
	global_store_b16 v[6:7], v5, off
	s_cbranch_scc0 .LBB120_8
	s_branch .LBB120_5
.LBB120_9:
	s_nop 0
	s_sendmsg sendmsg(MSG_DEALLOC_VGPRS)
	s_endpgm
	.section	.rodata,"a",@progbits
	.p2align	6, 0x0
	.amdhsa_kernel _ZN2at6native28tensor_kernel_scan_outer_dimIN3c108BFloat16EmSt4plusIS3_EEEvPT_PKS6_jjjS6_T1_
		.amdhsa_group_segment_fixed_size 0
		.amdhsa_private_segment_fixed_size 0
		.amdhsa_kernarg_size 288
		.amdhsa_user_sgpr_count 14
		.amdhsa_user_sgpr_dispatch_ptr 0
		.amdhsa_user_sgpr_queue_ptr 0
		.amdhsa_user_sgpr_kernarg_segment_ptr 1
		.amdhsa_user_sgpr_dispatch_id 0
		.amdhsa_user_sgpr_private_segment_size 0
		.amdhsa_wavefront_size32 1
		.amdhsa_uses_dynamic_stack 0
		.amdhsa_enable_private_segment 0
		.amdhsa_system_sgpr_workgroup_id_x 1
		.amdhsa_system_sgpr_workgroup_id_y 1
		.amdhsa_system_sgpr_workgroup_id_z 0
		.amdhsa_system_sgpr_workgroup_info 0
		.amdhsa_system_vgpr_workitem_id 0
		.amdhsa_next_free_vgpr 9
		.amdhsa_next_free_sgpr 26
		.amdhsa_reserve_vcc 1
		.amdhsa_float_round_mode_32 0
		.amdhsa_float_round_mode_16_64 0
		.amdhsa_float_denorm_mode_32 3
		.amdhsa_float_denorm_mode_16_64 3
		.amdhsa_dx10_clamp 1
		.amdhsa_ieee_mode 1
		.amdhsa_fp16_overflow 0
		.amdhsa_workgroup_processor_mode 1
		.amdhsa_memory_ordered 1
		.amdhsa_forward_progress 0
		.amdhsa_shared_vgpr_count 0
		.amdhsa_exception_fp_ieee_invalid_op 0
		.amdhsa_exception_fp_denorm_src 0
		.amdhsa_exception_fp_ieee_div_zero 0
		.amdhsa_exception_fp_ieee_overflow 0
		.amdhsa_exception_fp_ieee_underflow 0
		.amdhsa_exception_fp_ieee_inexact 0
		.amdhsa_exception_int_div_zero 0
	.end_amdhsa_kernel
	.section	.text._ZN2at6native28tensor_kernel_scan_outer_dimIN3c108BFloat16EmSt4plusIS3_EEEvPT_PKS6_jjjS6_T1_,"axG",@progbits,_ZN2at6native28tensor_kernel_scan_outer_dimIN3c108BFloat16EmSt4plusIS3_EEEvPT_PKS6_jjjS6_T1_,comdat
.Lfunc_end120:
	.size	_ZN2at6native28tensor_kernel_scan_outer_dimIN3c108BFloat16EmSt4plusIS3_EEEvPT_PKS6_jjjS6_T1_, .Lfunc_end120-_ZN2at6native28tensor_kernel_scan_outer_dimIN3c108BFloat16EmSt4plusIS3_EEEvPT_PKS6_jjjS6_T1_
                                        ; -- End function
	.section	.AMDGPU.csdata,"",@progbits
; Kernel info:
; codeLenInByte = 436
; NumSgprs: 28
; NumVgprs: 9
; ScratchSize: 0
; MemoryBound: 0
; FloatMode: 240
; IeeeMode: 1
; LDSByteSize: 0 bytes/workgroup (compile time only)
; SGPRBlocks: 3
; VGPRBlocks: 1
; NumSGPRsForWavesPerEU: 28
; NumVGPRsForWavesPerEU: 9
; Occupancy: 16
; WaveLimiterHint : 0
; COMPUTE_PGM_RSRC2:SCRATCH_EN: 0
; COMPUTE_PGM_RSRC2:USER_SGPR: 14
; COMPUTE_PGM_RSRC2:TRAP_HANDLER: 0
; COMPUTE_PGM_RSRC2:TGID_X_EN: 1
; COMPUTE_PGM_RSRC2:TGID_Y_EN: 1
; COMPUTE_PGM_RSRC2:TGID_Z_EN: 0
; COMPUTE_PGM_RSRC2:TIDIG_COMP_CNT: 0
	.text
	.p2alignl 7, 3214868480
	.fill 96, 4, 3214868480
	.type	__hip_cuid_afb8e5d7c8d1ecc6,@object ; @__hip_cuid_afb8e5d7c8d1ecc6
	.section	.bss,"aw",@nobits
	.globl	__hip_cuid_afb8e5d7c8d1ecc6
__hip_cuid_afb8e5d7c8d1ecc6:
	.byte	0                               ; 0x0
	.size	__hip_cuid_afb8e5d7c8d1ecc6, 1

	.ident	"AMD clang version 19.0.0git (https://github.com/RadeonOpenCompute/llvm-project roc-6.4.0 25133 c7fe45cf4b819c5991fe208aaa96edf142730f1d)"
	.section	".note.GNU-stack","",@progbits
	.addrsig
	.addrsig_sym __hip_cuid_afb8e5d7c8d1ecc6
	.amdgpu_metadata
---
amdhsa.kernels:
  - .args:
      - .address_space:  global
        .offset:         0
        .size:           8
        .value_kind:     global_buffer
      - .address_space:  global
        .offset:         8
        .size:           8
        .value_kind:     global_buffer
      - .offset:         16
        .size:           8
        .value_kind:     by_value
      - .offset:         24
        .size:           4
        .value_kind:     by_value
    .group_segment_fixed_size: 16
    .kernarg_segment_align: 8
    .kernarg_segment_size: 28
    .language:       OpenCL C
    .language_version:
      - 2
      - 0
    .max_flat_workgroup_size: 1024
    .name:           _ZN2at4cuda3cub15calc_block_sumsILi512ELi16ELb0EhhEEvPKT2_PT3_li
    .private_segment_fixed_size: 0
    .sgpr_count:     18
    .sgpr_spill_count: 0
    .symbol:         _ZN2at4cuda3cub15calc_block_sumsILi512ELi16ELb0EhhEEvPKT2_PT3_li.kd
    .uniform_work_group_size: 1
    .uses_dynamic_stack: false
    .vgpr_count:     37
    .vgpr_spill_count: 0
    .wavefront_size: 32
    .workgroup_processor_mode: 1
  - .args:
      - .address_space:  global
        .offset:         0
        .size:           8
        .value_kind:     global_buffer
      - .address_space:  global
        .offset:         8
        .size:           8
        .value_kind:     global_buffer
      - .address_space:  global
        .offset:         16
        .size:           8
        .value_kind:     global_buffer
      - .offset:         24
        .size:           8
        .value_kind:     by_value
      - .offset:         32
        .size:           4
        .value_kind:     by_value
      - .offset:         40
        .size:           4
        .value_kind:     hidden_block_count_x
      - .offset:         44
        .size:           4
        .value_kind:     hidden_block_count_y
      - .offset:         48
        .size:           4
        .value_kind:     hidden_block_count_z
      - .offset:         52
        .size:           2
        .value_kind:     hidden_group_size_x
      - .offset:         54
        .size:           2
        .value_kind:     hidden_group_size_y
      - .offset:         56
        .size:           2
        .value_kind:     hidden_group_size_z
      - .offset:         58
        .size:           2
        .value_kind:     hidden_remainder_x
      - .offset:         60
        .size:           2
        .value_kind:     hidden_remainder_y
      - .offset:         62
        .size:           2
        .value_kind:     hidden_remainder_z
      - .offset:         80
        .size:           8
        .value_kind:     hidden_global_offset_x
      - .offset:         88
        .size:           8
        .value_kind:     hidden_global_offset_y
      - .offset:         96
        .size:           8
        .value_kind:     hidden_global_offset_z
      - .offset:         104
        .size:           2
        .value_kind:     hidden_grid_dims
    .group_segment_fixed_size: 8448
    .kernarg_segment_align: 8
    .kernarg_segment_size: 296
    .language:       OpenCL C
    .language_version:
      - 2
      - 0
    .max_flat_workgroup_size: 1024
    .name:           _ZN2at4cuda3cub17final_scan_kernelILi512ELi16EhEEvPKT1_PS3_S6_li
    .private_segment_fixed_size: 0
    .sgpr_count:     29
    .sgpr_spill_count: 0
    .symbol:         _ZN2at4cuda3cub17final_scan_kernelILi512ELi16EhEEvPKT1_PS3_S6_li.kd
    .uniform_work_group_size: 1
    .uses_dynamic_stack: false
    .vgpr_count:     78
    .vgpr_spill_count: 0
    .wavefront_size: 32
    .workgroup_processor_mode: 1
  - .args:
      - .address_space:  global
        .offset:         0
        .size:           8
        .value_kind:     global_buffer
      - .offset:         8
        .size:           4
        .value_kind:     by_value
      - .offset:         12
        .size:           4
        .value_kind:     by_value
      - .address_space:  global
        .offset:         16
        .size:           8
        .value_kind:     global_buffer
      - .offset:         24
        .size:           4
        .value_kind:     hidden_block_count_x
      - .offset:         28
        .size:           4
        .value_kind:     hidden_block_count_y
      - .offset:         32
        .size:           4
        .value_kind:     hidden_block_count_z
      - .offset:         36
        .size:           2
        .value_kind:     hidden_group_size_x
      - .offset:         38
        .size:           2
        .value_kind:     hidden_group_size_y
      - .offset:         40
        .size:           2
        .value_kind:     hidden_group_size_z
      - .offset:         42
        .size:           2
        .value_kind:     hidden_remainder_x
      - .offset:         44
        .size:           2
        .value_kind:     hidden_remainder_y
      - .offset:         46
        .size:           2
        .value_kind:     hidden_remainder_z
      - .offset:         64
        .size:           8
        .value_kind:     hidden_global_offset_x
      - .offset:         72
        .size:           8
        .value_kind:     hidden_global_offset_y
      - .offset:         80
        .size:           8
        .value_kind:     hidden_global_offset_z
      - .offset:         88
        .size:           2
        .value_kind:     hidden_grid_dims
    .group_segment_fixed_size: 0
    .kernarg_segment_align: 8
    .kernarg_segment_size: 280
    .language:       OpenCL C
    .language_version:
      - 2
      - 0
    .max_flat_workgroup_size: 256
    .name:           _ZN7rocprim17ROCPRIM_304000_NS6detail31init_lookback_scan_state_kernelINS1_19lookback_scan_stateIhLb1ELb1EEEEEvT_jjPNS5_10value_typeE
    .private_segment_fixed_size: 0
    .sgpr_count:     18
    .sgpr_spill_count: 0
    .symbol:         _ZN7rocprim17ROCPRIM_304000_NS6detail31init_lookback_scan_state_kernelINS1_19lookback_scan_stateIhLb1ELb1EEEEEvT_jjPNS5_10value_typeE.kd
    .uniform_work_group_size: 1
    .uses_dynamic_stack: false
    .vgpr_count:     6
    .vgpr_spill_count: 0
    .wavefront_size: 32
    .workgroup_processor_mode: 1
  - .args:
      - .address_space:  global
        .offset:         0
        .size:           8
        .value_kind:     global_buffer
      - .offset:         8
        .size:           4
        .value_kind:     by_value
      - .offset:         12
        .size:           4
        .value_kind:     by_value
      - .address_space:  global
        .offset:         16
        .size:           8
        .value_kind:     global_buffer
      - .offset:         24
        .size:           4
        .value_kind:     hidden_block_count_x
      - .offset:         28
        .size:           4
        .value_kind:     hidden_block_count_y
      - .offset:         32
        .size:           4
        .value_kind:     hidden_block_count_z
      - .offset:         36
        .size:           2
        .value_kind:     hidden_group_size_x
      - .offset:         38
        .size:           2
        .value_kind:     hidden_group_size_y
      - .offset:         40
        .size:           2
        .value_kind:     hidden_group_size_z
      - .offset:         42
        .size:           2
        .value_kind:     hidden_remainder_x
      - .offset:         44
        .size:           2
        .value_kind:     hidden_remainder_y
      - .offset:         46
        .size:           2
        .value_kind:     hidden_remainder_z
      - .offset:         64
        .size:           8
        .value_kind:     hidden_global_offset_x
      - .offset:         72
        .size:           8
        .value_kind:     hidden_global_offset_y
      - .offset:         80
        .size:           8
        .value_kind:     hidden_global_offset_z
      - .offset:         88
        .size:           2
        .value_kind:     hidden_grid_dims
    .group_segment_fixed_size: 0
    .kernarg_segment_align: 8
    .kernarg_segment_size: 280
    .language:       OpenCL C
    .language_version:
      - 2
      - 0
    .max_flat_workgroup_size: 256
    .name:           _ZN7rocprim17ROCPRIM_304000_NS6detail31init_lookback_scan_state_kernelINS1_19lookback_scan_stateIhLb0ELb1EEEEEvT_jjPNS5_10value_typeE
    .private_segment_fixed_size: 0
    .sgpr_count:     18
    .sgpr_spill_count: 0
    .symbol:         _ZN7rocprim17ROCPRIM_304000_NS6detail31init_lookback_scan_state_kernelINS1_19lookback_scan_stateIhLb0ELb1EEEEEvT_jjPNS5_10value_typeE.kd
    .uniform_work_group_size: 1
    .uses_dynamic_stack: false
    .vgpr_count:     6
    .vgpr_spill_count: 0
    .wavefront_size: 32
    .workgroup_processor_mode: 1
  - .args:
      - .address_space:  global
        .offset:         0
        .size:           8
        .value_kind:     global_buffer
      - .address_space:  global
        .offset:         8
        .size:           8
        .value_kind:     global_buffer
      - .offset:         16
        .size:           8
        .value_kind:     by_value
      - .offset:         24
        .size:           1
        .value_kind:     by_value
      - .offset:         25
        .size:           1
        .value_kind:     by_value
      - .address_space:  global
        .offset:         32
        .size:           8
        .value_kind:     global_buffer
      - .offset:         40
        .size:           4
        .value_kind:     by_value
      - .address_space:  global
        .offset:         48
        .size:           8
        .value_kind:     global_buffer
      - .address_space:  global
        .offset:         56
        .size:           8
        .value_kind:     global_buffer
      - .offset:         64
        .size:           1
        .value_kind:     by_value
      - .offset:         65
        .size:           1
        .value_kind:     by_value
    .group_segment_fixed_size: 0
    .kernarg_segment_align: 8
    .kernarg_segment_size: 68
    .language:       OpenCL C
    .language_version:
      - 2
      - 0
    .max_flat_workgroup_size: 256
    .name:           _ZN7rocprim17ROCPRIM_304000_NS6detail20lookback_scan_kernelILNS1_25lookback_scan_determinismE0ELb0ENS1_19wrapped_scan_configINS0_14default_configEhEEPKhPhSt4plusIhEhhNS1_19lookback_scan_stateIhLb1ELb1EEEEEvT2_T3_mT5_T4_T7_jPT6_SK_bb
    .private_segment_fixed_size: 0
    .sgpr_count:     0
    .sgpr_spill_count: 0
    .symbol:         _ZN7rocprim17ROCPRIM_304000_NS6detail20lookback_scan_kernelILNS1_25lookback_scan_determinismE0ELb0ENS1_19wrapped_scan_configINS0_14default_configEhEEPKhPhSt4plusIhEhhNS1_19lookback_scan_stateIhLb1ELb1EEEEEvT2_T3_mT5_T4_T7_jPT6_SK_bb.kd
    .uniform_work_group_size: 1
    .uses_dynamic_stack: false
    .vgpr_count:     0
    .vgpr_spill_count: 0
    .wavefront_size: 32
    .workgroup_processor_mode: 1
  - .args:
      - .address_space:  global
        .offset:         0
        .size:           8
        .value_kind:     global_buffer
      - .address_space:  global
        .offset:         8
        .size:           8
        .value_kind:     global_buffer
      - .offset:         16
        .size:           8
        .value_kind:     by_value
      - .offset:         24
        .size:           1
        .value_kind:     by_value
      - .offset:         25
        .size:           1
        .value_kind:     by_value
      - .address_space:  global
        .offset:         32
        .size:           8
        .value_kind:     global_buffer
      - .offset:         40
        .size:           4
        .value_kind:     by_value
      - .address_space:  global
        .offset:         48
        .size:           8
        .value_kind:     global_buffer
      - .address_space:  global
        .offset:         56
        .size:           8
        .value_kind:     global_buffer
      - .offset:         64
        .size:           1
        .value_kind:     by_value
      - .offset:         65
        .size:           1
        .value_kind:     by_value
    .group_segment_fixed_size: 6144
    .kernarg_segment_align: 8
    .kernarg_segment_size: 68
    .language:       OpenCL C
    .language_version:
      - 2
      - 0
    .max_flat_workgroup_size: 256
    .name:           _ZN7rocprim17ROCPRIM_304000_NS6detail20lookback_scan_kernelILNS1_25lookback_scan_determinismE0ELb0ENS1_19wrapped_scan_configINS0_14default_configEhEEPKhPhSt4plusIhEhhNS1_19lookback_scan_stateIhLb0ELb1EEEEEvT2_T3_mT5_T4_T7_jPT6_SK_bb
    .private_segment_fixed_size: 0
    .sgpr_count:     19
    .sgpr_spill_count: 0
    .symbol:         _ZN7rocprim17ROCPRIM_304000_NS6detail20lookback_scan_kernelILNS1_25lookback_scan_determinismE0ELb0ENS1_19wrapped_scan_configINS0_14default_configEhEEPKhPhSt4plusIhEhhNS1_19lookback_scan_stateIhLb0ELb1EEEEEvT2_T3_mT5_T4_T7_jPT6_SK_bb.kd
    .uniform_work_group_size: 1
    .uses_dynamic_stack: false
    .vgpr_count:     53
    .vgpr_spill_count: 0
    .wavefront_size: 32
    .workgroup_processor_mode: 1
  - .args:
      - .address_space:  global
        .offset:         0
        .size:           8
        .value_kind:     global_buffer
      - .offset:         8
        .size:           8
        .value_kind:     by_value
      - .address_space:  global
        .offset:         16
        .size:           8
        .value_kind:     global_buffer
      - .offset:         24
        .size:           1
        .value_kind:     by_value
      - .offset:         32
        .size:           4
        .value_kind:     hidden_block_count_x
      - .offset:         36
        .size:           4
        .value_kind:     hidden_block_count_y
      - .offset:         40
        .size:           4
        .value_kind:     hidden_block_count_z
      - .offset:         44
        .size:           2
        .value_kind:     hidden_group_size_x
      - .offset:         46
        .size:           2
        .value_kind:     hidden_group_size_y
      - .offset:         48
        .size:           2
        .value_kind:     hidden_group_size_z
      - .offset:         50
        .size:           2
        .value_kind:     hidden_remainder_x
      - .offset:         52
        .size:           2
        .value_kind:     hidden_remainder_y
      - .offset:         54
        .size:           2
        .value_kind:     hidden_remainder_z
      - .offset:         72
        .size:           8
        .value_kind:     hidden_global_offset_x
      - .offset:         80
        .size:           8
        .value_kind:     hidden_global_offset_y
      - .offset:         88
        .size:           8
        .value_kind:     hidden_global_offset_z
      - .offset:         96
        .size:           2
        .value_kind:     hidden_grid_dims
    .group_segment_fixed_size: 0
    .kernarg_segment_align: 8
    .kernarg_segment_size: 288
    .language:       OpenCL C
    .language_version:
      - 2
      - 0
    .max_flat_workgroup_size: 1024
    .name:           _ZN7rocprim17ROCPRIM_304000_NS6detail16transform_kernelINS1_24wrapped_transform_configINS0_14default_configEhEEhPhS6_NS0_8identityIhEEEEvT1_mT2_T3_
    .private_segment_fixed_size: 0
    .sgpr_count:     18
    .sgpr_spill_count: 0
    .symbol:         _ZN7rocprim17ROCPRIM_304000_NS6detail16transform_kernelINS1_24wrapped_transform_configINS0_14default_configEhEEhPhS6_NS0_8identityIhEEEEvT1_mT2_T3_.kd
    .uniform_work_group_size: 1
    .uses_dynamic_stack: false
    .vgpr_count:     9
    .vgpr_spill_count: 0
    .wavefront_size: 32
    .workgroup_processor_mode: 1
  - .args:
      - .address_space:  global
        .offset:         0
        .size:           8
        .value_kind:     global_buffer
      - .offset:         8
        .size:           8
        .value_kind:     by_value
      - .offset:         16
        .size:           1
        .value_kind:     by_value
      - .address_space:  global
        .offset:         24
        .size:           8
        .value_kind:     global_buffer
      - .offset:         32
        .size:           1
        .value_kind:     by_value
    .group_segment_fixed_size: 6144
    .kernarg_segment_align: 8
    .kernarg_segment_size: 36
    .language:       OpenCL C
    .language_version:
      - 2
      - 0
    .max_flat_workgroup_size: 256
    .name:           _ZN7rocprim17ROCPRIM_304000_NS6detail18single_scan_kernelILb0ENS1_19wrapped_scan_configINS0_14default_configEhEEPKhPhSt4plusIhEhhEEvT1_mT4_T2_T3_
    .private_segment_fixed_size: 0
    .sgpr_count:     30
    .sgpr_spill_count: 0
    .symbol:         _ZN7rocprim17ROCPRIM_304000_NS6detail18single_scan_kernelILb0ENS1_19wrapped_scan_configINS0_14default_configEhEEPKhPhSt4plusIhEhhEEvT1_mT4_T2_T3_.kd
    .uniform_work_group_size: 1
    .uses_dynamic_stack: false
    .vgpr_count:     31
    .vgpr_spill_count: 0
    .wavefront_size: 32
    .workgroup_processor_mode: 1
  - .args:
      - .address_space:  global
        .offset:         0
        .size:           8
        .value_kind:     global_buffer
      - .address_space:  global
        .offset:         8
        .size:           8
        .value_kind:     global_buffer
      - .offset:         16
        .size:           4
        .value_kind:     by_value
      - .offset:         20
        .size:           4
        .value_kind:     by_value
      - .offset:         24
        .size:           4
        .value_kind:     by_value
      - .offset:         28
        .size:           1
        .value_kind:     by_value
      - .offset:         29
        .size:           1
        .value_kind:     by_value
      - .offset:         32
        .size:           4
        .value_kind:     hidden_block_count_x
      - .offset:         36
        .size:           4
        .value_kind:     hidden_block_count_y
      - .offset:         40
        .size:           4
        .value_kind:     hidden_block_count_z
      - .offset:         44
        .size:           2
        .value_kind:     hidden_group_size_x
      - .offset:         46
        .size:           2
        .value_kind:     hidden_group_size_y
      - .offset:         48
        .size:           2
        .value_kind:     hidden_group_size_z
      - .offset:         50
        .size:           2
        .value_kind:     hidden_remainder_x
      - .offset:         52
        .size:           2
        .value_kind:     hidden_remainder_y
      - .offset:         54
        .size:           2
        .value_kind:     hidden_remainder_z
      - .offset:         72
        .size:           8
        .value_kind:     hidden_global_offset_x
      - .offset:         80
        .size:           8
        .value_kind:     hidden_global_offset_y
      - .offset:         88
        .size:           8
        .value_kind:     hidden_global_offset_z
      - .offset:         96
        .size:           2
        .value_kind:     hidden_grid_dims
      - .offset:         152
        .size:           4
        .value_kind:     hidden_dynamic_lds_size
    .group_segment_fixed_size: 0
    .kernarg_segment_align: 8
    .kernarg_segment_size: 288
    .language:       OpenCL C
    .language_version:
      - 2
      - 0
    .max_flat_workgroup_size: 1024
    .name:           _ZN2at6native32tensor_kernel_scan_innermost_dimIhSt4plusIhEEEvPT_PKS4_jjjS4_T0_
    .private_segment_fixed_size: 0
    .sgpr_count:     28
    .sgpr_spill_count: 0
    .symbol:         _ZN2at6native32tensor_kernel_scan_innermost_dimIhSt4plusIhEEEvPT_PKS4_jjjS4_T0_.kd
    .uniform_work_group_size: 1
    .uses_dynamic_stack: false
    .vgpr_count:     20
    .vgpr_spill_count: 0
    .wavefront_size: 32
    .workgroup_processor_mode: 1
  - .args:
      - .address_space:  global
        .offset:         0
        .size:           8
        .value_kind:     global_buffer
      - .address_space:  global
        .offset:         8
        .size:           8
        .value_kind:     global_buffer
      - .offset:         16
        .size:           4
        .value_kind:     by_value
      - .offset:         20
        .size:           4
        .value_kind:     by_value
      - .offset:         24
        .size:           4
        .value_kind:     by_value
      - .offset:         28
        .size:           1
        .value_kind:     by_value
      - .offset:         29
        .size:           1
        .value_kind:     by_value
      - .offset:         32
        .size:           4
        .value_kind:     hidden_block_count_x
      - .offset:         36
        .size:           4
        .value_kind:     hidden_block_count_y
      - .offset:         40
        .size:           4
        .value_kind:     hidden_block_count_z
      - .offset:         44
        .size:           2
        .value_kind:     hidden_group_size_x
      - .offset:         46
        .size:           2
        .value_kind:     hidden_group_size_y
      - .offset:         48
        .size:           2
        .value_kind:     hidden_group_size_z
      - .offset:         50
        .size:           2
        .value_kind:     hidden_remainder_x
      - .offset:         52
        .size:           2
        .value_kind:     hidden_remainder_y
      - .offset:         54
        .size:           2
        .value_kind:     hidden_remainder_z
      - .offset:         72
        .size:           8
        .value_kind:     hidden_global_offset_x
      - .offset:         80
        .size:           8
        .value_kind:     hidden_global_offset_y
      - .offset:         88
        .size:           8
        .value_kind:     hidden_global_offset_z
      - .offset:         96
        .size:           2
        .value_kind:     hidden_grid_dims
    .group_segment_fixed_size: 0
    .kernarg_segment_align: 8
    .kernarg_segment_size: 288
    .language:       OpenCL C
    .language_version:
      - 2
      - 0
    .max_flat_workgroup_size: 1024
    .name:           _ZN2at6native28tensor_kernel_scan_outer_dimIhjSt4plusIhEEEvPT_PKS4_jjjS4_T1_
    .private_segment_fixed_size: 0
    .sgpr_count:     24
    .sgpr_spill_count: 0
    .symbol:         _ZN2at6native28tensor_kernel_scan_outer_dimIhjSt4plusIhEEEvPT_PKS4_jjjS4_T1_.kd
    .uniform_work_group_size: 1
    .uses_dynamic_stack: false
    .vgpr_count:     8
    .vgpr_spill_count: 0
    .wavefront_size: 32
    .workgroup_processor_mode: 1
  - .args:
      - .address_space:  global
        .offset:         0
        .size:           8
        .value_kind:     global_buffer
      - .address_space:  global
        .offset:         8
        .size:           8
        .value_kind:     global_buffer
      - .offset:         16
        .size:           4
        .value_kind:     by_value
      - .offset:         20
        .size:           4
        .value_kind:     by_value
      - .offset:         24
        .size:           4
        .value_kind:     by_value
      - .offset:         28
        .size:           1
        .value_kind:     by_value
      - .offset:         29
        .size:           1
        .value_kind:     by_value
      - .offset:         32
        .size:           4
        .value_kind:     hidden_block_count_x
      - .offset:         36
        .size:           4
        .value_kind:     hidden_block_count_y
      - .offset:         40
        .size:           4
        .value_kind:     hidden_block_count_z
      - .offset:         44
        .size:           2
        .value_kind:     hidden_group_size_x
      - .offset:         46
        .size:           2
        .value_kind:     hidden_group_size_y
      - .offset:         48
        .size:           2
        .value_kind:     hidden_group_size_z
      - .offset:         50
        .size:           2
        .value_kind:     hidden_remainder_x
      - .offset:         52
        .size:           2
        .value_kind:     hidden_remainder_y
      - .offset:         54
        .size:           2
        .value_kind:     hidden_remainder_z
      - .offset:         72
        .size:           8
        .value_kind:     hidden_global_offset_x
      - .offset:         80
        .size:           8
        .value_kind:     hidden_global_offset_y
      - .offset:         88
        .size:           8
        .value_kind:     hidden_global_offset_z
      - .offset:         96
        .size:           2
        .value_kind:     hidden_grid_dims
    .group_segment_fixed_size: 0
    .kernarg_segment_align: 8
    .kernarg_segment_size: 288
    .language:       OpenCL C
    .language_version:
      - 2
      - 0
    .max_flat_workgroup_size: 1024
    .name:           _ZN2at6native28tensor_kernel_scan_outer_dimIhmSt4plusIhEEEvPT_PKS4_jjjS4_T1_
    .private_segment_fixed_size: 0
    .sgpr_count:     26
    .sgpr_spill_count: 0
    .symbol:         _ZN2at6native28tensor_kernel_scan_outer_dimIhmSt4plusIhEEEvPT_PKS4_jjjS4_T1_.kd
    .uniform_work_group_size: 1
    .uses_dynamic_stack: false
    .vgpr_count:     8
    .vgpr_spill_count: 0
    .wavefront_size: 32
    .workgroup_processor_mode: 1
  - .args:
      - .address_space:  global
        .offset:         0
        .size:           8
        .value_kind:     global_buffer
      - .address_space:  global
        .offset:         8
        .size:           8
        .value_kind:     global_buffer
      - .offset:         16
        .size:           8
        .value_kind:     by_value
      - .offset:         24
        .size:           4
        .value_kind:     by_value
    .group_segment_fixed_size: 16
    .kernarg_segment_align: 8
    .kernarg_segment_size: 28
    .language:       OpenCL C
    .language_version:
      - 2
      - 0
    .max_flat_workgroup_size: 1024
    .name:           _ZN2at4cuda3cub15calc_block_sumsILi512ELi16ELb0EaaEEvPKT2_PT3_li
    .private_segment_fixed_size: 0
    .sgpr_count:     18
    .sgpr_spill_count: 0
    .symbol:         _ZN2at4cuda3cub15calc_block_sumsILi512ELi16ELb0EaaEEvPKT2_PT3_li.kd
    .uniform_work_group_size: 1
    .uses_dynamic_stack: false
    .vgpr_count:     37
    .vgpr_spill_count: 0
    .wavefront_size: 32
    .workgroup_processor_mode: 1
  - .args:
      - .address_space:  global
        .offset:         0
        .size:           8
        .value_kind:     global_buffer
      - .address_space:  global
        .offset:         8
        .size:           8
        .value_kind:     global_buffer
      - .address_space:  global
        .offset:         16
        .size:           8
        .value_kind:     global_buffer
      - .offset:         24
        .size:           8
        .value_kind:     by_value
      - .offset:         32
        .size:           4
        .value_kind:     by_value
      - .offset:         40
        .size:           4
        .value_kind:     hidden_block_count_x
      - .offset:         44
        .size:           4
        .value_kind:     hidden_block_count_y
      - .offset:         48
        .size:           4
        .value_kind:     hidden_block_count_z
      - .offset:         52
        .size:           2
        .value_kind:     hidden_group_size_x
      - .offset:         54
        .size:           2
        .value_kind:     hidden_group_size_y
      - .offset:         56
        .size:           2
        .value_kind:     hidden_group_size_z
      - .offset:         58
        .size:           2
        .value_kind:     hidden_remainder_x
      - .offset:         60
        .size:           2
        .value_kind:     hidden_remainder_y
      - .offset:         62
        .size:           2
        .value_kind:     hidden_remainder_z
      - .offset:         80
        .size:           8
        .value_kind:     hidden_global_offset_x
      - .offset:         88
        .size:           8
        .value_kind:     hidden_global_offset_y
      - .offset:         96
        .size:           8
        .value_kind:     hidden_global_offset_z
      - .offset:         104
        .size:           2
        .value_kind:     hidden_grid_dims
    .group_segment_fixed_size: 8448
    .kernarg_segment_align: 8
    .kernarg_segment_size: 296
    .language:       OpenCL C
    .language_version:
      - 2
      - 0
    .max_flat_workgroup_size: 1024
    .name:           _ZN2at4cuda3cub17final_scan_kernelILi512ELi16EaEEvPKT1_PS3_S6_li
    .private_segment_fixed_size: 0
    .sgpr_count:     29
    .sgpr_spill_count: 0
    .symbol:         _ZN2at4cuda3cub17final_scan_kernelILi512ELi16EaEEvPKT1_PS3_S6_li.kd
    .uniform_work_group_size: 1
    .uses_dynamic_stack: false
    .vgpr_count:     78
    .vgpr_spill_count: 0
    .wavefront_size: 32
    .workgroup_processor_mode: 1
  - .args:
      - .address_space:  global
        .offset:         0
        .size:           8
        .value_kind:     global_buffer
      - .offset:         8
        .size:           4
        .value_kind:     by_value
      - .offset:         12
        .size:           4
        .value_kind:     by_value
      - .address_space:  global
        .offset:         16
        .size:           8
        .value_kind:     global_buffer
      - .offset:         24
        .size:           4
        .value_kind:     hidden_block_count_x
      - .offset:         28
        .size:           4
        .value_kind:     hidden_block_count_y
      - .offset:         32
        .size:           4
        .value_kind:     hidden_block_count_z
      - .offset:         36
        .size:           2
        .value_kind:     hidden_group_size_x
      - .offset:         38
        .size:           2
        .value_kind:     hidden_group_size_y
      - .offset:         40
        .size:           2
        .value_kind:     hidden_group_size_z
      - .offset:         42
        .size:           2
        .value_kind:     hidden_remainder_x
      - .offset:         44
        .size:           2
        .value_kind:     hidden_remainder_y
      - .offset:         46
        .size:           2
        .value_kind:     hidden_remainder_z
      - .offset:         64
        .size:           8
        .value_kind:     hidden_global_offset_x
      - .offset:         72
        .size:           8
        .value_kind:     hidden_global_offset_y
      - .offset:         80
        .size:           8
        .value_kind:     hidden_global_offset_z
      - .offset:         88
        .size:           2
        .value_kind:     hidden_grid_dims
    .group_segment_fixed_size: 0
    .kernarg_segment_align: 8
    .kernarg_segment_size: 280
    .language:       OpenCL C
    .language_version:
      - 2
      - 0
    .max_flat_workgroup_size: 256
    .name:           _ZN7rocprim17ROCPRIM_304000_NS6detail31init_lookback_scan_state_kernelINS1_19lookback_scan_stateIaLb1ELb1EEEEEvT_jjPNS5_10value_typeE
    .private_segment_fixed_size: 0
    .sgpr_count:     18
    .sgpr_spill_count: 0
    .symbol:         _ZN7rocprim17ROCPRIM_304000_NS6detail31init_lookback_scan_state_kernelINS1_19lookback_scan_stateIaLb1ELb1EEEEEvT_jjPNS5_10value_typeE.kd
    .uniform_work_group_size: 1
    .uses_dynamic_stack: false
    .vgpr_count:     6
    .vgpr_spill_count: 0
    .wavefront_size: 32
    .workgroup_processor_mode: 1
  - .args:
      - .address_space:  global
        .offset:         0
        .size:           8
        .value_kind:     global_buffer
      - .offset:         8
        .size:           4
        .value_kind:     by_value
      - .offset:         12
        .size:           4
        .value_kind:     by_value
      - .address_space:  global
        .offset:         16
        .size:           8
        .value_kind:     global_buffer
      - .offset:         24
        .size:           4
        .value_kind:     hidden_block_count_x
      - .offset:         28
        .size:           4
        .value_kind:     hidden_block_count_y
      - .offset:         32
        .size:           4
        .value_kind:     hidden_block_count_z
      - .offset:         36
        .size:           2
        .value_kind:     hidden_group_size_x
      - .offset:         38
        .size:           2
        .value_kind:     hidden_group_size_y
      - .offset:         40
        .size:           2
        .value_kind:     hidden_group_size_z
      - .offset:         42
        .size:           2
        .value_kind:     hidden_remainder_x
      - .offset:         44
        .size:           2
        .value_kind:     hidden_remainder_y
      - .offset:         46
        .size:           2
        .value_kind:     hidden_remainder_z
      - .offset:         64
        .size:           8
        .value_kind:     hidden_global_offset_x
      - .offset:         72
        .size:           8
        .value_kind:     hidden_global_offset_y
      - .offset:         80
        .size:           8
        .value_kind:     hidden_global_offset_z
      - .offset:         88
        .size:           2
        .value_kind:     hidden_grid_dims
    .group_segment_fixed_size: 0
    .kernarg_segment_align: 8
    .kernarg_segment_size: 280
    .language:       OpenCL C
    .language_version:
      - 2
      - 0
    .max_flat_workgroup_size: 256
    .name:           _ZN7rocprim17ROCPRIM_304000_NS6detail31init_lookback_scan_state_kernelINS1_19lookback_scan_stateIaLb0ELb1EEEEEvT_jjPNS5_10value_typeE
    .private_segment_fixed_size: 0
    .sgpr_count:     18
    .sgpr_spill_count: 0
    .symbol:         _ZN7rocprim17ROCPRIM_304000_NS6detail31init_lookback_scan_state_kernelINS1_19lookback_scan_stateIaLb0ELb1EEEEEvT_jjPNS5_10value_typeE.kd
    .uniform_work_group_size: 1
    .uses_dynamic_stack: false
    .vgpr_count:     6
    .vgpr_spill_count: 0
    .wavefront_size: 32
    .workgroup_processor_mode: 1
  - .args:
      - .address_space:  global
        .offset:         0
        .size:           8
        .value_kind:     global_buffer
      - .address_space:  global
        .offset:         8
        .size:           8
        .value_kind:     global_buffer
      - .offset:         16
        .size:           8
        .value_kind:     by_value
      - .offset:         24
        .size:           1
        .value_kind:     by_value
      - .offset:         25
        .size:           1
        .value_kind:     by_value
      - .address_space:  global
        .offset:         32
        .size:           8
        .value_kind:     global_buffer
      - .offset:         40
        .size:           4
        .value_kind:     by_value
      - .address_space:  global
        .offset:         48
        .size:           8
        .value_kind:     global_buffer
      - .address_space:  global
        .offset:         56
        .size:           8
        .value_kind:     global_buffer
      - .offset:         64
        .size:           1
        .value_kind:     by_value
      - .offset:         65
        .size:           1
        .value_kind:     by_value
    .group_segment_fixed_size: 0
    .kernarg_segment_align: 8
    .kernarg_segment_size: 68
    .language:       OpenCL C
    .language_version:
      - 2
      - 0
    .max_flat_workgroup_size: 256
    .name:           _ZN7rocprim17ROCPRIM_304000_NS6detail20lookback_scan_kernelILNS1_25lookback_scan_determinismE0ELb0ENS1_19wrapped_scan_configINS0_14default_configEaEEPKaPaSt4plusIaEaaNS1_19lookback_scan_stateIaLb1ELb1EEEEEvT2_T3_mT5_T4_T7_jPT6_SK_bb
    .private_segment_fixed_size: 0
    .sgpr_count:     0
    .sgpr_spill_count: 0
    .symbol:         _ZN7rocprim17ROCPRIM_304000_NS6detail20lookback_scan_kernelILNS1_25lookback_scan_determinismE0ELb0ENS1_19wrapped_scan_configINS0_14default_configEaEEPKaPaSt4plusIaEaaNS1_19lookback_scan_stateIaLb1ELb1EEEEEvT2_T3_mT5_T4_T7_jPT6_SK_bb.kd
    .uniform_work_group_size: 1
    .uses_dynamic_stack: false
    .vgpr_count:     0
    .vgpr_spill_count: 0
    .wavefront_size: 32
    .workgroup_processor_mode: 1
  - .args:
      - .address_space:  global
        .offset:         0
        .size:           8
        .value_kind:     global_buffer
      - .address_space:  global
        .offset:         8
        .size:           8
        .value_kind:     global_buffer
      - .offset:         16
        .size:           8
        .value_kind:     by_value
      - .offset:         24
        .size:           1
        .value_kind:     by_value
      - .offset:         25
        .size:           1
        .value_kind:     by_value
      - .address_space:  global
        .offset:         32
        .size:           8
        .value_kind:     global_buffer
      - .offset:         40
        .size:           4
        .value_kind:     by_value
      - .address_space:  global
        .offset:         48
        .size:           8
        .value_kind:     global_buffer
      - .address_space:  global
        .offset:         56
        .size:           8
        .value_kind:     global_buffer
      - .offset:         64
        .size:           1
        .value_kind:     by_value
      - .offset:         65
        .size:           1
        .value_kind:     by_value
    .group_segment_fixed_size: 6144
    .kernarg_segment_align: 8
    .kernarg_segment_size: 68
    .language:       OpenCL C
    .language_version:
      - 2
      - 0
    .max_flat_workgroup_size: 256
    .name:           _ZN7rocprim17ROCPRIM_304000_NS6detail20lookback_scan_kernelILNS1_25lookback_scan_determinismE0ELb0ENS1_19wrapped_scan_configINS0_14default_configEaEEPKaPaSt4plusIaEaaNS1_19lookback_scan_stateIaLb0ELb1EEEEEvT2_T3_mT5_T4_T7_jPT6_SK_bb
    .private_segment_fixed_size: 0
    .sgpr_count:     19
    .sgpr_spill_count: 0
    .symbol:         _ZN7rocprim17ROCPRIM_304000_NS6detail20lookback_scan_kernelILNS1_25lookback_scan_determinismE0ELb0ENS1_19wrapped_scan_configINS0_14default_configEaEEPKaPaSt4plusIaEaaNS1_19lookback_scan_stateIaLb0ELb1EEEEEvT2_T3_mT5_T4_T7_jPT6_SK_bb.kd
    .uniform_work_group_size: 1
    .uses_dynamic_stack: false
    .vgpr_count:     53
    .vgpr_spill_count: 0
    .wavefront_size: 32
    .workgroup_processor_mode: 1
  - .args:
      - .address_space:  global
        .offset:         0
        .size:           8
        .value_kind:     global_buffer
      - .offset:         8
        .size:           8
        .value_kind:     by_value
      - .address_space:  global
        .offset:         16
        .size:           8
        .value_kind:     global_buffer
      - .offset:         24
        .size:           1
        .value_kind:     by_value
      - .offset:         32
        .size:           4
        .value_kind:     hidden_block_count_x
      - .offset:         36
        .size:           4
        .value_kind:     hidden_block_count_y
      - .offset:         40
        .size:           4
        .value_kind:     hidden_block_count_z
      - .offset:         44
        .size:           2
        .value_kind:     hidden_group_size_x
      - .offset:         46
        .size:           2
        .value_kind:     hidden_group_size_y
      - .offset:         48
        .size:           2
        .value_kind:     hidden_group_size_z
      - .offset:         50
        .size:           2
        .value_kind:     hidden_remainder_x
      - .offset:         52
        .size:           2
        .value_kind:     hidden_remainder_y
      - .offset:         54
        .size:           2
        .value_kind:     hidden_remainder_z
      - .offset:         72
        .size:           8
        .value_kind:     hidden_global_offset_x
      - .offset:         80
        .size:           8
        .value_kind:     hidden_global_offset_y
      - .offset:         88
        .size:           8
        .value_kind:     hidden_global_offset_z
      - .offset:         96
        .size:           2
        .value_kind:     hidden_grid_dims
    .group_segment_fixed_size: 0
    .kernarg_segment_align: 8
    .kernarg_segment_size: 288
    .language:       OpenCL C
    .language_version:
      - 2
      - 0
    .max_flat_workgroup_size: 1024
    .name:           _ZN7rocprim17ROCPRIM_304000_NS6detail16transform_kernelINS1_24wrapped_transform_configINS0_14default_configEaEEaPaS6_NS0_8identityIaEEEEvT1_mT2_T3_
    .private_segment_fixed_size: 0
    .sgpr_count:     18
    .sgpr_spill_count: 0
    .symbol:         _ZN7rocprim17ROCPRIM_304000_NS6detail16transform_kernelINS1_24wrapped_transform_configINS0_14default_configEaEEaPaS6_NS0_8identityIaEEEEvT1_mT2_T3_.kd
    .uniform_work_group_size: 1
    .uses_dynamic_stack: false
    .vgpr_count:     9
    .vgpr_spill_count: 0
    .wavefront_size: 32
    .workgroup_processor_mode: 1
  - .args:
      - .address_space:  global
        .offset:         0
        .size:           8
        .value_kind:     global_buffer
      - .offset:         8
        .size:           8
        .value_kind:     by_value
      - .offset:         16
        .size:           1
        .value_kind:     by_value
      - .address_space:  global
        .offset:         24
        .size:           8
        .value_kind:     global_buffer
      - .offset:         32
        .size:           1
        .value_kind:     by_value
    .group_segment_fixed_size: 6144
    .kernarg_segment_align: 8
    .kernarg_segment_size: 36
    .language:       OpenCL C
    .language_version:
      - 2
      - 0
    .max_flat_workgroup_size: 256
    .name:           _ZN7rocprim17ROCPRIM_304000_NS6detail18single_scan_kernelILb0ENS1_19wrapped_scan_configINS0_14default_configEaEEPKaPaSt4plusIaEaaEEvT1_mT4_T2_T3_
    .private_segment_fixed_size: 0
    .sgpr_count:     30
    .sgpr_spill_count: 0
    .symbol:         _ZN7rocprim17ROCPRIM_304000_NS6detail18single_scan_kernelILb0ENS1_19wrapped_scan_configINS0_14default_configEaEEPKaPaSt4plusIaEaaEEvT1_mT4_T2_T3_.kd
    .uniform_work_group_size: 1
    .uses_dynamic_stack: false
    .vgpr_count:     31
    .vgpr_spill_count: 0
    .wavefront_size: 32
    .workgroup_processor_mode: 1
  - .args:
      - .address_space:  global
        .offset:         0
        .size:           8
        .value_kind:     global_buffer
      - .address_space:  global
        .offset:         8
        .size:           8
        .value_kind:     global_buffer
      - .offset:         16
        .size:           4
        .value_kind:     by_value
      - .offset:         20
        .size:           4
        .value_kind:     by_value
      - .offset:         24
        .size:           4
        .value_kind:     by_value
      - .offset:         28
        .size:           1
        .value_kind:     by_value
      - .offset:         29
        .size:           1
        .value_kind:     by_value
      - .offset:         32
        .size:           4
        .value_kind:     hidden_block_count_x
      - .offset:         36
        .size:           4
        .value_kind:     hidden_block_count_y
      - .offset:         40
        .size:           4
        .value_kind:     hidden_block_count_z
      - .offset:         44
        .size:           2
        .value_kind:     hidden_group_size_x
      - .offset:         46
        .size:           2
        .value_kind:     hidden_group_size_y
      - .offset:         48
        .size:           2
        .value_kind:     hidden_group_size_z
      - .offset:         50
        .size:           2
        .value_kind:     hidden_remainder_x
      - .offset:         52
        .size:           2
        .value_kind:     hidden_remainder_y
      - .offset:         54
        .size:           2
        .value_kind:     hidden_remainder_z
      - .offset:         72
        .size:           8
        .value_kind:     hidden_global_offset_x
      - .offset:         80
        .size:           8
        .value_kind:     hidden_global_offset_y
      - .offset:         88
        .size:           8
        .value_kind:     hidden_global_offset_z
      - .offset:         96
        .size:           2
        .value_kind:     hidden_grid_dims
      - .offset:         152
        .size:           4
        .value_kind:     hidden_dynamic_lds_size
    .group_segment_fixed_size: 0
    .kernarg_segment_align: 8
    .kernarg_segment_size: 288
    .language:       OpenCL C
    .language_version:
      - 2
      - 0
    .max_flat_workgroup_size: 1024
    .name:           _ZN2at6native32tensor_kernel_scan_innermost_dimIaSt4plusIaEEEvPT_PKS4_jjjS4_T0_
    .private_segment_fixed_size: 0
    .sgpr_count:     28
    .sgpr_spill_count: 0
    .symbol:         _ZN2at6native32tensor_kernel_scan_innermost_dimIaSt4plusIaEEEvPT_PKS4_jjjS4_T0_.kd
    .uniform_work_group_size: 1
    .uses_dynamic_stack: false
    .vgpr_count:     20
    .vgpr_spill_count: 0
    .wavefront_size: 32
    .workgroup_processor_mode: 1
  - .args:
      - .address_space:  global
        .offset:         0
        .size:           8
        .value_kind:     global_buffer
      - .address_space:  global
        .offset:         8
        .size:           8
        .value_kind:     global_buffer
      - .offset:         16
        .size:           4
        .value_kind:     by_value
      - .offset:         20
        .size:           4
        .value_kind:     by_value
      - .offset:         24
        .size:           4
        .value_kind:     by_value
      - .offset:         28
        .size:           1
        .value_kind:     by_value
      - .offset:         29
        .size:           1
        .value_kind:     by_value
      - .offset:         32
        .size:           4
        .value_kind:     hidden_block_count_x
      - .offset:         36
        .size:           4
        .value_kind:     hidden_block_count_y
      - .offset:         40
        .size:           4
        .value_kind:     hidden_block_count_z
      - .offset:         44
        .size:           2
        .value_kind:     hidden_group_size_x
      - .offset:         46
        .size:           2
        .value_kind:     hidden_group_size_y
      - .offset:         48
        .size:           2
        .value_kind:     hidden_group_size_z
      - .offset:         50
        .size:           2
        .value_kind:     hidden_remainder_x
      - .offset:         52
        .size:           2
        .value_kind:     hidden_remainder_y
      - .offset:         54
        .size:           2
        .value_kind:     hidden_remainder_z
      - .offset:         72
        .size:           8
        .value_kind:     hidden_global_offset_x
      - .offset:         80
        .size:           8
        .value_kind:     hidden_global_offset_y
      - .offset:         88
        .size:           8
        .value_kind:     hidden_global_offset_z
      - .offset:         96
        .size:           2
        .value_kind:     hidden_grid_dims
    .group_segment_fixed_size: 0
    .kernarg_segment_align: 8
    .kernarg_segment_size: 288
    .language:       OpenCL C
    .language_version:
      - 2
      - 0
    .max_flat_workgroup_size: 1024
    .name:           _ZN2at6native28tensor_kernel_scan_outer_dimIajSt4plusIaEEEvPT_PKS4_jjjS4_T1_
    .private_segment_fixed_size: 0
    .sgpr_count:     24
    .sgpr_spill_count: 0
    .symbol:         _ZN2at6native28tensor_kernel_scan_outer_dimIajSt4plusIaEEEvPT_PKS4_jjjS4_T1_.kd
    .uniform_work_group_size: 1
    .uses_dynamic_stack: false
    .vgpr_count:     8
    .vgpr_spill_count: 0
    .wavefront_size: 32
    .workgroup_processor_mode: 1
  - .args:
      - .address_space:  global
        .offset:         0
        .size:           8
        .value_kind:     global_buffer
      - .address_space:  global
        .offset:         8
        .size:           8
        .value_kind:     global_buffer
      - .offset:         16
        .size:           4
        .value_kind:     by_value
      - .offset:         20
        .size:           4
        .value_kind:     by_value
      - .offset:         24
        .size:           4
        .value_kind:     by_value
      - .offset:         28
        .size:           1
        .value_kind:     by_value
      - .offset:         29
        .size:           1
        .value_kind:     by_value
      - .offset:         32
        .size:           4
        .value_kind:     hidden_block_count_x
      - .offset:         36
        .size:           4
        .value_kind:     hidden_block_count_y
      - .offset:         40
        .size:           4
        .value_kind:     hidden_block_count_z
      - .offset:         44
        .size:           2
        .value_kind:     hidden_group_size_x
      - .offset:         46
        .size:           2
        .value_kind:     hidden_group_size_y
      - .offset:         48
        .size:           2
        .value_kind:     hidden_group_size_z
      - .offset:         50
        .size:           2
        .value_kind:     hidden_remainder_x
      - .offset:         52
        .size:           2
        .value_kind:     hidden_remainder_y
      - .offset:         54
        .size:           2
        .value_kind:     hidden_remainder_z
      - .offset:         72
        .size:           8
        .value_kind:     hidden_global_offset_x
      - .offset:         80
        .size:           8
        .value_kind:     hidden_global_offset_y
      - .offset:         88
        .size:           8
        .value_kind:     hidden_global_offset_z
      - .offset:         96
        .size:           2
        .value_kind:     hidden_grid_dims
    .group_segment_fixed_size: 0
    .kernarg_segment_align: 8
    .kernarg_segment_size: 288
    .language:       OpenCL C
    .language_version:
      - 2
      - 0
    .max_flat_workgroup_size: 1024
    .name:           _ZN2at6native28tensor_kernel_scan_outer_dimIamSt4plusIaEEEvPT_PKS4_jjjS4_T1_
    .private_segment_fixed_size: 0
    .sgpr_count:     26
    .sgpr_spill_count: 0
    .symbol:         _ZN2at6native28tensor_kernel_scan_outer_dimIamSt4plusIaEEEvPT_PKS4_jjjS4_T1_.kd
    .uniform_work_group_size: 1
    .uses_dynamic_stack: false
    .vgpr_count:     8
    .vgpr_spill_count: 0
    .wavefront_size: 32
    .workgroup_processor_mode: 1
  - .args:
      - .address_space:  global
        .offset:         0
        .size:           8
        .value_kind:     global_buffer
      - .address_space:  global
        .offset:         8
        .size:           8
        .value_kind:     global_buffer
      - .offset:         16
        .size:           8
        .value_kind:     by_value
      - .offset:         24
        .size:           4
        .value_kind:     by_value
    .group_segment_fixed_size: 64
    .kernarg_segment_align: 8
    .kernarg_segment_size: 28
    .language:       OpenCL C
    .language_version:
      - 2
      - 0
    .max_flat_workgroup_size: 1024
    .name:           _ZN2at4cuda3cub15calc_block_sumsILi512ELi16ELb0EiiEEvPKT2_PT3_li
    .private_segment_fixed_size: 0
    .sgpr_count:     30
    .sgpr_spill_count: 0
    .symbol:         _ZN2at4cuda3cub15calc_block_sumsILi512ELi16ELb0EiiEEvPKT2_PT3_li.kd
    .uniform_work_group_size: 1
    .uses_dynamic_stack: false
    .vgpr_count:     41
    .vgpr_spill_count: 0
    .wavefront_size: 32
    .workgroup_processor_mode: 1
  - .args:
      - .address_space:  global
        .offset:         0
        .size:           8
        .value_kind:     global_buffer
      - .address_space:  global
        .offset:         8
        .size:           8
        .value_kind:     global_buffer
      - .address_space:  global
        .offset:         16
        .size:           8
        .value_kind:     global_buffer
      - .offset:         24
        .size:           8
        .value_kind:     by_value
      - .offset:         32
        .size:           4
        .value_kind:     by_value
      - .offset:         40
        .size:           4
        .value_kind:     hidden_block_count_x
      - .offset:         44
        .size:           4
        .value_kind:     hidden_block_count_y
      - .offset:         48
        .size:           4
        .value_kind:     hidden_block_count_z
      - .offset:         52
        .size:           2
        .value_kind:     hidden_group_size_x
      - .offset:         54
        .size:           2
        .value_kind:     hidden_group_size_y
      - .offset:         56
        .size:           2
        .value_kind:     hidden_group_size_z
      - .offset:         58
        .size:           2
        .value_kind:     hidden_remainder_x
      - .offset:         60
        .size:           2
        .value_kind:     hidden_remainder_y
      - .offset:         62
        .size:           2
        .value_kind:     hidden_remainder_z
      - .offset:         80
        .size:           8
        .value_kind:     hidden_global_offset_x
      - .offset:         88
        .size:           8
        .value_kind:     hidden_global_offset_y
      - .offset:         96
        .size:           8
        .value_kind:     hidden_global_offset_z
      - .offset:         104
        .size:           2
        .value_kind:     hidden_grid_dims
    .group_segment_fixed_size: 33792
    .kernarg_segment_align: 8
    .kernarg_segment_size: 296
    .language:       OpenCL C
    .language_version:
      - 2
      - 0
    .max_flat_workgroup_size: 1024
    .name:           _ZN2at4cuda3cub17final_scan_kernelILi512ELi16EiEEvPKT1_PS3_S6_li
    .private_segment_fixed_size: 0
    .sgpr_count:     34
    .sgpr_spill_count: 0
    .symbol:         _ZN2at4cuda3cub17final_scan_kernelILi512ELi16EiEEvPKT1_PS3_S6_li.kd
    .uniform_work_group_size: 1
    .uses_dynamic_stack: false
    .vgpr_count:     78
    .vgpr_spill_count: 0
    .wavefront_size: 32
    .workgroup_processor_mode: 1
  - .args:
      - .address_space:  global
        .offset:         0
        .size:           8
        .value_kind:     global_buffer
      - .offset:         8
        .size:           4
        .value_kind:     by_value
      - .offset:         12
        .size:           4
        .value_kind:     by_value
      - .address_space:  global
        .offset:         16
        .size:           8
        .value_kind:     global_buffer
      - .offset:         24
        .size:           4
        .value_kind:     hidden_block_count_x
      - .offset:         28
        .size:           4
        .value_kind:     hidden_block_count_y
      - .offset:         32
        .size:           4
        .value_kind:     hidden_block_count_z
      - .offset:         36
        .size:           2
        .value_kind:     hidden_group_size_x
      - .offset:         38
        .size:           2
        .value_kind:     hidden_group_size_y
      - .offset:         40
        .size:           2
        .value_kind:     hidden_group_size_z
      - .offset:         42
        .size:           2
        .value_kind:     hidden_remainder_x
      - .offset:         44
        .size:           2
        .value_kind:     hidden_remainder_y
      - .offset:         46
        .size:           2
        .value_kind:     hidden_remainder_z
      - .offset:         64
        .size:           8
        .value_kind:     hidden_global_offset_x
      - .offset:         72
        .size:           8
        .value_kind:     hidden_global_offset_y
      - .offset:         80
        .size:           8
        .value_kind:     hidden_global_offset_z
      - .offset:         88
        .size:           2
        .value_kind:     hidden_grid_dims
    .group_segment_fixed_size: 0
    .kernarg_segment_align: 8
    .kernarg_segment_size: 280
    .language:       OpenCL C
    .language_version:
      - 2
      - 0
    .max_flat_workgroup_size: 256
    .name:           _ZN7rocprim17ROCPRIM_304000_NS6detail31init_lookback_scan_state_kernelINS1_19lookback_scan_stateIiLb1ELb1EEEEEvT_jjPNS5_10value_typeE
    .private_segment_fixed_size: 0
    .sgpr_count:     18
    .sgpr_spill_count: 0
    .symbol:         _ZN7rocprim17ROCPRIM_304000_NS6detail31init_lookback_scan_state_kernelINS1_19lookback_scan_stateIiLb1ELb1EEEEEvT_jjPNS5_10value_typeE.kd
    .uniform_work_group_size: 1
    .uses_dynamic_stack: false
    .vgpr_count:     6
    .vgpr_spill_count: 0
    .wavefront_size: 32
    .workgroup_processor_mode: 1
  - .args:
      - .address_space:  global
        .offset:         0
        .size:           8
        .value_kind:     global_buffer
      - .offset:         8
        .size:           4
        .value_kind:     by_value
      - .offset:         12
        .size:           4
        .value_kind:     by_value
      - .address_space:  global
        .offset:         16
        .size:           8
        .value_kind:     global_buffer
      - .offset:         24
        .size:           4
        .value_kind:     hidden_block_count_x
      - .offset:         28
        .size:           4
        .value_kind:     hidden_block_count_y
      - .offset:         32
        .size:           4
        .value_kind:     hidden_block_count_z
      - .offset:         36
        .size:           2
        .value_kind:     hidden_group_size_x
      - .offset:         38
        .size:           2
        .value_kind:     hidden_group_size_y
      - .offset:         40
        .size:           2
        .value_kind:     hidden_group_size_z
      - .offset:         42
        .size:           2
        .value_kind:     hidden_remainder_x
      - .offset:         44
        .size:           2
        .value_kind:     hidden_remainder_y
      - .offset:         46
        .size:           2
        .value_kind:     hidden_remainder_z
      - .offset:         64
        .size:           8
        .value_kind:     hidden_global_offset_x
      - .offset:         72
        .size:           8
        .value_kind:     hidden_global_offset_y
      - .offset:         80
        .size:           8
        .value_kind:     hidden_global_offset_z
      - .offset:         88
        .size:           2
        .value_kind:     hidden_grid_dims
    .group_segment_fixed_size: 0
    .kernarg_segment_align: 8
    .kernarg_segment_size: 280
    .language:       OpenCL C
    .language_version:
      - 2
      - 0
    .max_flat_workgroup_size: 256
    .name:           _ZN7rocprim17ROCPRIM_304000_NS6detail31init_lookback_scan_state_kernelINS1_19lookback_scan_stateIiLb0ELb1EEEEEvT_jjPNS5_10value_typeE
    .private_segment_fixed_size: 0
    .sgpr_count:     18
    .sgpr_spill_count: 0
    .symbol:         _ZN7rocprim17ROCPRIM_304000_NS6detail31init_lookback_scan_state_kernelINS1_19lookback_scan_stateIiLb0ELb1EEEEEvT_jjPNS5_10value_typeE.kd
    .uniform_work_group_size: 1
    .uses_dynamic_stack: false
    .vgpr_count:     6
    .vgpr_spill_count: 0
    .wavefront_size: 32
    .workgroup_processor_mode: 1
  - .args:
      - .address_space:  global
        .offset:         0
        .size:           8
        .value_kind:     global_buffer
      - .address_space:  global
        .offset:         8
        .size:           8
        .value_kind:     global_buffer
      - .offset:         16
        .size:           8
        .value_kind:     by_value
      - .offset:         24
        .size:           4
        .value_kind:     by_value
      - .offset:         28
        .size:           1
        .value_kind:     by_value
      - .address_space:  global
        .offset:         32
        .size:           8
        .value_kind:     global_buffer
      - .offset:         40
        .size:           4
        .value_kind:     by_value
      - .address_space:  global
        .offset:         48
        .size:           8
        .value_kind:     global_buffer
      - .address_space:  global
        .offset:         56
        .size:           8
        .value_kind:     global_buffer
      - .offset:         64
        .size:           1
        .value_kind:     by_value
      - .offset:         65
        .size:           1
        .value_kind:     by_value
    .group_segment_fixed_size: 0
    .kernarg_segment_align: 8
    .kernarg_segment_size: 68
    .language:       OpenCL C
    .language_version:
      - 2
      - 0
    .max_flat_workgroup_size: 64
    .name:           _ZN7rocprim17ROCPRIM_304000_NS6detail20lookback_scan_kernelILNS1_25lookback_scan_determinismE0ELb0ENS1_19wrapped_scan_configINS0_14default_configEiEEPKiPiSt4plusIiEiiNS1_19lookback_scan_stateIiLb1ELb1EEEEEvT2_T3_mT5_T4_T7_jPT6_SK_bb
    .private_segment_fixed_size: 0
    .sgpr_count:     0
    .sgpr_spill_count: 0
    .symbol:         _ZN7rocprim17ROCPRIM_304000_NS6detail20lookback_scan_kernelILNS1_25lookback_scan_determinismE0ELb0ENS1_19wrapped_scan_configINS0_14default_configEiEEPKiPiSt4plusIiEiiNS1_19lookback_scan_stateIiLb1ELb1EEEEEvT2_T3_mT5_T4_T7_jPT6_SK_bb.kd
    .uniform_work_group_size: 1
    .uses_dynamic_stack: false
    .vgpr_count:     0
    .vgpr_spill_count: 0
    .wavefront_size: 32
    .workgroup_processor_mode: 1
  - .args:
      - .address_space:  global
        .offset:         0
        .size:           8
        .value_kind:     global_buffer
      - .address_space:  global
        .offset:         8
        .size:           8
        .value_kind:     global_buffer
      - .offset:         16
        .size:           8
        .value_kind:     by_value
      - .offset:         24
        .size:           4
        .value_kind:     by_value
      - .offset:         28
        .size:           1
        .value_kind:     by_value
      - .address_space:  global
        .offset:         32
        .size:           8
        .value_kind:     global_buffer
      - .offset:         40
        .size:           4
        .value_kind:     by_value
      - .address_space:  global
        .offset:         48
        .size:           8
        .value_kind:     global_buffer
      - .address_space:  global
        .offset:         56
        .size:           8
        .value_kind:     global_buffer
      - .offset:         64
        .size:           1
        .value_kind:     by_value
      - .offset:         65
        .size:           1
        .value_kind:     by_value
    .group_segment_fixed_size: 4224
    .kernarg_segment_align: 8
    .kernarg_segment_size: 68
    .language:       OpenCL C
    .language_version:
      - 2
      - 0
    .max_flat_workgroup_size: 64
    .name:           _ZN7rocprim17ROCPRIM_304000_NS6detail20lookback_scan_kernelILNS1_25lookback_scan_determinismE0ELb0ENS1_19wrapped_scan_configINS0_14default_configEiEEPKiPiSt4plusIiEiiNS1_19lookback_scan_stateIiLb0ELb1EEEEEvT2_T3_mT5_T4_T7_jPT6_SK_bb
    .private_segment_fixed_size: 0
    .sgpr_count:     37
    .sgpr_spill_count: 0
    .symbol:         _ZN7rocprim17ROCPRIM_304000_NS6detail20lookback_scan_kernelILNS1_25lookback_scan_determinismE0ELb0ENS1_19wrapped_scan_configINS0_14default_configEiEEPKiPiSt4plusIiEiiNS1_19lookback_scan_stateIiLb0ELb1EEEEEvT2_T3_mT5_T4_T7_jPT6_SK_bb.kd
    .uniform_work_group_size: 1
    .uses_dynamic_stack: false
    .vgpr_count:     56
    .vgpr_spill_count: 0
    .wavefront_size: 32
    .workgroup_processor_mode: 1
  - .args:
      - .address_space:  global
        .offset:         0
        .size:           8
        .value_kind:     global_buffer
      - .offset:         8
        .size:           8
        .value_kind:     by_value
      - .address_space:  global
        .offset:         16
        .size:           8
        .value_kind:     global_buffer
      - .offset:         24
        .size:           1
        .value_kind:     by_value
      - .offset:         32
        .size:           4
        .value_kind:     hidden_block_count_x
      - .offset:         36
        .size:           4
        .value_kind:     hidden_block_count_y
      - .offset:         40
        .size:           4
        .value_kind:     hidden_block_count_z
      - .offset:         44
        .size:           2
        .value_kind:     hidden_group_size_x
      - .offset:         46
        .size:           2
        .value_kind:     hidden_group_size_y
      - .offset:         48
        .size:           2
        .value_kind:     hidden_group_size_z
      - .offset:         50
        .size:           2
        .value_kind:     hidden_remainder_x
      - .offset:         52
        .size:           2
        .value_kind:     hidden_remainder_y
      - .offset:         54
        .size:           2
        .value_kind:     hidden_remainder_z
      - .offset:         72
        .size:           8
        .value_kind:     hidden_global_offset_x
      - .offset:         80
        .size:           8
        .value_kind:     hidden_global_offset_y
      - .offset:         88
        .size:           8
        .value_kind:     hidden_global_offset_z
      - .offset:         96
        .size:           2
        .value_kind:     hidden_grid_dims
    .group_segment_fixed_size: 0
    .kernarg_segment_align: 8
    .kernarg_segment_size: 288
    .language:       OpenCL C
    .language_version:
      - 2
      - 0
    .max_flat_workgroup_size: 256
    .name:           _ZN7rocprim17ROCPRIM_304000_NS6detail16transform_kernelINS1_24wrapped_transform_configINS0_14default_configEiEEiPiS6_NS0_8identityIiEEEEvT1_mT2_T3_
    .private_segment_fixed_size: 0
    .sgpr_count:     24
    .sgpr_spill_count: 0
    .symbol:         _ZN7rocprim17ROCPRIM_304000_NS6detail16transform_kernelINS1_24wrapped_transform_configINS0_14default_configEiEEiPiS6_NS0_8identityIiEEEEvT1_mT2_T3_.kd
    .uniform_work_group_size: 1
    .uses_dynamic_stack: false
    .vgpr_count:     28
    .vgpr_spill_count: 0
    .wavefront_size: 32
    .workgroup_processor_mode: 1
  - .args:
      - .address_space:  global
        .offset:         0
        .size:           8
        .value_kind:     global_buffer
      - .offset:         8
        .size:           8
        .value_kind:     by_value
      - .offset:         16
        .size:           4
        .value_kind:     by_value
      - .address_space:  global
        .offset:         24
        .size:           8
        .value_kind:     global_buffer
      - .offset:         32
        .size:           1
        .value_kind:     by_value
    .group_segment_fixed_size: 4224
    .kernarg_segment_align: 8
    .kernarg_segment_size: 36
    .language:       OpenCL C
    .language_version:
      - 2
      - 0
    .max_flat_workgroup_size: 64
    .name:           _ZN7rocprim17ROCPRIM_304000_NS6detail18single_scan_kernelILb0ENS1_19wrapped_scan_configINS0_14default_configEiEEPKiPiSt4plusIiEiiEEvT1_mT4_T2_T3_
    .private_segment_fixed_size: 0
    .sgpr_count:     26
    .sgpr_spill_count: 0
    .symbol:         _ZN7rocprim17ROCPRIM_304000_NS6detail18single_scan_kernelILb0ENS1_19wrapped_scan_configINS0_14default_configEiEEPKiPiSt4plusIiEiiEEvT1_mT4_T2_T3_.kd
    .uniform_work_group_size: 1
    .uses_dynamic_stack: false
    .vgpr_count:     44
    .vgpr_spill_count: 0
    .wavefront_size: 32
    .workgroup_processor_mode: 1
  - .args:
      - .address_space:  global
        .offset:         0
        .size:           8
        .value_kind:     global_buffer
      - .address_space:  global
        .offset:         8
        .size:           8
        .value_kind:     global_buffer
      - .offset:         16
        .size:           4
        .value_kind:     by_value
      - .offset:         20
        .size:           4
        .value_kind:     by_value
      - .offset:         24
        .size:           4
        .value_kind:     by_value
      - .offset:         28
        .size:           4
        .value_kind:     by_value
      - .offset:         32
        .size:           1
        .value_kind:     by_value
      - .offset:         40
        .size:           4
        .value_kind:     hidden_block_count_x
      - .offset:         44
        .size:           4
        .value_kind:     hidden_block_count_y
      - .offset:         48
        .size:           4
        .value_kind:     hidden_block_count_z
      - .offset:         52
        .size:           2
        .value_kind:     hidden_group_size_x
      - .offset:         54
        .size:           2
        .value_kind:     hidden_group_size_y
      - .offset:         56
        .size:           2
        .value_kind:     hidden_group_size_z
      - .offset:         58
        .size:           2
        .value_kind:     hidden_remainder_x
      - .offset:         60
        .size:           2
        .value_kind:     hidden_remainder_y
      - .offset:         62
        .size:           2
        .value_kind:     hidden_remainder_z
      - .offset:         80
        .size:           8
        .value_kind:     hidden_global_offset_x
      - .offset:         88
        .size:           8
        .value_kind:     hidden_global_offset_y
      - .offset:         96
        .size:           8
        .value_kind:     hidden_global_offset_z
      - .offset:         104
        .size:           2
        .value_kind:     hidden_grid_dims
      - .offset:         160
        .size:           4
        .value_kind:     hidden_dynamic_lds_size
    .group_segment_fixed_size: 0
    .kernarg_segment_align: 8
    .kernarg_segment_size: 296
    .language:       OpenCL C
    .language_version:
      - 2
      - 0
    .max_flat_workgroup_size: 1024
    .name:           _ZN2at6native32tensor_kernel_scan_innermost_dimIiSt4plusIiEEEvPT_PKS4_jjjS4_T0_
    .private_segment_fixed_size: 0
    .sgpr_count:     28
    .sgpr_spill_count: 0
    .symbol:         _ZN2at6native32tensor_kernel_scan_innermost_dimIiSt4plusIiEEEvPT_PKS4_jjjS4_T0_.kd
    .uniform_work_group_size: 1
    .uses_dynamic_stack: false
    .vgpr_count:     20
    .vgpr_spill_count: 0
    .wavefront_size: 32
    .workgroup_processor_mode: 1
  - .args:
      - .address_space:  global
        .offset:         0
        .size:           8
        .value_kind:     global_buffer
      - .address_space:  global
        .offset:         8
        .size:           8
        .value_kind:     global_buffer
      - .offset:         16
        .size:           4
        .value_kind:     by_value
      - .offset:         20
        .size:           4
        .value_kind:     by_value
      - .offset:         24
        .size:           4
        .value_kind:     by_value
      - .offset:         28
        .size:           4
        .value_kind:     by_value
      - .offset:         32
        .size:           1
        .value_kind:     by_value
      - .offset:         40
        .size:           4
        .value_kind:     hidden_block_count_x
      - .offset:         44
        .size:           4
        .value_kind:     hidden_block_count_y
      - .offset:         48
        .size:           4
        .value_kind:     hidden_block_count_z
      - .offset:         52
        .size:           2
        .value_kind:     hidden_group_size_x
      - .offset:         54
        .size:           2
        .value_kind:     hidden_group_size_y
      - .offset:         56
        .size:           2
        .value_kind:     hidden_group_size_z
      - .offset:         58
        .size:           2
        .value_kind:     hidden_remainder_x
      - .offset:         60
        .size:           2
        .value_kind:     hidden_remainder_y
      - .offset:         62
        .size:           2
        .value_kind:     hidden_remainder_z
      - .offset:         80
        .size:           8
        .value_kind:     hidden_global_offset_x
      - .offset:         88
        .size:           8
        .value_kind:     hidden_global_offset_y
      - .offset:         96
        .size:           8
        .value_kind:     hidden_global_offset_z
      - .offset:         104
        .size:           2
        .value_kind:     hidden_grid_dims
    .group_segment_fixed_size: 0
    .kernarg_segment_align: 8
    .kernarg_segment_size: 296
    .language:       OpenCL C
    .language_version:
      - 2
      - 0
    .max_flat_workgroup_size: 1024
    .name:           _ZN2at6native28tensor_kernel_scan_outer_dimIijSt4plusIiEEEvPT_PKS4_jjjS4_T1_
    .private_segment_fixed_size: 0
    .sgpr_count:     28
    .sgpr_spill_count: 0
    .symbol:         _ZN2at6native28tensor_kernel_scan_outer_dimIijSt4plusIiEEEvPT_PKS4_jjjS4_T1_.kd
    .uniform_work_group_size: 1
    .uses_dynamic_stack: false
    .vgpr_count:     9
    .vgpr_spill_count: 0
    .wavefront_size: 32
    .workgroup_processor_mode: 1
  - .args:
      - .address_space:  global
        .offset:         0
        .size:           8
        .value_kind:     global_buffer
      - .address_space:  global
        .offset:         8
        .size:           8
        .value_kind:     global_buffer
      - .offset:         16
        .size:           4
        .value_kind:     by_value
      - .offset:         20
        .size:           4
        .value_kind:     by_value
      - .offset:         24
        .size:           4
        .value_kind:     by_value
      - .offset:         28
        .size:           4
        .value_kind:     by_value
      - .offset:         32
        .size:           1
        .value_kind:     by_value
      - .offset:         40
        .size:           4
        .value_kind:     hidden_block_count_x
      - .offset:         44
        .size:           4
        .value_kind:     hidden_block_count_y
      - .offset:         48
        .size:           4
        .value_kind:     hidden_block_count_z
      - .offset:         52
        .size:           2
        .value_kind:     hidden_group_size_x
      - .offset:         54
        .size:           2
        .value_kind:     hidden_group_size_y
      - .offset:         56
        .size:           2
        .value_kind:     hidden_group_size_z
      - .offset:         58
        .size:           2
        .value_kind:     hidden_remainder_x
      - .offset:         60
        .size:           2
        .value_kind:     hidden_remainder_y
      - .offset:         62
        .size:           2
        .value_kind:     hidden_remainder_z
      - .offset:         80
        .size:           8
        .value_kind:     hidden_global_offset_x
      - .offset:         88
        .size:           8
        .value_kind:     hidden_global_offset_y
      - .offset:         96
        .size:           8
        .value_kind:     hidden_global_offset_z
      - .offset:         104
        .size:           2
        .value_kind:     hidden_grid_dims
    .group_segment_fixed_size: 0
    .kernarg_segment_align: 8
    .kernarg_segment_size: 296
    .language:       OpenCL C
    .language_version:
      - 2
      - 0
    .max_flat_workgroup_size: 1024
    .name:           _ZN2at6native28tensor_kernel_scan_outer_dimIimSt4plusIiEEEvPT_PKS4_jjjS4_T1_
    .private_segment_fixed_size: 0
    .sgpr_count:     27
    .sgpr_spill_count: 0
    .symbol:         _ZN2at6native28tensor_kernel_scan_outer_dimIimSt4plusIiEEEvPT_PKS4_jjjS4_T1_.kd
    .uniform_work_group_size: 1
    .uses_dynamic_stack: false
    .vgpr_count:     9
    .vgpr_spill_count: 0
    .wavefront_size: 32
    .workgroup_processor_mode: 1
  - .args:
      - .address_space:  global
        .offset:         0
        .size:           8
        .value_kind:     global_buffer
      - .address_space:  global
        .offset:         8
        .size:           8
        .value_kind:     global_buffer
      - .offset:         16
        .size:           8
        .value_kind:     by_value
      - .offset:         24
        .size:           4
        .value_kind:     by_value
    .group_segment_fixed_size: 64
    .kernarg_segment_align: 8
    .kernarg_segment_size: 28
    .language:       OpenCL C
    .language_version:
      - 2
      - 0
    .max_flat_workgroup_size: 1024
    .name:           _ZN2at4cuda3cub15calc_block_sumsILi256ELi16ELb0EllEEvPKT2_PT3_li
    .private_segment_fixed_size: 0
    .sgpr_count:     70
    .sgpr_spill_count: 0
    .symbol:         _ZN2at4cuda3cub15calc_block_sumsILi256ELi16ELb0EllEEvPKT2_PT3_li.kd
    .uniform_work_group_size: 1
    .uses_dynamic_stack: false
    .vgpr_count:     57
    .vgpr_spill_count: 0
    .wavefront_size: 32
    .workgroup_processor_mode: 1
  - .args:
      - .address_space:  global
        .offset:         0
        .size:           8
        .value_kind:     global_buffer
      - .address_space:  global
        .offset:         8
        .size:           8
        .value_kind:     global_buffer
      - .address_space:  global
        .offset:         16
        .size:           8
        .value_kind:     global_buffer
      - .offset:         24
        .size:           8
        .value_kind:     by_value
      - .offset:         32
        .size:           4
        .value_kind:     by_value
      - .offset:         40
        .size:           4
        .value_kind:     hidden_block_count_x
      - .offset:         44
        .size:           4
        .value_kind:     hidden_block_count_y
      - .offset:         48
        .size:           4
        .value_kind:     hidden_block_count_z
      - .offset:         52
        .size:           2
        .value_kind:     hidden_group_size_x
      - .offset:         54
        .size:           2
        .value_kind:     hidden_group_size_y
      - .offset:         56
        .size:           2
        .value_kind:     hidden_group_size_z
      - .offset:         58
        .size:           2
        .value_kind:     hidden_remainder_x
      - .offset:         60
        .size:           2
        .value_kind:     hidden_remainder_y
      - .offset:         62
        .size:           2
        .value_kind:     hidden_remainder_z
      - .offset:         80
        .size:           8
        .value_kind:     hidden_global_offset_x
      - .offset:         88
        .size:           8
        .value_kind:     hidden_global_offset_y
      - .offset:         96
        .size:           8
        .value_kind:     hidden_global_offset_z
      - .offset:         104
        .size:           2
        .value_kind:     hidden_grid_dims
    .group_segment_fixed_size: 33792
    .kernarg_segment_align: 8
    .kernarg_segment_size: 296
    .language:       OpenCL C
    .language_version:
      - 2
      - 0
    .max_flat_workgroup_size: 1024
    .name:           _ZN2at4cuda3cub17final_scan_kernelILi256ELi16ElEEvPKT1_PS3_S6_li
    .private_segment_fixed_size: 0
    .sgpr_count:     70
    .sgpr_spill_count: 0
    .symbol:         _ZN2at4cuda3cub17final_scan_kernelILi256ELi16ElEEvPKT1_PS3_S6_li.kd
    .uniform_work_group_size: 1
    .uses_dynamic_stack: false
    .vgpr_count:     111
    .vgpr_spill_count: 0
    .wavefront_size: 32
    .workgroup_processor_mode: 1
  - .args:
      - .address_space:  global
        .offset:         0
        .size:           8
        .value_kind:     global_buffer
      - .offset:         8
        .size:           4
        .value_kind:     by_value
      - .offset:         12
        .size:           4
        .value_kind:     by_value
      - .address_space:  global
        .offset:         16
        .size:           8
        .value_kind:     global_buffer
      - .offset:         24
        .size:           4
        .value_kind:     hidden_block_count_x
      - .offset:         28
        .size:           4
        .value_kind:     hidden_block_count_y
      - .offset:         32
        .size:           4
        .value_kind:     hidden_block_count_z
      - .offset:         36
        .size:           2
        .value_kind:     hidden_group_size_x
      - .offset:         38
        .size:           2
        .value_kind:     hidden_group_size_y
      - .offset:         40
        .size:           2
        .value_kind:     hidden_group_size_z
      - .offset:         42
        .size:           2
        .value_kind:     hidden_remainder_x
      - .offset:         44
        .size:           2
        .value_kind:     hidden_remainder_y
      - .offset:         46
        .size:           2
        .value_kind:     hidden_remainder_z
      - .offset:         64
        .size:           8
        .value_kind:     hidden_global_offset_x
      - .offset:         72
        .size:           8
        .value_kind:     hidden_global_offset_y
      - .offset:         80
        .size:           8
        .value_kind:     hidden_global_offset_z
      - .offset:         88
        .size:           2
        .value_kind:     hidden_grid_dims
    .group_segment_fixed_size: 0
    .kernarg_segment_align: 8
    .kernarg_segment_size: 280
    .language:       OpenCL C
    .language_version:
      - 2
      - 0
    .max_flat_workgroup_size: 256
    .name:           _ZN7rocprim17ROCPRIM_304000_NS6detail31init_lookback_scan_state_kernelINS1_19lookback_scan_stateIlLb1ELb1EEEEEvT_jjPNS5_10value_typeE
    .private_segment_fixed_size: 0
    .sgpr_count:     18
    .sgpr_spill_count: 0
    .symbol:         _ZN7rocprim17ROCPRIM_304000_NS6detail31init_lookback_scan_state_kernelINS1_19lookback_scan_stateIlLb1ELb1EEEEEvT_jjPNS5_10value_typeE.kd
    .uniform_work_group_size: 1
    .uses_dynamic_stack: false
    .vgpr_count:     9
    .vgpr_spill_count: 0
    .wavefront_size: 32
    .workgroup_processor_mode: 1
  - .args:
      - .address_space:  global
        .offset:         0
        .size:           8
        .value_kind:     global_buffer
      - .offset:         8
        .size:           4
        .value_kind:     by_value
      - .offset:         12
        .size:           4
        .value_kind:     by_value
      - .address_space:  global
        .offset:         16
        .size:           8
        .value_kind:     global_buffer
      - .offset:         24
        .size:           4
        .value_kind:     hidden_block_count_x
      - .offset:         28
        .size:           4
        .value_kind:     hidden_block_count_y
      - .offset:         32
        .size:           4
        .value_kind:     hidden_block_count_z
      - .offset:         36
        .size:           2
        .value_kind:     hidden_group_size_x
      - .offset:         38
        .size:           2
        .value_kind:     hidden_group_size_y
      - .offset:         40
        .size:           2
        .value_kind:     hidden_group_size_z
      - .offset:         42
        .size:           2
        .value_kind:     hidden_remainder_x
      - .offset:         44
        .size:           2
        .value_kind:     hidden_remainder_y
      - .offset:         46
        .size:           2
        .value_kind:     hidden_remainder_z
      - .offset:         64
        .size:           8
        .value_kind:     hidden_global_offset_x
      - .offset:         72
        .size:           8
        .value_kind:     hidden_global_offset_y
      - .offset:         80
        .size:           8
        .value_kind:     hidden_global_offset_z
      - .offset:         88
        .size:           2
        .value_kind:     hidden_grid_dims
    .group_segment_fixed_size: 0
    .kernarg_segment_align: 8
    .kernarg_segment_size: 280
    .language:       OpenCL C
    .language_version:
      - 2
      - 0
    .max_flat_workgroup_size: 256
    .name:           _ZN7rocprim17ROCPRIM_304000_NS6detail31init_lookback_scan_state_kernelINS1_19lookback_scan_stateIlLb0ELb1EEEEEvT_jjPNS5_10value_typeE
    .private_segment_fixed_size: 0
    .sgpr_count:     18
    .sgpr_spill_count: 0
    .symbol:         _ZN7rocprim17ROCPRIM_304000_NS6detail31init_lookback_scan_state_kernelINS1_19lookback_scan_stateIlLb0ELb1EEEEEvT_jjPNS5_10value_typeE.kd
    .uniform_work_group_size: 1
    .uses_dynamic_stack: false
    .vgpr_count:     9
    .vgpr_spill_count: 0
    .wavefront_size: 32
    .workgroup_processor_mode: 1
  - .args:
      - .address_space:  global
        .offset:         0
        .size:           8
        .value_kind:     global_buffer
      - .address_space:  global
        .offset:         8
        .size:           8
        .value_kind:     global_buffer
      - .offset:         16
        .size:           8
        .value_kind:     by_value
      - .offset:         24
        .size:           8
        .value_kind:     by_value
      - .offset:         32
        .size:           1
        .value_kind:     by_value
      - .address_space:  global
        .offset:         40
        .size:           8
        .value_kind:     global_buffer
      - .offset:         48
        .size:           4
        .value_kind:     by_value
      - .address_space:  global
        .offset:         56
        .size:           8
        .value_kind:     global_buffer
      - .address_space:  global
        .offset:         64
        .size:           8
        .value_kind:     global_buffer
      - .offset:         72
        .size:           1
        .value_kind:     by_value
      - .offset:         73
        .size:           1
        .value_kind:     by_value
    .group_segment_fixed_size: 0
    .kernarg_segment_align: 8
    .kernarg_segment_size: 76
    .language:       OpenCL C
    .language_version:
      - 2
      - 0
    .max_flat_workgroup_size: 256
    .name:           _ZN7rocprim17ROCPRIM_304000_NS6detail20lookback_scan_kernelILNS1_25lookback_scan_determinismE0ELb0ENS1_19wrapped_scan_configINS0_14default_configElEEPKlPlSt4plusIlEllNS1_19lookback_scan_stateIlLb1ELb1EEEEEvT2_T3_mT5_T4_T7_jPT6_SK_bb
    .private_segment_fixed_size: 0
    .sgpr_count:     0
    .sgpr_spill_count: 0
    .symbol:         _ZN7rocprim17ROCPRIM_304000_NS6detail20lookback_scan_kernelILNS1_25lookback_scan_determinismE0ELb0ENS1_19wrapped_scan_configINS0_14default_configElEEPKlPlSt4plusIlEllNS1_19lookback_scan_stateIlLb1ELb1EEEEEvT2_T3_mT5_T4_T7_jPT6_SK_bb.kd
    .uniform_work_group_size: 1
    .uses_dynamic_stack: false
    .vgpr_count:     0
    .vgpr_spill_count: 0
    .wavefront_size: 32
    .workgroup_processor_mode: 1
  - .args:
      - .address_space:  global
        .offset:         0
        .size:           8
        .value_kind:     global_buffer
      - .address_space:  global
        .offset:         8
        .size:           8
        .value_kind:     global_buffer
      - .offset:         16
        .size:           8
        .value_kind:     by_value
      - .offset:         24
        .size:           8
        .value_kind:     by_value
      - .offset:         32
        .size:           1
        .value_kind:     by_value
      - .address_space:  global
        .offset:         40
        .size:           8
        .value_kind:     global_buffer
      - .offset:         48
        .size:           4
        .value_kind:     by_value
      - .address_space:  global
        .offset:         56
        .size:           8
        .value_kind:     global_buffer
      - .address_space:  global
        .offset:         64
        .size:           8
        .value_kind:     global_buffer
      - .offset:         72
        .size:           1
        .value_kind:     by_value
      - .offset:         73
        .size:           1
        .value_kind:     by_value
    .group_segment_fixed_size: 33792
    .kernarg_segment_align: 8
    .kernarg_segment_size: 76
    .language:       OpenCL C
    .language_version:
      - 2
      - 0
    .max_flat_workgroup_size: 256
    .name:           _ZN7rocprim17ROCPRIM_304000_NS6detail20lookback_scan_kernelILNS1_25lookback_scan_determinismE0ELb0ENS1_19wrapped_scan_configINS0_14default_configElEEPKlPlSt4plusIlEllNS1_19lookback_scan_stateIlLb0ELb1EEEEEvT2_T3_mT5_T4_T7_jPT6_SK_bb
    .private_segment_fixed_size: 0
    .sgpr_count:     70
    .sgpr_spill_count: 0
    .symbol:         _ZN7rocprim17ROCPRIM_304000_NS6detail20lookback_scan_kernelILNS1_25lookback_scan_determinismE0ELb0ENS1_19wrapped_scan_configINS0_14default_configElEEPKlPlSt4plusIlEllNS1_19lookback_scan_stateIlLb0ELb1EEEEEvT2_T3_mT5_T4_T7_jPT6_SK_bb.kd
    .uniform_work_group_size: 1
    .uses_dynamic_stack: false
    .vgpr_count:     96
    .vgpr_spill_count: 0
    .wavefront_size: 32
    .workgroup_processor_mode: 1
  - .args:
      - .address_space:  global
        .offset:         0
        .size:           8
        .value_kind:     global_buffer
      - .offset:         8
        .size:           8
        .value_kind:     by_value
      - .address_space:  global
        .offset:         16
        .size:           8
        .value_kind:     global_buffer
      - .offset:         24
        .size:           1
        .value_kind:     by_value
      - .offset:         32
        .size:           4
        .value_kind:     hidden_block_count_x
      - .offset:         36
        .size:           4
        .value_kind:     hidden_block_count_y
      - .offset:         40
        .size:           4
        .value_kind:     hidden_block_count_z
      - .offset:         44
        .size:           2
        .value_kind:     hidden_group_size_x
      - .offset:         46
        .size:           2
        .value_kind:     hidden_group_size_y
      - .offset:         48
        .size:           2
        .value_kind:     hidden_group_size_z
      - .offset:         50
        .size:           2
        .value_kind:     hidden_remainder_x
      - .offset:         52
        .size:           2
        .value_kind:     hidden_remainder_y
      - .offset:         54
        .size:           2
        .value_kind:     hidden_remainder_z
      - .offset:         72
        .size:           8
        .value_kind:     hidden_global_offset_x
      - .offset:         80
        .size:           8
        .value_kind:     hidden_global_offset_y
      - .offset:         88
        .size:           8
        .value_kind:     hidden_global_offset_z
      - .offset:         96
        .size:           2
        .value_kind:     hidden_grid_dims
    .group_segment_fixed_size: 0
    .kernarg_segment_align: 8
    .kernarg_segment_size: 288
    .language:       OpenCL C
    .language_version:
      - 2
      - 0
    .max_flat_workgroup_size: 512
    .name:           _ZN7rocprim17ROCPRIM_304000_NS6detail16transform_kernelINS1_24wrapped_transform_configINS0_14default_configElEElPlS6_NS0_8identityIlEEEEvT1_mT2_T3_
    .private_segment_fixed_size: 0
    .sgpr_count:     18
    .sgpr_spill_count: 0
    .symbol:         _ZN7rocprim17ROCPRIM_304000_NS6detail16transform_kernelINS1_24wrapped_transform_configINS0_14default_configElEElPlS6_NS0_8identityIlEEEEvT1_mT2_T3_.kd
    .uniform_work_group_size: 1
    .uses_dynamic_stack: false
    .vgpr_count:     5
    .vgpr_spill_count: 0
    .wavefront_size: 32
    .workgroup_processor_mode: 1
  - .args:
      - .address_space:  global
        .offset:         0
        .size:           8
        .value_kind:     global_buffer
      - .offset:         8
        .size:           8
        .value_kind:     by_value
      - .offset:         16
        .size:           8
        .value_kind:     by_value
      - .address_space:  global
        .offset:         24
        .size:           8
        .value_kind:     global_buffer
      - .offset:         32
        .size:           1
        .value_kind:     by_value
    .group_segment_fixed_size: 33792
    .kernarg_segment_align: 8
    .kernarg_segment_size: 36
    .language:       OpenCL C
    .language_version:
      - 2
      - 0
    .max_flat_workgroup_size: 256
    .name:           _ZN7rocprim17ROCPRIM_304000_NS6detail18single_scan_kernelILb0ENS1_19wrapped_scan_configINS0_14default_configElEEPKlPlSt4plusIlEllEEvT1_mT4_T2_T3_
    .private_segment_fixed_size: 0
    .sgpr_count:     70
    .sgpr_spill_count: 0
    .symbol:         _ZN7rocprim17ROCPRIM_304000_NS6detail18single_scan_kernelILb0ENS1_19wrapped_scan_configINS0_14default_configElEEPKlPlSt4plusIlEllEEvT1_mT4_T2_T3_.kd
    .uniform_work_group_size: 1
    .uses_dynamic_stack: false
    .vgpr_count:     79
    .vgpr_spill_count: 0
    .wavefront_size: 32
    .workgroup_processor_mode: 1
  - .args:
      - .address_space:  global
        .offset:         0
        .size:           8
        .value_kind:     global_buffer
      - .address_space:  global
        .offset:         8
        .size:           8
        .value_kind:     global_buffer
      - .offset:         16
        .size:           4
        .value_kind:     by_value
      - .offset:         20
        .size:           4
        .value_kind:     by_value
      - .offset:         24
        .size:           4
        .value_kind:     by_value
      - .offset:         32
        .size:           8
        .value_kind:     by_value
      - .offset:         40
        .size:           1
        .value_kind:     by_value
      - .offset:         48
        .size:           4
        .value_kind:     hidden_block_count_x
      - .offset:         52
        .size:           4
        .value_kind:     hidden_block_count_y
      - .offset:         56
        .size:           4
        .value_kind:     hidden_block_count_z
      - .offset:         60
        .size:           2
        .value_kind:     hidden_group_size_x
      - .offset:         62
        .size:           2
        .value_kind:     hidden_group_size_y
      - .offset:         64
        .size:           2
        .value_kind:     hidden_group_size_z
      - .offset:         66
        .size:           2
        .value_kind:     hidden_remainder_x
      - .offset:         68
        .size:           2
        .value_kind:     hidden_remainder_y
      - .offset:         70
        .size:           2
        .value_kind:     hidden_remainder_z
      - .offset:         88
        .size:           8
        .value_kind:     hidden_global_offset_x
      - .offset:         96
        .size:           8
        .value_kind:     hidden_global_offset_y
      - .offset:         104
        .size:           8
        .value_kind:     hidden_global_offset_z
      - .offset:         112
        .size:           2
        .value_kind:     hidden_grid_dims
      - .offset:         168
        .size:           4
        .value_kind:     hidden_dynamic_lds_size
    .group_segment_fixed_size: 0
    .kernarg_segment_align: 8
    .kernarg_segment_size: 304
    .language:       OpenCL C
    .language_version:
      - 2
      - 0
    .max_flat_workgroup_size: 1024
    .name:           _ZN2at6native32tensor_kernel_scan_innermost_dimIlSt4plusIlEEEvPT_PKS4_jjjS4_T0_
    .private_segment_fixed_size: 0
    .sgpr_count:     29
    .sgpr_spill_count: 0
    .symbol:         _ZN2at6native32tensor_kernel_scan_innermost_dimIlSt4plusIlEEEvPT_PKS4_jjjS4_T0_.kd
    .uniform_work_group_size: 1
    .uses_dynamic_stack: false
    .vgpr_count:     22
    .vgpr_spill_count: 0
    .wavefront_size: 32
    .workgroup_processor_mode: 1
  - .args:
      - .address_space:  global
        .offset:         0
        .size:           8
        .value_kind:     global_buffer
      - .address_space:  global
        .offset:         8
        .size:           8
        .value_kind:     global_buffer
      - .offset:         16
        .size:           4
        .value_kind:     by_value
      - .offset:         20
        .size:           4
        .value_kind:     by_value
      - .offset:         24
        .size:           4
        .value_kind:     by_value
      - .offset:         32
        .size:           8
        .value_kind:     by_value
      - .offset:         40
        .size:           1
        .value_kind:     by_value
      - .offset:         48
        .size:           4
        .value_kind:     hidden_block_count_x
      - .offset:         52
        .size:           4
        .value_kind:     hidden_block_count_y
      - .offset:         56
        .size:           4
        .value_kind:     hidden_block_count_z
      - .offset:         60
        .size:           2
        .value_kind:     hidden_group_size_x
      - .offset:         62
        .size:           2
        .value_kind:     hidden_group_size_y
      - .offset:         64
        .size:           2
        .value_kind:     hidden_group_size_z
      - .offset:         66
        .size:           2
        .value_kind:     hidden_remainder_x
      - .offset:         68
        .size:           2
        .value_kind:     hidden_remainder_y
      - .offset:         70
        .size:           2
        .value_kind:     hidden_remainder_z
      - .offset:         88
        .size:           8
        .value_kind:     hidden_global_offset_x
      - .offset:         96
        .size:           8
        .value_kind:     hidden_global_offset_y
      - .offset:         104
        .size:           8
        .value_kind:     hidden_global_offset_z
      - .offset:         112
        .size:           2
        .value_kind:     hidden_grid_dims
    .group_segment_fixed_size: 0
    .kernarg_segment_align: 8
    .kernarg_segment_size: 304
    .language:       OpenCL C
    .language_version:
      - 2
      - 0
    .max_flat_workgroup_size: 1024
    .name:           _ZN2at6native28tensor_kernel_scan_outer_dimIljSt4plusIlEEEvPT_PKS4_jjjS4_T1_
    .private_segment_fixed_size: 0
    .sgpr_count:     30
    .sgpr_spill_count: 0
    .symbol:         _ZN2at6native28tensor_kernel_scan_outer_dimIljSt4plusIlEEEvPT_PKS4_jjjS4_T1_.kd
    .uniform_work_group_size: 1
    .uses_dynamic_stack: false
    .vgpr_count:     11
    .vgpr_spill_count: 0
    .wavefront_size: 32
    .workgroup_processor_mode: 1
  - .args:
      - .address_space:  global
        .offset:         0
        .size:           8
        .value_kind:     global_buffer
      - .address_space:  global
        .offset:         8
        .size:           8
        .value_kind:     global_buffer
      - .offset:         16
        .size:           4
        .value_kind:     by_value
      - .offset:         20
        .size:           4
        .value_kind:     by_value
      - .offset:         24
        .size:           4
        .value_kind:     by_value
      - .offset:         32
        .size:           8
        .value_kind:     by_value
      - .offset:         40
        .size:           1
        .value_kind:     by_value
      - .offset:         48
        .size:           4
        .value_kind:     hidden_block_count_x
      - .offset:         52
        .size:           4
        .value_kind:     hidden_block_count_y
      - .offset:         56
        .size:           4
        .value_kind:     hidden_block_count_z
      - .offset:         60
        .size:           2
        .value_kind:     hidden_group_size_x
      - .offset:         62
        .size:           2
        .value_kind:     hidden_group_size_y
      - .offset:         64
        .size:           2
        .value_kind:     hidden_group_size_z
      - .offset:         66
        .size:           2
        .value_kind:     hidden_remainder_x
      - .offset:         68
        .size:           2
        .value_kind:     hidden_remainder_y
      - .offset:         70
        .size:           2
        .value_kind:     hidden_remainder_z
      - .offset:         88
        .size:           8
        .value_kind:     hidden_global_offset_x
      - .offset:         96
        .size:           8
        .value_kind:     hidden_global_offset_y
      - .offset:         104
        .size:           8
        .value_kind:     hidden_global_offset_z
      - .offset:         112
        .size:           2
        .value_kind:     hidden_grid_dims
    .group_segment_fixed_size: 0
    .kernarg_segment_align: 8
    .kernarg_segment_size: 304
    .language:       OpenCL C
    .language_version:
      - 2
      - 0
    .max_flat_workgroup_size: 1024
    .name:           _ZN2at6native28tensor_kernel_scan_outer_dimIlmSt4plusIlEEEvPT_PKS4_jjjS4_T1_
    .private_segment_fixed_size: 0
    .sgpr_count:     29
    .sgpr_spill_count: 0
    .symbol:         _ZN2at6native28tensor_kernel_scan_outer_dimIlmSt4plusIlEEEvPT_PKS4_jjjS4_T1_.kd
    .uniform_work_group_size: 1
    .uses_dynamic_stack: false
    .vgpr_count:     11
    .vgpr_spill_count: 0
    .wavefront_size: 32
    .workgroup_processor_mode: 1
  - .args:
      - .address_space:  global
        .offset:         0
        .size:           8
        .value_kind:     global_buffer
      - .address_space:  global
        .offset:         8
        .size:           8
        .value_kind:     global_buffer
      - .offset:         16
        .size:           8
        .value_kind:     by_value
      - .offset:         24
        .size:           4
        .value_kind:     by_value
    .group_segment_fixed_size: 32
    .kernarg_segment_align: 8
    .kernarg_segment_size: 28
    .language:       OpenCL C
    .language_version:
      - 2
      - 0
    .max_flat_workgroup_size: 1024
    .name:           _ZN2at4cuda3cub15calc_block_sumsILi512ELi16ELb0EssEEvPKT2_PT3_li
    .private_segment_fixed_size: 0
    .sgpr_count:     22
    .sgpr_spill_count: 0
    .symbol:         _ZN2at4cuda3cub15calc_block_sumsILi512ELi16ELb0EssEEvPKT2_PT3_li.kd
    .uniform_work_group_size: 1
    .uses_dynamic_stack: false
    .vgpr_count:     39
    .vgpr_spill_count: 0
    .wavefront_size: 32
    .workgroup_processor_mode: 1
  - .args:
      - .address_space:  global
        .offset:         0
        .size:           8
        .value_kind:     global_buffer
      - .address_space:  global
        .offset:         8
        .size:           8
        .value_kind:     global_buffer
      - .address_space:  global
        .offset:         16
        .size:           8
        .value_kind:     global_buffer
      - .offset:         24
        .size:           8
        .value_kind:     by_value
      - .offset:         32
        .size:           4
        .value_kind:     by_value
      - .offset:         40
        .size:           4
        .value_kind:     hidden_block_count_x
      - .offset:         44
        .size:           4
        .value_kind:     hidden_block_count_y
      - .offset:         48
        .size:           4
        .value_kind:     hidden_block_count_z
      - .offset:         52
        .size:           2
        .value_kind:     hidden_group_size_x
      - .offset:         54
        .size:           2
        .value_kind:     hidden_group_size_y
      - .offset:         56
        .size:           2
        .value_kind:     hidden_group_size_z
      - .offset:         58
        .size:           2
        .value_kind:     hidden_remainder_x
      - .offset:         60
        .size:           2
        .value_kind:     hidden_remainder_y
      - .offset:         62
        .size:           2
        .value_kind:     hidden_remainder_z
      - .offset:         80
        .size:           8
        .value_kind:     hidden_global_offset_x
      - .offset:         88
        .size:           8
        .value_kind:     hidden_global_offset_y
      - .offset:         96
        .size:           8
        .value_kind:     hidden_global_offset_z
      - .offset:         104
        .size:           2
        .value_kind:     hidden_grid_dims
    .group_segment_fixed_size: 16896
    .kernarg_segment_align: 8
    .kernarg_segment_size: 296
    .language:       OpenCL C
    .language_version:
      - 2
      - 0
    .max_flat_workgroup_size: 1024
    .name:           _ZN2at4cuda3cub17final_scan_kernelILi512ELi16EsEEvPKT1_PS3_S6_li
    .private_segment_fixed_size: 0
    .sgpr_count:     29
    .sgpr_spill_count: 0
    .symbol:         _ZN2at4cuda3cub17final_scan_kernelILi512ELi16EsEEvPKT1_PS3_S6_li.kd
    .uniform_work_group_size: 1
    .uses_dynamic_stack: false
    .vgpr_count:     70
    .vgpr_spill_count: 0
    .wavefront_size: 32
    .workgroup_processor_mode: 1
  - .args:
      - .address_space:  global
        .offset:         0
        .size:           8
        .value_kind:     global_buffer
      - .offset:         8
        .size:           4
        .value_kind:     by_value
      - .offset:         12
        .size:           4
        .value_kind:     by_value
      - .address_space:  global
        .offset:         16
        .size:           8
        .value_kind:     global_buffer
      - .offset:         24
        .size:           4
        .value_kind:     hidden_block_count_x
      - .offset:         28
        .size:           4
        .value_kind:     hidden_block_count_y
      - .offset:         32
        .size:           4
        .value_kind:     hidden_block_count_z
      - .offset:         36
        .size:           2
        .value_kind:     hidden_group_size_x
      - .offset:         38
        .size:           2
        .value_kind:     hidden_group_size_y
      - .offset:         40
        .size:           2
        .value_kind:     hidden_group_size_z
      - .offset:         42
        .size:           2
        .value_kind:     hidden_remainder_x
      - .offset:         44
        .size:           2
        .value_kind:     hidden_remainder_y
      - .offset:         46
        .size:           2
        .value_kind:     hidden_remainder_z
      - .offset:         64
        .size:           8
        .value_kind:     hidden_global_offset_x
      - .offset:         72
        .size:           8
        .value_kind:     hidden_global_offset_y
      - .offset:         80
        .size:           8
        .value_kind:     hidden_global_offset_z
      - .offset:         88
        .size:           2
        .value_kind:     hidden_grid_dims
    .group_segment_fixed_size: 0
    .kernarg_segment_align: 8
    .kernarg_segment_size: 280
    .language:       OpenCL C
    .language_version:
      - 2
      - 0
    .max_flat_workgroup_size: 256
    .name:           _ZN7rocprim17ROCPRIM_304000_NS6detail31init_lookback_scan_state_kernelINS1_19lookback_scan_stateIsLb1ELb1EEEEEvT_jjPNS5_10value_typeE
    .private_segment_fixed_size: 0
    .sgpr_count:     18
    .sgpr_spill_count: 0
    .symbol:         _ZN7rocprim17ROCPRIM_304000_NS6detail31init_lookback_scan_state_kernelINS1_19lookback_scan_stateIsLb1ELb1EEEEEvT_jjPNS5_10value_typeE.kd
    .uniform_work_group_size: 1
    .uses_dynamic_stack: false
    .vgpr_count:     6
    .vgpr_spill_count: 0
    .wavefront_size: 32
    .workgroup_processor_mode: 1
  - .args:
      - .address_space:  global
        .offset:         0
        .size:           8
        .value_kind:     global_buffer
      - .offset:         8
        .size:           4
        .value_kind:     by_value
      - .offset:         12
        .size:           4
        .value_kind:     by_value
      - .address_space:  global
        .offset:         16
        .size:           8
        .value_kind:     global_buffer
      - .offset:         24
        .size:           4
        .value_kind:     hidden_block_count_x
      - .offset:         28
        .size:           4
        .value_kind:     hidden_block_count_y
      - .offset:         32
        .size:           4
        .value_kind:     hidden_block_count_z
      - .offset:         36
        .size:           2
        .value_kind:     hidden_group_size_x
      - .offset:         38
        .size:           2
        .value_kind:     hidden_group_size_y
      - .offset:         40
        .size:           2
        .value_kind:     hidden_group_size_z
      - .offset:         42
        .size:           2
        .value_kind:     hidden_remainder_x
      - .offset:         44
        .size:           2
        .value_kind:     hidden_remainder_y
      - .offset:         46
        .size:           2
        .value_kind:     hidden_remainder_z
      - .offset:         64
        .size:           8
        .value_kind:     hidden_global_offset_x
      - .offset:         72
        .size:           8
        .value_kind:     hidden_global_offset_y
      - .offset:         80
        .size:           8
        .value_kind:     hidden_global_offset_z
      - .offset:         88
        .size:           2
        .value_kind:     hidden_grid_dims
    .group_segment_fixed_size: 0
    .kernarg_segment_align: 8
    .kernarg_segment_size: 280
    .language:       OpenCL C
    .language_version:
      - 2
      - 0
    .max_flat_workgroup_size: 256
    .name:           _ZN7rocprim17ROCPRIM_304000_NS6detail31init_lookback_scan_state_kernelINS1_19lookback_scan_stateIsLb0ELb1EEEEEvT_jjPNS5_10value_typeE
    .private_segment_fixed_size: 0
    .sgpr_count:     18
    .sgpr_spill_count: 0
    .symbol:         _ZN7rocprim17ROCPRIM_304000_NS6detail31init_lookback_scan_state_kernelINS1_19lookback_scan_stateIsLb0ELb1EEEEEvT_jjPNS5_10value_typeE.kd
    .uniform_work_group_size: 1
    .uses_dynamic_stack: false
    .vgpr_count:     6
    .vgpr_spill_count: 0
    .wavefront_size: 32
    .workgroup_processor_mode: 1
  - .args:
      - .address_space:  global
        .offset:         0
        .size:           8
        .value_kind:     global_buffer
      - .address_space:  global
        .offset:         8
        .size:           8
        .value_kind:     global_buffer
      - .offset:         16
        .size:           8
        .value_kind:     by_value
      - .offset:         24
        .size:           2
        .value_kind:     by_value
      - .offset:         26
        .size:           1
        .value_kind:     by_value
      - .address_space:  global
        .offset:         32
        .size:           8
        .value_kind:     global_buffer
      - .offset:         40
        .size:           4
        .value_kind:     by_value
      - .address_space:  global
        .offset:         48
        .size:           8
        .value_kind:     global_buffer
      - .address_space:  global
        .offset:         56
        .size:           8
        .value_kind:     global_buffer
      - .offset:         64
        .size:           1
        .value_kind:     by_value
      - .offset:         65
        .size:           1
        .value_kind:     by_value
    .group_segment_fixed_size: 0
    .kernarg_segment_align: 8
    .kernarg_segment_size: 68
    .language:       OpenCL C
    .language_version:
      - 2
      - 0
    .max_flat_workgroup_size: 64
    .name:           _ZN7rocprim17ROCPRIM_304000_NS6detail20lookback_scan_kernelILNS1_25lookback_scan_determinismE0ELb0ENS1_19wrapped_scan_configINS0_14default_configEsEEPKsPsSt4plusIsEssNS1_19lookback_scan_stateIsLb1ELb1EEEEEvT2_T3_mT5_T4_T7_jPT6_SK_bb
    .private_segment_fixed_size: 0
    .sgpr_count:     0
    .sgpr_spill_count: 0
    .symbol:         _ZN7rocprim17ROCPRIM_304000_NS6detail20lookback_scan_kernelILNS1_25lookback_scan_determinismE0ELb0ENS1_19wrapped_scan_configINS0_14default_configEsEEPKsPsSt4plusIsEssNS1_19lookback_scan_stateIsLb1ELb1EEEEEvT2_T3_mT5_T4_T7_jPT6_SK_bb.kd
    .uniform_work_group_size: 1
    .uses_dynamic_stack: false
    .vgpr_count:     0
    .vgpr_spill_count: 0
    .wavefront_size: 32
    .workgroup_processor_mode: 1
  - .args:
      - .address_space:  global
        .offset:         0
        .size:           8
        .value_kind:     global_buffer
      - .address_space:  global
        .offset:         8
        .size:           8
        .value_kind:     global_buffer
      - .offset:         16
        .size:           8
        .value_kind:     by_value
      - .offset:         24
        .size:           2
        .value_kind:     by_value
      - .offset:         26
        .size:           1
        .value_kind:     by_value
      - .address_space:  global
        .offset:         32
        .size:           8
        .value_kind:     global_buffer
      - .offset:         40
        .size:           4
        .value_kind:     by_value
      - .address_space:  global
        .offset:         48
        .size:           8
        .value_kind:     global_buffer
      - .address_space:  global
        .offset:         56
        .size:           8
        .value_kind:     global_buffer
      - .offset:         64
        .size:           1
        .value_kind:     by_value
      - .offset:         65
        .size:           1
        .value_kind:     by_value
    .group_segment_fixed_size: 2816
    .kernarg_segment_align: 8
    .kernarg_segment_size: 68
    .language:       OpenCL C
    .language_version:
      - 2
      - 0
    .max_flat_workgroup_size: 64
    .name:           _ZN7rocprim17ROCPRIM_304000_NS6detail20lookback_scan_kernelILNS1_25lookback_scan_determinismE0ELb0ENS1_19wrapped_scan_configINS0_14default_configEsEEPKsPsSt4plusIsEssNS1_19lookback_scan_stateIsLb0ELb1EEEEEvT2_T3_mT5_T4_T7_jPT6_SK_bb
    .private_segment_fixed_size: 0
    .sgpr_count:     21
    .sgpr_spill_count: 0
    .symbol:         _ZN7rocprim17ROCPRIM_304000_NS6detail20lookback_scan_kernelILNS1_25lookback_scan_determinismE0ELb0ENS1_19wrapped_scan_configINS0_14default_configEsEEPKsPsSt4plusIsEssNS1_19lookback_scan_stateIsLb0ELb1EEEEEvT2_T3_mT5_T4_T7_jPT6_SK_bb.kd
    .uniform_work_group_size: 1
    .uses_dynamic_stack: false
    .vgpr_count:     50
    .vgpr_spill_count: 0
    .wavefront_size: 32
    .workgroup_processor_mode: 1
  - .args:
      - .address_space:  global
        .offset:         0
        .size:           8
        .value_kind:     global_buffer
      - .offset:         8
        .size:           8
        .value_kind:     by_value
      - .address_space:  global
        .offset:         16
        .size:           8
        .value_kind:     global_buffer
      - .offset:         24
        .size:           1
        .value_kind:     by_value
      - .offset:         32
        .size:           4
        .value_kind:     hidden_block_count_x
      - .offset:         36
        .size:           4
        .value_kind:     hidden_block_count_y
      - .offset:         40
        .size:           4
        .value_kind:     hidden_block_count_z
      - .offset:         44
        .size:           2
        .value_kind:     hidden_group_size_x
      - .offset:         46
        .size:           2
        .value_kind:     hidden_group_size_y
      - .offset:         48
        .size:           2
        .value_kind:     hidden_group_size_z
      - .offset:         50
        .size:           2
        .value_kind:     hidden_remainder_x
      - .offset:         52
        .size:           2
        .value_kind:     hidden_remainder_y
      - .offset:         54
        .size:           2
        .value_kind:     hidden_remainder_z
      - .offset:         72
        .size:           8
        .value_kind:     hidden_global_offset_x
      - .offset:         80
        .size:           8
        .value_kind:     hidden_global_offset_y
      - .offset:         88
        .size:           8
        .value_kind:     hidden_global_offset_z
      - .offset:         96
        .size:           2
        .value_kind:     hidden_grid_dims
    .group_segment_fixed_size: 0
    .kernarg_segment_align: 8
    .kernarg_segment_size: 288
    .language:       OpenCL C
    .language_version:
      - 2
      - 0
    .max_flat_workgroup_size: 1024
    .name:           _ZN7rocprim17ROCPRIM_304000_NS6detail16transform_kernelINS1_24wrapped_transform_configINS0_14default_configEsEEsPsS6_NS0_8identityIsEEEEvT1_mT2_T3_
    .private_segment_fixed_size: 0
    .sgpr_count:     18
    .sgpr_spill_count: 0
    .symbol:         _ZN7rocprim17ROCPRIM_304000_NS6detail16transform_kernelINS1_24wrapped_transform_configINS0_14default_configEsEEsPsS6_NS0_8identityIsEEEEvT1_mT2_T3_.kd
    .uniform_work_group_size: 1
    .uses_dynamic_stack: false
    .vgpr_count:     6
    .vgpr_spill_count: 0
    .wavefront_size: 32
    .workgroup_processor_mode: 1
  - .args:
      - .address_space:  global
        .offset:         0
        .size:           8
        .value_kind:     global_buffer
      - .offset:         8
        .size:           8
        .value_kind:     by_value
      - .offset:         16
        .size:           2
        .value_kind:     by_value
      - .address_space:  global
        .offset:         24
        .size:           8
        .value_kind:     global_buffer
      - .offset:         32
        .size:           1
        .value_kind:     by_value
    .group_segment_fixed_size: 2816
    .kernarg_segment_align: 8
    .kernarg_segment_size: 36
    .language:       OpenCL C
    .language_version:
      - 2
      - 0
    .max_flat_workgroup_size: 64
    .name:           _ZN7rocprim17ROCPRIM_304000_NS6detail18single_scan_kernelILb0ENS1_19wrapped_scan_configINS0_14default_configEsEEPKsPsSt4plusIsEssEEvT1_mT4_T2_T3_
    .private_segment_fixed_size: 0
    .sgpr_count:     27
    .sgpr_spill_count: 0
    .symbol:         _ZN7rocprim17ROCPRIM_304000_NS6detail18single_scan_kernelILb0ENS1_19wrapped_scan_configINS0_14default_configEsEEPKsPsSt4plusIsEssEEvT1_mT4_T2_T3_.kd
    .uniform_work_group_size: 1
    .uses_dynamic_stack: false
    .vgpr_count:     32
    .vgpr_spill_count: 0
    .wavefront_size: 32
    .workgroup_processor_mode: 1
  - .args:
      - .address_space:  global
        .offset:         0
        .size:           8
        .value_kind:     global_buffer
      - .address_space:  global
        .offset:         8
        .size:           8
        .value_kind:     global_buffer
      - .offset:         16
        .size:           4
        .value_kind:     by_value
      - .offset:         20
        .size:           4
        .value_kind:     by_value
      - .offset:         24
        .size:           4
        .value_kind:     by_value
      - .offset:         28
        .size:           2
        .value_kind:     by_value
      - .offset:         30
        .size:           1
        .value_kind:     by_value
      - .offset:         32
        .size:           4
        .value_kind:     hidden_block_count_x
      - .offset:         36
        .size:           4
        .value_kind:     hidden_block_count_y
      - .offset:         40
        .size:           4
        .value_kind:     hidden_block_count_z
      - .offset:         44
        .size:           2
        .value_kind:     hidden_group_size_x
      - .offset:         46
        .size:           2
        .value_kind:     hidden_group_size_y
      - .offset:         48
        .size:           2
        .value_kind:     hidden_group_size_z
      - .offset:         50
        .size:           2
        .value_kind:     hidden_remainder_x
      - .offset:         52
        .size:           2
        .value_kind:     hidden_remainder_y
      - .offset:         54
        .size:           2
        .value_kind:     hidden_remainder_z
      - .offset:         72
        .size:           8
        .value_kind:     hidden_global_offset_x
      - .offset:         80
        .size:           8
        .value_kind:     hidden_global_offset_y
      - .offset:         88
        .size:           8
        .value_kind:     hidden_global_offset_z
      - .offset:         96
        .size:           2
        .value_kind:     hidden_grid_dims
      - .offset:         152
        .size:           4
        .value_kind:     hidden_dynamic_lds_size
    .group_segment_fixed_size: 0
    .kernarg_segment_align: 8
    .kernarg_segment_size: 288
    .language:       OpenCL C
    .language_version:
      - 2
      - 0
    .max_flat_workgroup_size: 1024
    .name:           _ZN2at6native32tensor_kernel_scan_innermost_dimIsSt4plusIsEEEvPT_PKS4_jjjS4_T0_
    .private_segment_fixed_size: 0
    .sgpr_count:     28
    .sgpr_spill_count: 0
    .symbol:         _ZN2at6native32tensor_kernel_scan_innermost_dimIsSt4plusIsEEEvPT_PKS4_jjjS4_T0_.kd
    .uniform_work_group_size: 1
    .uses_dynamic_stack: false
    .vgpr_count:     20
    .vgpr_spill_count: 0
    .wavefront_size: 32
    .workgroup_processor_mode: 1
  - .args:
      - .address_space:  global
        .offset:         0
        .size:           8
        .value_kind:     global_buffer
      - .address_space:  global
        .offset:         8
        .size:           8
        .value_kind:     global_buffer
      - .offset:         16
        .size:           4
        .value_kind:     by_value
      - .offset:         20
        .size:           4
        .value_kind:     by_value
      - .offset:         24
        .size:           4
        .value_kind:     by_value
      - .offset:         28
        .size:           2
        .value_kind:     by_value
      - .offset:         30
        .size:           1
        .value_kind:     by_value
      - .offset:         32
        .size:           4
        .value_kind:     hidden_block_count_x
      - .offset:         36
        .size:           4
        .value_kind:     hidden_block_count_y
      - .offset:         40
        .size:           4
        .value_kind:     hidden_block_count_z
      - .offset:         44
        .size:           2
        .value_kind:     hidden_group_size_x
      - .offset:         46
        .size:           2
        .value_kind:     hidden_group_size_y
      - .offset:         48
        .size:           2
        .value_kind:     hidden_group_size_z
      - .offset:         50
        .size:           2
        .value_kind:     hidden_remainder_x
      - .offset:         52
        .size:           2
        .value_kind:     hidden_remainder_y
      - .offset:         54
        .size:           2
        .value_kind:     hidden_remainder_z
      - .offset:         72
        .size:           8
        .value_kind:     hidden_global_offset_x
      - .offset:         80
        .size:           8
        .value_kind:     hidden_global_offset_y
      - .offset:         88
        .size:           8
        .value_kind:     hidden_global_offset_z
      - .offset:         96
        .size:           2
        .value_kind:     hidden_grid_dims
    .group_segment_fixed_size: 0
    .kernarg_segment_align: 8
    .kernarg_segment_size: 288
    .language:       OpenCL C
    .language_version:
      - 2
      - 0
    .max_flat_workgroup_size: 1024
    .name:           _ZN2at6native28tensor_kernel_scan_outer_dimIsjSt4plusIsEEEvPT_PKS4_jjjS4_T1_
    .private_segment_fixed_size: 0
    .sgpr_count:     28
    .sgpr_spill_count: 0
    .symbol:         _ZN2at6native28tensor_kernel_scan_outer_dimIsjSt4plusIsEEEvPT_PKS4_jjjS4_T1_.kd
    .uniform_work_group_size: 1
    .uses_dynamic_stack: false
    .vgpr_count:     9
    .vgpr_spill_count: 0
    .wavefront_size: 32
    .workgroup_processor_mode: 1
  - .args:
      - .address_space:  global
        .offset:         0
        .size:           8
        .value_kind:     global_buffer
      - .address_space:  global
        .offset:         8
        .size:           8
        .value_kind:     global_buffer
      - .offset:         16
        .size:           4
        .value_kind:     by_value
      - .offset:         20
        .size:           4
        .value_kind:     by_value
      - .offset:         24
        .size:           4
        .value_kind:     by_value
      - .offset:         28
        .size:           2
        .value_kind:     by_value
      - .offset:         30
        .size:           1
        .value_kind:     by_value
      - .offset:         32
        .size:           4
        .value_kind:     hidden_block_count_x
      - .offset:         36
        .size:           4
        .value_kind:     hidden_block_count_y
      - .offset:         40
        .size:           4
        .value_kind:     hidden_block_count_z
      - .offset:         44
        .size:           2
        .value_kind:     hidden_group_size_x
      - .offset:         46
        .size:           2
        .value_kind:     hidden_group_size_y
      - .offset:         48
        .size:           2
        .value_kind:     hidden_group_size_z
      - .offset:         50
        .size:           2
        .value_kind:     hidden_remainder_x
      - .offset:         52
        .size:           2
        .value_kind:     hidden_remainder_y
      - .offset:         54
        .size:           2
        .value_kind:     hidden_remainder_z
      - .offset:         72
        .size:           8
        .value_kind:     hidden_global_offset_x
      - .offset:         80
        .size:           8
        .value_kind:     hidden_global_offset_y
      - .offset:         88
        .size:           8
        .value_kind:     hidden_global_offset_z
      - .offset:         96
        .size:           2
        .value_kind:     hidden_grid_dims
    .group_segment_fixed_size: 0
    .kernarg_segment_align: 8
    .kernarg_segment_size: 288
    .language:       OpenCL C
    .language_version:
      - 2
      - 0
    .max_flat_workgroup_size: 1024
    .name:           _ZN2at6native28tensor_kernel_scan_outer_dimIsmSt4plusIsEEEvPT_PKS4_jjjS4_T1_
    .private_segment_fixed_size: 0
    .sgpr_count:     27
    .sgpr_spill_count: 0
    .symbol:         _ZN2at6native28tensor_kernel_scan_outer_dimIsmSt4plusIsEEEvPT_PKS4_jjjS4_T1_.kd
    .uniform_work_group_size: 1
    .uses_dynamic_stack: false
    .vgpr_count:     9
    .vgpr_spill_count: 0
    .wavefront_size: 32
    .workgroup_processor_mode: 1
  - .args:
      - .address_space:  global
        .offset:         0
        .size:           8
        .value_kind:     global_buffer
      - .address_space:  global
        .offset:         8
        .size:           8
        .value_kind:     global_buffer
      - .offset:         16
        .size:           8
        .value_kind:     by_value
      - .offset:         24
        .size:           4
        .value_kind:     by_value
    .group_segment_fixed_size: 64
    .kernarg_segment_align: 8
    .kernarg_segment_size: 28
    .language:       OpenCL C
    .language_version:
      - 2
      - 0
    .max_flat_workgroup_size: 1024
    .name:           _ZN2at4cuda3cub15calc_block_sumsILi256ELi16ELb0EddEEvPKT2_PT3_li
    .private_segment_fixed_size: 0
    .sgpr_count:     70
    .sgpr_spill_count: 0
    .symbol:         _ZN2at4cuda3cub15calc_block_sumsILi256ELi16ELb0EddEEvPKT2_PT3_li.kd
    .uniform_work_group_size: 1
    .uses_dynamic_stack: false
    .vgpr_count:     57
    .vgpr_spill_count: 0
    .wavefront_size: 32
    .workgroup_processor_mode: 1
  - .args:
      - .address_space:  global
        .offset:         0
        .size:           8
        .value_kind:     global_buffer
      - .address_space:  global
        .offset:         8
        .size:           8
        .value_kind:     global_buffer
      - .address_space:  global
        .offset:         16
        .size:           8
        .value_kind:     global_buffer
      - .offset:         24
        .size:           8
        .value_kind:     by_value
      - .offset:         32
        .size:           4
        .value_kind:     by_value
      - .offset:         40
        .size:           4
        .value_kind:     hidden_block_count_x
      - .offset:         44
        .size:           4
        .value_kind:     hidden_block_count_y
      - .offset:         48
        .size:           4
        .value_kind:     hidden_block_count_z
      - .offset:         52
        .size:           2
        .value_kind:     hidden_group_size_x
      - .offset:         54
        .size:           2
        .value_kind:     hidden_group_size_y
      - .offset:         56
        .size:           2
        .value_kind:     hidden_group_size_z
      - .offset:         58
        .size:           2
        .value_kind:     hidden_remainder_x
      - .offset:         60
        .size:           2
        .value_kind:     hidden_remainder_y
      - .offset:         62
        .size:           2
        .value_kind:     hidden_remainder_z
      - .offset:         80
        .size:           8
        .value_kind:     hidden_global_offset_x
      - .offset:         88
        .size:           8
        .value_kind:     hidden_global_offset_y
      - .offset:         96
        .size:           8
        .value_kind:     hidden_global_offset_z
      - .offset:         104
        .size:           2
        .value_kind:     hidden_grid_dims
    .group_segment_fixed_size: 33792
    .kernarg_segment_align: 8
    .kernarg_segment_size: 296
    .language:       OpenCL C
    .language_version:
      - 2
      - 0
    .max_flat_workgroup_size: 1024
    .name:           _ZN2at4cuda3cub17final_scan_kernelILi256ELi16EdEEvPKT1_PS3_S6_li
    .private_segment_fixed_size: 0
    .sgpr_count:     70
    .sgpr_spill_count: 0
    .symbol:         _ZN2at4cuda3cub17final_scan_kernelILi256ELi16EdEEvPKT1_PS3_S6_li.kd
    .uniform_work_group_size: 1
    .uses_dynamic_stack: false
    .vgpr_count:     111
    .vgpr_spill_count: 0
    .wavefront_size: 32
    .workgroup_processor_mode: 1
  - .args:
      - .address_space:  global
        .offset:         0
        .size:           8
        .value_kind:     global_buffer
      - .offset:         8
        .size:           4
        .value_kind:     by_value
      - .offset:         12
        .size:           4
        .value_kind:     by_value
      - .address_space:  global
        .offset:         16
        .size:           8
        .value_kind:     global_buffer
      - .offset:         24
        .size:           4
        .value_kind:     hidden_block_count_x
      - .offset:         28
        .size:           4
        .value_kind:     hidden_block_count_y
      - .offset:         32
        .size:           4
        .value_kind:     hidden_block_count_z
      - .offset:         36
        .size:           2
        .value_kind:     hidden_group_size_x
      - .offset:         38
        .size:           2
        .value_kind:     hidden_group_size_y
      - .offset:         40
        .size:           2
        .value_kind:     hidden_group_size_z
      - .offset:         42
        .size:           2
        .value_kind:     hidden_remainder_x
      - .offset:         44
        .size:           2
        .value_kind:     hidden_remainder_y
      - .offset:         46
        .size:           2
        .value_kind:     hidden_remainder_z
      - .offset:         64
        .size:           8
        .value_kind:     hidden_global_offset_x
      - .offset:         72
        .size:           8
        .value_kind:     hidden_global_offset_y
      - .offset:         80
        .size:           8
        .value_kind:     hidden_global_offset_z
      - .offset:         88
        .size:           2
        .value_kind:     hidden_grid_dims
    .group_segment_fixed_size: 0
    .kernarg_segment_align: 8
    .kernarg_segment_size: 280
    .language:       OpenCL C
    .language_version:
      - 2
      - 0
    .max_flat_workgroup_size: 256
    .name:           _ZN7rocprim17ROCPRIM_304000_NS6detail31init_lookback_scan_state_kernelINS1_19lookback_scan_stateIdLb1ELb1EEEEEvT_jjPNS5_10value_typeE
    .private_segment_fixed_size: 0
    .sgpr_count:     18
    .sgpr_spill_count: 0
    .symbol:         _ZN7rocprim17ROCPRIM_304000_NS6detail31init_lookback_scan_state_kernelINS1_19lookback_scan_stateIdLb1ELb1EEEEEvT_jjPNS5_10value_typeE.kd
    .uniform_work_group_size: 1
    .uses_dynamic_stack: false
    .vgpr_count:     9
    .vgpr_spill_count: 0
    .wavefront_size: 32
    .workgroup_processor_mode: 1
  - .args:
      - .address_space:  global
        .offset:         0
        .size:           8
        .value_kind:     global_buffer
      - .offset:         8
        .size:           4
        .value_kind:     by_value
      - .offset:         12
        .size:           4
        .value_kind:     by_value
      - .address_space:  global
        .offset:         16
        .size:           8
        .value_kind:     global_buffer
      - .offset:         24
        .size:           4
        .value_kind:     hidden_block_count_x
      - .offset:         28
        .size:           4
        .value_kind:     hidden_block_count_y
      - .offset:         32
        .size:           4
        .value_kind:     hidden_block_count_z
      - .offset:         36
        .size:           2
        .value_kind:     hidden_group_size_x
      - .offset:         38
        .size:           2
        .value_kind:     hidden_group_size_y
      - .offset:         40
        .size:           2
        .value_kind:     hidden_group_size_z
      - .offset:         42
        .size:           2
        .value_kind:     hidden_remainder_x
      - .offset:         44
        .size:           2
        .value_kind:     hidden_remainder_y
      - .offset:         46
        .size:           2
        .value_kind:     hidden_remainder_z
      - .offset:         64
        .size:           8
        .value_kind:     hidden_global_offset_x
      - .offset:         72
        .size:           8
        .value_kind:     hidden_global_offset_y
      - .offset:         80
        .size:           8
        .value_kind:     hidden_global_offset_z
      - .offset:         88
        .size:           2
        .value_kind:     hidden_grid_dims
    .group_segment_fixed_size: 0
    .kernarg_segment_align: 8
    .kernarg_segment_size: 280
    .language:       OpenCL C
    .language_version:
      - 2
      - 0
    .max_flat_workgroup_size: 256
    .name:           _ZN7rocprim17ROCPRIM_304000_NS6detail31init_lookback_scan_state_kernelINS1_19lookback_scan_stateIdLb0ELb1EEEEEvT_jjPNS5_10value_typeE
    .private_segment_fixed_size: 0
    .sgpr_count:     18
    .sgpr_spill_count: 0
    .symbol:         _ZN7rocprim17ROCPRIM_304000_NS6detail31init_lookback_scan_state_kernelINS1_19lookback_scan_stateIdLb0ELb1EEEEEvT_jjPNS5_10value_typeE.kd
    .uniform_work_group_size: 1
    .uses_dynamic_stack: false
    .vgpr_count:     9
    .vgpr_spill_count: 0
    .wavefront_size: 32
    .workgroup_processor_mode: 1
  - .args:
      - .address_space:  global
        .offset:         0
        .size:           8
        .value_kind:     global_buffer
      - .address_space:  global
        .offset:         8
        .size:           8
        .value_kind:     global_buffer
      - .offset:         16
        .size:           8
        .value_kind:     by_value
      - .offset:         24
        .size:           8
        .value_kind:     by_value
      - .offset:         32
        .size:           1
        .value_kind:     by_value
      - .address_space:  global
        .offset:         40
        .size:           8
        .value_kind:     global_buffer
      - .offset:         48
        .size:           4
        .value_kind:     by_value
      - .address_space:  global
        .offset:         56
        .size:           8
        .value_kind:     global_buffer
      - .address_space:  global
        .offset:         64
        .size:           8
        .value_kind:     global_buffer
      - .offset:         72
        .size:           1
        .value_kind:     by_value
      - .offset:         73
        .size:           1
        .value_kind:     by_value
    .group_segment_fixed_size: 0
    .kernarg_segment_align: 8
    .kernarg_segment_size: 76
    .language:       OpenCL C
    .language_version:
      - 2
      - 0
    .max_flat_workgroup_size: 256
    .name:           _ZN7rocprim17ROCPRIM_304000_NS6detail20lookback_scan_kernelILNS1_25lookback_scan_determinismE0ELb0ENS1_19wrapped_scan_configINS0_14default_configEdEEPKdPdSt4plusIdEddNS1_19lookback_scan_stateIdLb1ELb1EEEEEvT2_T3_mT5_T4_T7_jPT6_SK_bb
    .private_segment_fixed_size: 0
    .sgpr_count:     0
    .sgpr_spill_count: 0
    .symbol:         _ZN7rocprim17ROCPRIM_304000_NS6detail20lookback_scan_kernelILNS1_25lookback_scan_determinismE0ELb0ENS1_19wrapped_scan_configINS0_14default_configEdEEPKdPdSt4plusIdEddNS1_19lookback_scan_stateIdLb1ELb1EEEEEvT2_T3_mT5_T4_T7_jPT6_SK_bb.kd
    .uniform_work_group_size: 1
    .uses_dynamic_stack: false
    .vgpr_count:     0
    .vgpr_spill_count: 0
    .wavefront_size: 32
    .workgroup_processor_mode: 1
  - .args:
      - .address_space:  global
        .offset:         0
        .size:           8
        .value_kind:     global_buffer
      - .address_space:  global
        .offset:         8
        .size:           8
        .value_kind:     global_buffer
      - .offset:         16
        .size:           8
        .value_kind:     by_value
      - .offset:         24
        .size:           8
        .value_kind:     by_value
      - .offset:         32
        .size:           1
        .value_kind:     by_value
      - .address_space:  global
        .offset:         40
        .size:           8
        .value_kind:     global_buffer
      - .offset:         48
        .size:           4
        .value_kind:     by_value
      - .address_space:  global
        .offset:         56
        .size:           8
        .value_kind:     global_buffer
      - .address_space:  global
        .offset:         64
        .size:           8
        .value_kind:     global_buffer
      - .offset:         72
        .size:           1
        .value_kind:     by_value
      - .offset:         73
        .size:           1
        .value_kind:     by_value
    .group_segment_fixed_size: 33792
    .kernarg_segment_align: 8
    .kernarg_segment_size: 76
    .language:       OpenCL C
    .language_version:
      - 2
      - 0
    .max_flat_workgroup_size: 256
    .name:           _ZN7rocprim17ROCPRIM_304000_NS6detail20lookback_scan_kernelILNS1_25lookback_scan_determinismE0ELb0ENS1_19wrapped_scan_configINS0_14default_configEdEEPKdPdSt4plusIdEddNS1_19lookback_scan_stateIdLb0ELb1EEEEEvT2_T3_mT5_T4_T7_jPT6_SK_bb
    .private_segment_fixed_size: 0
    .sgpr_count:     70
    .sgpr_spill_count: 0
    .symbol:         _ZN7rocprim17ROCPRIM_304000_NS6detail20lookback_scan_kernelILNS1_25lookback_scan_determinismE0ELb0ENS1_19wrapped_scan_configINS0_14default_configEdEEPKdPdSt4plusIdEddNS1_19lookback_scan_stateIdLb0ELb1EEEEEvT2_T3_mT5_T4_T7_jPT6_SK_bb.kd
    .uniform_work_group_size: 1
    .uses_dynamic_stack: false
    .vgpr_count:     96
    .vgpr_spill_count: 0
    .wavefront_size: 32
    .workgroup_processor_mode: 1
  - .args:
      - .address_space:  global
        .offset:         0
        .size:           8
        .value_kind:     global_buffer
      - .offset:         8
        .size:           8
        .value_kind:     by_value
      - .address_space:  global
        .offset:         16
        .size:           8
        .value_kind:     global_buffer
      - .offset:         24
        .size:           1
        .value_kind:     by_value
      - .offset:         32
        .size:           4
        .value_kind:     hidden_block_count_x
      - .offset:         36
        .size:           4
        .value_kind:     hidden_block_count_y
      - .offset:         40
        .size:           4
        .value_kind:     hidden_block_count_z
      - .offset:         44
        .size:           2
        .value_kind:     hidden_group_size_x
      - .offset:         46
        .size:           2
        .value_kind:     hidden_group_size_y
      - .offset:         48
        .size:           2
        .value_kind:     hidden_group_size_z
      - .offset:         50
        .size:           2
        .value_kind:     hidden_remainder_x
      - .offset:         52
        .size:           2
        .value_kind:     hidden_remainder_y
      - .offset:         54
        .size:           2
        .value_kind:     hidden_remainder_z
      - .offset:         72
        .size:           8
        .value_kind:     hidden_global_offset_x
      - .offset:         80
        .size:           8
        .value_kind:     hidden_global_offset_y
      - .offset:         88
        .size:           8
        .value_kind:     hidden_global_offset_z
      - .offset:         96
        .size:           2
        .value_kind:     hidden_grid_dims
    .group_segment_fixed_size: 0
    .kernarg_segment_align: 8
    .kernarg_segment_size: 288
    .language:       OpenCL C
    .language_version:
      - 2
      - 0
    .max_flat_workgroup_size: 512
    .name:           _ZN7rocprim17ROCPRIM_304000_NS6detail16transform_kernelINS1_24wrapped_transform_configINS0_14default_configEdEEdPdS6_NS0_8identityIdEEEEvT1_mT2_T3_
    .private_segment_fixed_size: 0
    .sgpr_count:     18
    .sgpr_spill_count: 0
    .symbol:         _ZN7rocprim17ROCPRIM_304000_NS6detail16transform_kernelINS1_24wrapped_transform_configINS0_14default_configEdEEdPdS6_NS0_8identityIdEEEEvT1_mT2_T3_.kd
    .uniform_work_group_size: 1
    .uses_dynamic_stack: false
    .vgpr_count:     5
    .vgpr_spill_count: 0
    .wavefront_size: 32
    .workgroup_processor_mode: 1
  - .args:
      - .address_space:  global
        .offset:         0
        .size:           8
        .value_kind:     global_buffer
      - .offset:         8
        .size:           8
        .value_kind:     by_value
      - .offset:         16
        .size:           8
        .value_kind:     by_value
      - .address_space:  global
        .offset:         24
        .size:           8
        .value_kind:     global_buffer
      - .offset:         32
        .size:           1
        .value_kind:     by_value
    .group_segment_fixed_size: 33792
    .kernarg_segment_align: 8
    .kernarg_segment_size: 36
    .language:       OpenCL C
    .language_version:
      - 2
      - 0
    .max_flat_workgroup_size: 256
    .name:           _ZN7rocprim17ROCPRIM_304000_NS6detail18single_scan_kernelILb0ENS1_19wrapped_scan_configINS0_14default_configEdEEPKdPdSt4plusIdEddEEvT1_mT4_T2_T3_
    .private_segment_fixed_size: 0
    .sgpr_count:     70
    .sgpr_spill_count: 0
    .symbol:         _ZN7rocprim17ROCPRIM_304000_NS6detail18single_scan_kernelILb0ENS1_19wrapped_scan_configINS0_14default_configEdEEPKdPdSt4plusIdEddEEvT1_mT4_T2_T3_.kd
    .uniform_work_group_size: 1
    .uses_dynamic_stack: false
    .vgpr_count:     90
    .vgpr_spill_count: 0
    .wavefront_size: 32
    .workgroup_processor_mode: 1
  - .args:
      - .address_space:  global
        .offset:         0
        .size:           8
        .value_kind:     global_buffer
      - .address_space:  global
        .offset:         8
        .size:           8
        .value_kind:     global_buffer
      - .offset:         16
        .size:           4
        .value_kind:     by_value
      - .offset:         20
        .size:           4
        .value_kind:     by_value
      - .offset:         24
        .size:           4
        .value_kind:     by_value
      - .offset:         32
        .size:           8
        .value_kind:     by_value
      - .offset:         40
        .size:           1
        .value_kind:     by_value
      - .offset:         48
        .size:           4
        .value_kind:     hidden_block_count_x
      - .offset:         52
        .size:           4
        .value_kind:     hidden_block_count_y
      - .offset:         56
        .size:           4
        .value_kind:     hidden_block_count_z
      - .offset:         60
        .size:           2
        .value_kind:     hidden_group_size_x
      - .offset:         62
        .size:           2
        .value_kind:     hidden_group_size_y
      - .offset:         64
        .size:           2
        .value_kind:     hidden_group_size_z
      - .offset:         66
        .size:           2
        .value_kind:     hidden_remainder_x
      - .offset:         68
        .size:           2
        .value_kind:     hidden_remainder_y
      - .offset:         70
        .size:           2
        .value_kind:     hidden_remainder_z
      - .offset:         88
        .size:           8
        .value_kind:     hidden_global_offset_x
      - .offset:         96
        .size:           8
        .value_kind:     hidden_global_offset_y
      - .offset:         104
        .size:           8
        .value_kind:     hidden_global_offset_z
      - .offset:         112
        .size:           2
        .value_kind:     hidden_grid_dims
      - .offset:         168
        .size:           4
        .value_kind:     hidden_dynamic_lds_size
    .group_segment_fixed_size: 0
    .kernarg_segment_align: 8
    .kernarg_segment_size: 304
    .language:       OpenCL C
    .language_version:
      - 2
      - 0
    .max_flat_workgroup_size: 1024
    .name:           _ZN2at6native32tensor_kernel_scan_innermost_dimIdSt4plusIdEEEvPT_PKS4_jjjS4_T0_
    .private_segment_fixed_size: 0
    .sgpr_count:     29
    .sgpr_spill_count: 0
    .symbol:         _ZN2at6native32tensor_kernel_scan_innermost_dimIdSt4plusIdEEEvPT_PKS4_jjjS4_T0_.kd
    .uniform_work_group_size: 1
    .uses_dynamic_stack: false
    .vgpr_count:     22
    .vgpr_spill_count: 0
    .wavefront_size: 32
    .workgroup_processor_mode: 1
  - .args:
      - .address_space:  global
        .offset:         0
        .size:           8
        .value_kind:     global_buffer
      - .address_space:  global
        .offset:         8
        .size:           8
        .value_kind:     global_buffer
      - .offset:         16
        .size:           4
        .value_kind:     by_value
      - .offset:         20
        .size:           4
        .value_kind:     by_value
      - .offset:         24
        .size:           4
        .value_kind:     by_value
      - .offset:         32
        .size:           8
        .value_kind:     by_value
      - .offset:         40
        .size:           1
        .value_kind:     by_value
      - .offset:         48
        .size:           4
        .value_kind:     hidden_block_count_x
      - .offset:         52
        .size:           4
        .value_kind:     hidden_block_count_y
      - .offset:         56
        .size:           4
        .value_kind:     hidden_block_count_z
      - .offset:         60
        .size:           2
        .value_kind:     hidden_group_size_x
      - .offset:         62
        .size:           2
        .value_kind:     hidden_group_size_y
      - .offset:         64
        .size:           2
        .value_kind:     hidden_group_size_z
      - .offset:         66
        .size:           2
        .value_kind:     hidden_remainder_x
      - .offset:         68
        .size:           2
        .value_kind:     hidden_remainder_y
      - .offset:         70
        .size:           2
        .value_kind:     hidden_remainder_z
      - .offset:         88
        .size:           8
        .value_kind:     hidden_global_offset_x
      - .offset:         96
        .size:           8
        .value_kind:     hidden_global_offset_y
      - .offset:         104
        .size:           8
        .value_kind:     hidden_global_offset_z
      - .offset:         112
        .size:           2
        .value_kind:     hidden_grid_dims
    .group_segment_fixed_size: 0
    .kernarg_segment_align: 8
    .kernarg_segment_size: 304
    .language:       OpenCL C
    .language_version:
      - 2
      - 0
    .max_flat_workgroup_size: 1024
    .name:           _ZN2at6native28tensor_kernel_scan_outer_dimIdjSt4plusIdEEEvPT_PKS4_jjjS4_T1_
    .private_segment_fixed_size: 0
    .sgpr_count:     29
    .sgpr_spill_count: 0
    .symbol:         _ZN2at6native28tensor_kernel_scan_outer_dimIdjSt4plusIdEEEvPT_PKS4_jjjS4_T1_.kd
    .uniform_work_group_size: 1
    .uses_dynamic_stack: false
    .vgpr_count:     9
    .vgpr_spill_count: 0
    .wavefront_size: 32
    .workgroup_processor_mode: 1
  - .args:
      - .address_space:  global
        .offset:         0
        .size:           8
        .value_kind:     global_buffer
      - .address_space:  global
        .offset:         8
        .size:           8
        .value_kind:     global_buffer
      - .offset:         16
        .size:           4
        .value_kind:     by_value
      - .offset:         20
        .size:           4
        .value_kind:     by_value
      - .offset:         24
        .size:           4
        .value_kind:     by_value
      - .offset:         32
        .size:           8
        .value_kind:     by_value
      - .offset:         40
        .size:           1
        .value_kind:     by_value
      - .offset:         48
        .size:           4
        .value_kind:     hidden_block_count_x
      - .offset:         52
        .size:           4
        .value_kind:     hidden_block_count_y
      - .offset:         56
        .size:           4
        .value_kind:     hidden_block_count_z
      - .offset:         60
        .size:           2
        .value_kind:     hidden_group_size_x
      - .offset:         62
        .size:           2
        .value_kind:     hidden_group_size_y
      - .offset:         64
        .size:           2
        .value_kind:     hidden_group_size_z
      - .offset:         66
        .size:           2
        .value_kind:     hidden_remainder_x
      - .offset:         68
        .size:           2
        .value_kind:     hidden_remainder_y
      - .offset:         70
        .size:           2
        .value_kind:     hidden_remainder_z
      - .offset:         88
        .size:           8
        .value_kind:     hidden_global_offset_x
      - .offset:         96
        .size:           8
        .value_kind:     hidden_global_offset_y
      - .offset:         104
        .size:           8
        .value_kind:     hidden_global_offset_z
      - .offset:         112
        .size:           2
        .value_kind:     hidden_grid_dims
    .group_segment_fixed_size: 0
    .kernarg_segment_align: 8
    .kernarg_segment_size: 304
    .language:       OpenCL C
    .language_version:
      - 2
      - 0
    .max_flat_workgroup_size: 1024
    .name:           _ZN2at6native28tensor_kernel_scan_outer_dimIdmSt4plusIdEEEvPT_PKS4_jjjS4_T1_
    .private_segment_fixed_size: 0
    .sgpr_count:     28
    .sgpr_spill_count: 0
    .symbol:         _ZN2at6native28tensor_kernel_scan_outer_dimIdmSt4plusIdEEEvPT_PKS4_jjjS4_T1_.kd
    .uniform_work_group_size: 1
    .uses_dynamic_stack: false
    .vgpr_count:     9
    .vgpr_spill_count: 0
    .wavefront_size: 32
    .workgroup_processor_mode: 1
  - .args:
      - .address_space:  global
        .offset:         0
        .size:           8
        .value_kind:     global_buffer
      - .address_space:  global
        .offset:         8
        .size:           8
        .value_kind:     global_buffer
      - .offset:         16
        .size:           8
        .value_kind:     by_value
      - .offset:         24
        .size:           4
        .value_kind:     by_value
    .group_segment_fixed_size: 64
    .kernarg_segment_align: 8
    .kernarg_segment_size: 28
    .language:       OpenCL C
    .language_version:
      - 2
      - 0
    .max_flat_workgroup_size: 1024
    .name:           _ZN2at4cuda3cub15calc_block_sumsILi512ELi16ELb0EffEEvPKT2_PT3_li
    .private_segment_fixed_size: 0
    .sgpr_count:     30
    .sgpr_spill_count: 0
    .symbol:         _ZN2at4cuda3cub15calc_block_sumsILi512ELi16ELb0EffEEvPKT2_PT3_li.kd
    .uniform_work_group_size: 1
    .uses_dynamic_stack: false
    .vgpr_count:     41
    .vgpr_spill_count: 0
    .wavefront_size: 32
    .workgroup_processor_mode: 1
  - .args:
      - .address_space:  global
        .offset:         0
        .size:           8
        .value_kind:     global_buffer
      - .address_space:  global
        .offset:         8
        .size:           8
        .value_kind:     global_buffer
      - .address_space:  global
        .offset:         16
        .size:           8
        .value_kind:     global_buffer
      - .offset:         24
        .size:           8
        .value_kind:     by_value
      - .offset:         32
        .size:           4
        .value_kind:     by_value
      - .offset:         40
        .size:           4
        .value_kind:     hidden_block_count_x
      - .offset:         44
        .size:           4
        .value_kind:     hidden_block_count_y
      - .offset:         48
        .size:           4
        .value_kind:     hidden_block_count_z
      - .offset:         52
        .size:           2
        .value_kind:     hidden_group_size_x
      - .offset:         54
        .size:           2
        .value_kind:     hidden_group_size_y
      - .offset:         56
        .size:           2
        .value_kind:     hidden_group_size_z
      - .offset:         58
        .size:           2
        .value_kind:     hidden_remainder_x
      - .offset:         60
        .size:           2
        .value_kind:     hidden_remainder_y
      - .offset:         62
        .size:           2
        .value_kind:     hidden_remainder_z
      - .offset:         80
        .size:           8
        .value_kind:     hidden_global_offset_x
      - .offset:         88
        .size:           8
        .value_kind:     hidden_global_offset_y
      - .offset:         96
        .size:           8
        .value_kind:     hidden_global_offset_z
      - .offset:         104
        .size:           2
        .value_kind:     hidden_grid_dims
    .group_segment_fixed_size: 33792
    .kernarg_segment_align: 8
    .kernarg_segment_size: 296
    .language:       OpenCL C
    .language_version:
      - 2
      - 0
    .max_flat_workgroup_size: 1024
    .name:           _ZN2at4cuda3cub17final_scan_kernelILi512ELi16EfEEvPKT1_PS3_S6_li
    .private_segment_fixed_size: 0
    .sgpr_count:     34
    .sgpr_spill_count: 0
    .symbol:         _ZN2at4cuda3cub17final_scan_kernelILi512ELi16EfEEvPKT1_PS3_S6_li.kd
    .uniform_work_group_size: 1
    .uses_dynamic_stack: false
    .vgpr_count:     78
    .vgpr_spill_count: 0
    .wavefront_size: 32
    .workgroup_processor_mode: 1
  - .args:
      - .address_space:  global
        .offset:         0
        .size:           8
        .value_kind:     global_buffer
      - .offset:         8
        .size:           4
        .value_kind:     by_value
      - .offset:         12
        .size:           4
        .value_kind:     by_value
      - .address_space:  global
        .offset:         16
        .size:           8
        .value_kind:     global_buffer
      - .offset:         24
        .size:           4
        .value_kind:     hidden_block_count_x
      - .offset:         28
        .size:           4
        .value_kind:     hidden_block_count_y
      - .offset:         32
        .size:           4
        .value_kind:     hidden_block_count_z
      - .offset:         36
        .size:           2
        .value_kind:     hidden_group_size_x
      - .offset:         38
        .size:           2
        .value_kind:     hidden_group_size_y
      - .offset:         40
        .size:           2
        .value_kind:     hidden_group_size_z
      - .offset:         42
        .size:           2
        .value_kind:     hidden_remainder_x
      - .offset:         44
        .size:           2
        .value_kind:     hidden_remainder_y
      - .offset:         46
        .size:           2
        .value_kind:     hidden_remainder_z
      - .offset:         64
        .size:           8
        .value_kind:     hidden_global_offset_x
      - .offset:         72
        .size:           8
        .value_kind:     hidden_global_offset_y
      - .offset:         80
        .size:           8
        .value_kind:     hidden_global_offset_z
      - .offset:         88
        .size:           2
        .value_kind:     hidden_grid_dims
    .group_segment_fixed_size: 0
    .kernarg_segment_align: 8
    .kernarg_segment_size: 280
    .language:       OpenCL C
    .language_version:
      - 2
      - 0
    .max_flat_workgroup_size: 256
    .name:           _ZN7rocprim17ROCPRIM_304000_NS6detail31init_lookback_scan_state_kernelINS1_19lookback_scan_stateIfLb1ELb1EEEEEvT_jjPNS5_10value_typeE
    .private_segment_fixed_size: 0
    .sgpr_count:     18
    .sgpr_spill_count: 0
    .symbol:         _ZN7rocprim17ROCPRIM_304000_NS6detail31init_lookback_scan_state_kernelINS1_19lookback_scan_stateIfLb1ELb1EEEEEvT_jjPNS5_10value_typeE.kd
    .uniform_work_group_size: 1
    .uses_dynamic_stack: false
    .vgpr_count:     6
    .vgpr_spill_count: 0
    .wavefront_size: 32
    .workgroup_processor_mode: 1
  - .args:
      - .address_space:  global
        .offset:         0
        .size:           8
        .value_kind:     global_buffer
      - .offset:         8
        .size:           4
        .value_kind:     by_value
      - .offset:         12
        .size:           4
        .value_kind:     by_value
      - .address_space:  global
        .offset:         16
        .size:           8
        .value_kind:     global_buffer
      - .offset:         24
        .size:           4
        .value_kind:     hidden_block_count_x
      - .offset:         28
        .size:           4
        .value_kind:     hidden_block_count_y
      - .offset:         32
        .size:           4
        .value_kind:     hidden_block_count_z
      - .offset:         36
        .size:           2
        .value_kind:     hidden_group_size_x
      - .offset:         38
        .size:           2
        .value_kind:     hidden_group_size_y
      - .offset:         40
        .size:           2
        .value_kind:     hidden_group_size_z
      - .offset:         42
        .size:           2
        .value_kind:     hidden_remainder_x
      - .offset:         44
        .size:           2
        .value_kind:     hidden_remainder_y
      - .offset:         46
        .size:           2
        .value_kind:     hidden_remainder_z
      - .offset:         64
        .size:           8
        .value_kind:     hidden_global_offset_x
      - .offset:         72
        .size:           8
        .value_kind:     hidden_global_offset_y
      - .offset:         80
        .size:           8
        .value_kind:     hidden_global_offset_z
      - .offset:         88
        .size:           2
        .value_kind:     hidden_grid_dims
    .group_segment_fixed_size: 0
    .kernarg_segment_align: 8
    .kernarg_segment_size: 280
    .language:       OpenCL C
    .language_version:
      - 2
      - 0
    .max_flat_workgroup_size: 256
    .name:           _ZN7rocprim17ROCPRIM_304000_NS6detail31init_lookback_scan_state_kernelINS1_19lookback_scan_stateIfLb0ELb1EEEEEvT_jjPNS5_10value_typeE
    .private_segment_fixed_size: 0
    .sgpr_count:     18
    .sgpr_spill_count: 0
    .symbol:         _ZN7rocprim17ROCPRIM_304000_NS6detail31init_lookback_scan_state_kernelINS1_19lookback_scan_stateIfLb0ELb1EEEEEvT_jjPNS5_10value_typeE.kd
    .uniform_work_group_size: 1
    .uses_dynamic_stack: false
    .vgpr_count:     6
    .vgpr_spill_count: 0
    .wavefront_size: 32
    .workgroup_processor_mode: 1
  - .args:
      - .address_space:  global
        .offset:         0
        .size:           8
        .value_kind:     global_buffer
      - .address_space:  global
        .offset:         8
        .size:           8
        .value_kind:     global_buffer
      - .offset:         16
        .size:           8
        .value_kind:     by_value
      - .offset:         24
        .size:           4
        .value_kind:     by_value
      - .offset:         28
        .size:           1
        .value_kind:     by_value
      - .address_space:  global
        .offset:         32
        .size:           8
        .value_kind:     global_buffer
      - .offset:         40
        .size:           4
        .value_kind:     by_value
      - .address_space:  global
        .offset:         48
        .size:           8
        .value_kind:     global_buffer
      - .address_space:  global
        .offset:         56
        .size:           8
        .value_kind:     global_buffer
      - .offset:         64
        .size:           1
        .value_kind:     by_value
      - .offset:         65
        .size:           1
        .value_kind:     by_value
    .group_segment_fixed_size: 0
    .kernarg_segment_align: 8
    .kernarg_segment_size: 68
    .language:       OpenCL C
    .language_version:
      - 2
      - 0
    .max_flat_workgroup_size: 64
    .name:           _ZN7rocprim17ROCPRIM_304000_NS6detail20lookback_scan_kernelILNS1_25lookback_scan_determinismE0ELb0ENS1_19wrapped_scan_configINS0_14default_configEfEEPKfPfSt4plusIfEffNS1_19lookback_scan_stateIfLb1ELb1EEEEEvT2_T3_mT5_T4_T7_jPT6_SK_bb
    .private_segment_fixed_size: 0
    .sgpr_count:     0
    .sgpr_spill_count: 0
    .symbol:         _ZN7rocprim17ROCPRIM_304000_NS6detail20lookback_scan_kernelILNS1_25lookback_scan_determinismE0ELb0ENS1_19wrapped_scan_configINS0_14default_configEfEEPKfPfSt4plusIfEffNS1_19lookback_scan_stateIfLb1ELb1EEEEEvT2_T3_mT5_T4_T7_jPT6_SK_bb.kd
    .uniform_work_group_size: 1
    .uses_dynamic_stack: false
    .vgpr_count:     0
    .vgpr_spill_count: 0
    .wavefront_size: 32
    .workgroup_processor_mode: 1
  - .args:
      - .address_space:  global
        .offset:         0
        .size:           8
        .value_kind:     global_buffer
      - .address_space:  global
        .offset:         8
        .size:           8
        .value_kind:     global_buffer
      - .offset:         16
        .size:           8
        .value_kind:     by_value
      - .offset:         24
        .size:           4
        .value_kind:     by_value
      - .offset:         28
        .size:           1
        .value_kind:     by_value
      - .address_space:  global
        .offset:         32
        .size:           8
        .value_kind:     global_buffer
      - .offset:         40
        .size:           4
        .value_kind:     by_value
      - .address_space:  global
        .offset:         48
        .size:           8
        .value_kind:     global_buffer
      - .address_space:  global
        .offset:         56
        .size:           8
        .value_kind:     global_buffer
      - .offset:         64
        .size:           1
        .value_kind:     by_value
      - .offset:         65
        .size:           1
        .value_kind:     by_value
    .group_segment_fixed_size: 4224
    .kernarg_segment_align: 8
    .kernarg_segment_size: 68
    .language:       OpenCL C
    .language_version:
      - 2
      - 0
    .max_flat_workgroup_size: 64
    .name:           _ZN7rocprim17ROCPRIM_304000_NS6detail20lookback_scan_kernelILNS1_25lookback_scan_determinismE0ELb0ENS1_19wrapped_scan_configINS0_14default_configEfEEPKfPfSt4plusIfEffNS1_19lookback_scan_stateIfLb0ELb1EEEEEvT2_T3_mT5_T4_T7_jPT6_SK_bb
    .private_segment_fixed_size: 0
    .sgpr_count:     37
    .sgpr_spill_count: 0
    .symbol:         _ZN7rocprim17ROCPRIM_304000_NS6detail20lookback_scan_kernelILNS1_25lookback_scan_determinismE0ELb0ENS1_19wrapped_scan_configINS0_14default_configEfEEPKfPfSt4plusIfEffNS1_19lookback_scan_stateIfLb0ELb1EEEEEvT2_T3_mT5_T4_T7_jPT6_SK_bb.kd
    .uniform_work_group_size: 1
    .uses_dynamic_stack: false
    .vgpr_count:     59
    .vgpr_spill_count: 0
    .wavefront_size: 32
    .workgroup_processor_mode: 1
  - .args:
      - .address_space:  global
        .offset:         0
        .size:           8
        .value_kind:     global_buffer
      - .offset:         8
        .size:           8
        .value_kind:     by_value
      - .address_space:  global
        .offset:         16
        .size:           8
        .value_kind:     global_buffer
      - .offset:         24
        .size:           1
        .value_kind:     by_value
      - .offset:         32
        .size:           4
        .value_kind:     hidden_block_count_x
      - .offset:         36
        .size:           4
        .value_kind:     hidden_block_count_y
      - .offset:         40
        .size:           4
        .value_kind:     hidden_block_count_z
      - .offset:         44
        .size:           2
        .value_kind:     hidden_group_size_x
      - .offset:         46
        .size:           2
        .value_kind:     hidden_group_size_y
      - .offset:         48
        .size:           2
        .value_kind:     hidden_group_size_z
      - .offset:         50
        .size:           2
        .value_kind:     hidden_remainder_x
      - .offset:         52
        .size:           2
        .value_kind:     hidden_remainder_y
      - .offset:         54
        .size:           2
        .value_kind:     hidden_remainder_z
      - .offset:         72
        .size:           8
        .value_kind:     hidden_global_offset_x
      - .offset:         80
        .size:           8
        .value_kind:     hidden_global_offset_y
      - .offset:         88
        .size:           8
        .value_kind:     hidden_global_offset_z
      - .offset:         96
        .size:           2
        .value_kind:     hidden_grid_dims
    .group_segment_fixed_size: 0
    .kernarg_segment_align: 8
    .kernarg_segment_size: 288
    .language:       OpenCL C
    .language_version:
      - 2
      - 0
    .max_flat_workgroup_size: 1024
    .name:           _ZN7rocprim17ROCPRIM_304000_NS6detail16transform_kernelINS1_24wrapped_transform_configINS0_14default_configEfEEfPfS6_NS0_8identityIfEEEEvT1_mT2_T3_
    .private_segment_fixed_size: 0
    .sgpr_count:     18
    .sgpr_spill_count: 0
    .symbol:         _ZN7rocprim17ROCPRIM_304000_NS6detail16transform_kernelINS1_24wrapped_transform_configINS0_14default_configEfEEfPfS6_NS0_8identityIfEEEEvT1_mT2_T3_.kd
    .uniform_work_group_size: 1
    .uses_dynamic_stack: false
    .vgpr_count:     3
    .vgpr_spill_count: 0
    .wavefront_size: 32
    .workgroup_processor_mode: 1
  - .args:
      - .address_space:  global
        .offset:         0
        .size:           8
        .value_kind:     global_buffer
      - .offset:         8
        .size:           8
        .value_kind:     by_value
      - .offset:         16
        .size:           4
        .value_kind:     by_value
      - .address_space:  global
        .offset:         24
        .size:           8
        .value_kind:     global_buffer
      - .offset:         32
        .size:           1
        .value_kind:     by_value
    .group_segment_fixed_size: 4224
    .kernarg_segment_align: 8
    .kernarg_segment_size: 36
    .language:       OpenCL C
    .language_version:
      - 2
      - 0
    .max_flat_workgroup_size: 64
    .name:           _ZN7rocprim17ROCPRIM_304000_NS6detail18single_scan_kernelILb0ENS1_19wrapped_scan_configINS0_14default_configEfEEPKfPfSt4plusIfEffEEvT1_mT4_T2_T3_
    .private_segment_fixed_size: 0
    .sgpr_count:     26
    .sgpr_spill_count: 0
    .symbol:         _ZN7rocprim17ROCPRIM_304000_NS6detail18single_scan_kernelILb0ENS1_19wrapped_scan_configINS0_14default_configEfEEPKfPfSt4plusIfEffEEvT1_mT4_T2_T3_.kd
    .uniform_work_group_size: 1
    .uses_dynamic_stack: false
    .vgpr_count:     41
    .vgpr_spill_count: 0
    .wavefront_size: 32
    .workgroup_processor_mode: 1
  - .args:
      - .address_space:  global
        .offset:         0
        .size:           8
        .value_kind:     global_buffer
      - .address_space:  global
        .offset:         8
        .size:           8
        .value_kind:     global_buffer
      - .offset:         16
        .size:           4
        .value_kind:     by_value
      - .offset:         20
        .size:           4
        .value_kind:     by_value
      - .offset:         24
        .size:           4
        .value_kind:     by_value
      - .offset:         28
        .size:           4
        .value_kind:     by_value
      - .offset:         32
        .size:           1
        .value_kind:     by_value
      - .offset:         40
        .size:           4
        .value_kind:     hidden_block_count_x
      - .offset:         44
        .size:           4
        .value_kind:     hidden_block_count_y
      - .offset:         48
        .size:           4
        .value_kind:     hidden_block_count_z
      - .offset:         52
        .size:           2
        .value_kind:     hidden_group_size_x
      - .offset:         54
        .size:           2
        .value_kind:     hidden_group_size_y
      - .offset:         56
        .size:           2
        .value_kind:     hidden_group_size_z
      - .offset:         58
        .size:           2
        .value_kind:     hidden_remainder_x
      - .offset:         60
        .size:           2
        .value_kind:     hidden_remainder_y
      - .offset:         62
        .size:           2
        .value_kind:     hidden_remainder_z
      - .offset:         80
        .size:           8
        .value_kind:     hidden_global_offset_x
      - .offset:         88
        .size:           8
        .value_kind:     hidden_global_offset_y
      - .offset:         96
        .size:           8
        .value_kind:     hidden_global_offset_z
      - .offset:         104
        .size:           2
        .value_kind:     hidden_grid_dims
      - .offset:         160
        .size:           4
        .value_kind:     hidden_dynamic_lds_size
    .group_segment_fixed_size: 0
    .kernarg_segment_align: 8
    .kernarg_segment_size: 296
    .language:       OpenCL C
    .language_version:
      - 2
      - 0
    .max_flat_workgroup_size: 1024
    .name:           _ZN2at6native32tensor_kernel_scan_innermost_dimIfSt4plusIfEEEvPT_PKS4_jjjS4_T0_
    .private_segment_fixed_size: 0
    .sgpr_count:     28
    .sgpr_spill_count: 0
    .symbol:         _ZN2at6native32tensor_kernel_scan_innermost_dimIfSt4plusIfEEEvPT_PKS4_jjjS4_T0_.kd
    .uniform_work_group_size: 1
    .uses_dynamic_stack: false
    .vgpr_count:     20
    .vgpr_spill_count: 0
    .wavefront_size: 32
    .workgroup_processor_mode: 1
  - .args:
      - .address_space:  global
        .offset:         0
        .size:           8
        .value_kind:     global_buffer
      - .address_space:  global
        .offset:         8
        .size:           8
        .value_kind:     global_buffer
      - .offset:         16
        .size:           4
        .value_kind:     by_value
      - .offset:         20
        .size:           4
        .value_kind:     by_value
      - .offset:         24
        .size:           4
        .value_kind:     by_value
      - .offset:         28
        .size:           4
        .value_kind:     by_value
      - .offset:         32
        .size:           1
        .value_kind:     by_value
      - .offset:         40
        .size:           4
        .value_kind:     hidden_block_count_x
      - .offset:         44
        .size:           4
        .value_kind:     hidden_block_count_y
      - .offset:         48
        .size:           4
        .value_kind:     hidden_block_count_z
      - .offset:         52
        .size:           2
        .value_kind:     hidden_group_size_x
      - .offset:         54
        .size:           2
        .value_kind:     hidden_group_size_y
      - .offset:         56
        .size:           2
        .value_kind:     hidden_group_size_z
      - .offset:         58
        .size:           2
        .value_kind:     hidden_remainder_x
      - .offset:         60
        .size:           2
        .value_kind:     hidden_remainder_y
      - .offset:         62
        .size:           2
        .value_kind:     hidden_remainder_z
      - .offset:         80
        .size:           8
        .value_kind:     hidden_global_offset_x
      - .offset:         88
        .size:           8
        .value_kind:     hidden_global_offset_y
      - .offset:         96
        .size:           8
        .value_kind:     hidden_global_offset_z
      - .offset:         104
        .size:           2
        .value_kind:     hidden_grid_dims
    .group_segment_fixed_size: 0
    .kernarg_segment_align: 8
    .kernarg_segment_size: 296
    .language:       OpenCL C
    .language_version:
      - 2
      - 0
    .max_flat_workgroup_size: 1024
    .name:           _ZN2at6native28tensor_kernel_scan_outer_dimIfjSt4plusIfEEEvPT_PKS4_jjjS4_T1_
    .private_segment_fixed_size: 0
    .sgpr_count:     28
    .sgpr_spill_count: 0
    .symbol:         _ZN2at6native28tensor_kernel_scan_outer_dimIfjSt4plusIfEEEvPT_PKS4_jjjS4_T1_.kd
    .uniform_work_group_size: 1
    .uses_dynamic_stack: false
    .vgpr_count:     9
    .vgpr_spill_count: 0
    .wavefront_size: 32
    .workgroup_processor_mode: 1
  - .args:
      - .address_space:  global
        .offset:         0
        .size:           8
        .value_kind:     global_buffer
      - .address_space:  global
        .offset:         8
        .size:           8
        .value_kind:     global_buffer
      - .offset:         16
        .size:           4
        .value_kind:     by_value
      - .offset:         20
        .size:           4
        .value_kind:     by_value
      - .offset:         24
        .size:           4
        .value_kind:     by_value
      - .offset:         28
        .size:           4
        .value_kind:     by_value
      - .offset:         32
        .size:           1
        .value_kind:     by_value
      - .offset:         40
        .size:           4
        .value_kind:     hidden_block_count_x
      - .offset:         44
        .size:           4
        .value_kind:     hidden_block_count_y
      - .offset:         48
        .size:           4
        .value_kind:     hidden_block_count_z
      - .offset:         52
        .size:           2
        .value_kind:     hidden_group_size_x
      - .offset:         54
        .size:           2
        .value_kind:     hidden_group_size_y
      - .offset:         56
        .size:           2
        .value_kind:     hidden_group_size_z
      - .offset:         58
        .size:           2
        .value_kind:     hidden_remainder_x
      - .offset:         60
        .size:           2
        .value_kind:     hidden_remainder_y
      - .offset:         62
        .size:           2
        .value_kind:     hidden_remainder_z
      - .offset:         80
        .size:           8
        .value_kind:     hidden_global_offset_x
      - .offset:         88
        .size:           8
        .value_kind:     hidden_global_offset_y
      - .offset:         96
        .size:           8
        .value_kind:     hidden_global_offset_z
      - .offset:         104
        .size:           2
        .value_kind:     hidden_grid_dims
    .group_segment_fixed_size: 0
    .kernarg_segment_align: 8
    .kernarg_segment_size: 296
    .language:       OpenCL C
    .language_version:
      - 2
      - 0
    .max_flat_workgroup_size: 1024
    .name:           _ZN2at6native28tensor_kernel_scan_outer_dimIfmSt4plusIfEEEvPT_PKS4_jjjS4_T1_
    .private_segment_fixed_size: 0
    .sgpr_count:     27
    .sgpr_spill_count: 0
    .symbol:         _ZN2at6native28tensor_kernel_scan_outer_dimIfmSt4plusIfEEEvPT_PKS4_jjjS4_T1_.kd
    .uniform_work_group_size: 1
    .uses_dynamic_stack: false
    .vgpr_count:     9
    .vgpr_spill_count: 0
    .wavefront_size: 32
    .workgroup_processor_mode: 1
  - .args:
      - .address_space:  global
        .offset:         0
        .size:           8
        .value_kind:     global_buffer
      - .address_space:  global
        .offset:         8
        .size:           8
        .value_kind:     global_buffer
      - .offset:         16
        .size:           8
        .value_kind:     by_value
      - .offset:         24
        .size:           4
        .value_kind:     by_value
    .group_segment_fixed_size: 64
    .kernarg_segment_align: 8
    .kernarg_segment_size: 28
    .language:       OpenCL C
    .language_version:
      - 2
      - 0
    .max_flat_workgroup_size: 1024
    .name:           _ZN2at4cuda3cub15calc_block_sumsILi128ELi16ELb0EN3c107complexIdEES5_EEvPKT2_PT3_li
    .private_segment_fixed_size: 0
    .sgpr_count:     18
    .sgpr_spill_count: 0
    .symbol:         _ZN2at4cuda3cub15calc_block_sumsILi128ELi16ELb0EN3c107complexIdEES5_EEvPKT2_PT3_li.kd
    .uniform_work_group_size: 1
    .uses_dynamic_stack: false
    .vgpr_count:     89
    .vgpr_spill_count: 0
    .wavefront_size: 32
    .workgroup_processor_mode: 1
  - .args:
      - .address_space:  global
        .offset:         0
        .size:           8
        .value_kind:     global_buffer
      - .address_space:  global
        .offset:         8
        .size:           8
        .value_kind:     global_buffer
      - .address_space:  global
        .offset:         16
        .size:           8
        .value_kind:     global_buffer
      - .offset:         24
        .size:           8
        .value_kind:     by_value
      - .offset:         32
        .size:           4
        .value_kind:     by_value
      - .offset:         40
        .size:           4
        .value_kind:     hidden_block_count_x
      - .offset:         44
        .size:           4
        .value_kind:     hidden_block_count_y
      - .offset:         48
        .size:           4
        .value_kind:     hidden_block_count_z
      - .offset:         52
        .size:           2
        .value_kind:     hidden_group_size_x
      - .offset:         54
        .size:           2
        .value_kind:     hidden_group_size_y
      - .offset:         56
        .size:           2
        .value_kind:     hidden_group_size_z
      - .offset:         58
        .size:           2
        .value_kind:     hidden_remainder_x
      - .offset:         60
        .size:           2
        .value_kind:     hidden_remainder_y
      - .offset:         62
        .size:           2
        .value_kind:     hidden_remainder_z
      - .offset:         80
        .size:           8
        .value_kind:     hidden_global_offset_x
      - .offset:         88
        .size:           8
        .value_kind:     hidden_global_offset_y
      - .offset:         96
        .size:           8
        .value_kind:     hidden_global_offset_z
      - .offset:         104
        .size:           2
        .value_kind:     hidden_grid_dims
    .group_segment_fixed_size: 33792
    .kernarg_segment_align: 8
    .kernarg_segment_size: 296
    .language:       OpenCL C
    .language_version:
      - 2
      - 0
    .max_flat_workgroup_size: 1024
    .name:           _ZN2at4cuda3cub17final_scan_kernelILi128ELi16EN3c107complexIdEEEEvPKT1_PS6_S9_li
    .private_segment_fixed_size: 0
    .sgpr_count:     27
    .sgpr_spill_count: 0
    .symbol:         _ZN2at4cuda3cub17final_scan_kernelILi128ELi16EN3c107complexIdEEEEvPKT1_PS6_S9_li.kd
    .uniform_work_group_size: 1
    .uses_dynamic_stack: false
    .vgpr_count:     179
    .vgpr_spill_count: 0
    .wavefront_size: 32
    .workgroup_processor_mode: 1
  - .args:
      - .offset:         0
        .size:           24
        .value_kind:     by_value
      - .offset:         24
        .size:           4
        .value_kind:     by_value
      - .offset:         28
        .size:           4
        .value_kind:     by_value
      - .address_space:  global
        .offset:         32
        .size:           8
        .value_kind:     global_buffer
      - .offset:         40
        .size:           4
        .value_kind:     hidden_block_count_x
      - .offset:         44
        .size:           4
        .value_kind:     hidden_block_count_y
      - .offset:         48
        .size:           4
        .value_kind:     hidden_block_count_z
      - .offset:         52
        .size:           2
        .value_kind:     hidden_group_size_x
      - .offset:         54
        .size:           2
        .value_kind:     hidden_group_size_y
      - .offset:         56
        .size:           2
        .value_kind:     hidden_group_size_z
      - .offset:         58
        .size:           2
        .value_kind:     hidden_remainder_x
      - .offset:         60
        .size:           2
        .value_kind:     hidden_remainder_y
      - .offset:         62
        .size:           2
        .value_kind:     hidden_remainder_z
      - .offset:         80
        .size:           8
        .value_kind:     hidden_global_offset_x
      - .offset:         88
        .size:           8
        .value_kind:     hidden_global_offset_y
      - .offset:         96
        .size:           8
        .value_kind:     hidden_global_offset_z
      - .offset:         104
        .size:           2
        .value_kind:     hidden_grid_dims
    .group_segment_fixed_size: 0
    .kernarg_segment_align: 8
    .kernarg_segment_size: 296
    .language:       OpenCL C
    .language_version:
      - 2
      - 0
    .max_flat_workgroup_size: 256
    .name:           _ZN7rocprim17ROCPRIM_304000_NS6detail31init_lookback_scan_state_kernelINS1_19lookback_scan_stateIN3c107complexIdEELb1ELb0EEEEEvT_jjPNS8_10value_typeE
    .private_segment_fixed_size: 0
    .sgpr_count:     18
    .sgpr_spill_count: 0
    .symbol:         _ZN7rocprim17ROCPRIM_304000_NS6detail31init_lookback_scan_state_kernelINS1_19lookback_scan_stateIN3c107complexIdEELb1ELb0EEEEEvT_jjPNS8_10value_typeE.kd
    .uniform_work_group_size: 1
    .uses_dynamic_stack: false
    .vgpr_count:     6
    .vgpr_spill_count: 0
    .wavefront_size: 32
    .workgroup_processor_mode: 1
  - .args:
      - .offset:         0
        .size:           24
        .value_kind:     by_value
      - .offset:         24
        .size:           4
        .value_kind:     by_value
      - .offset:         28
        .size:           4
        .value_kind:     by_value
      - .address_space:  global
        .offset:         32
        .size:           8
        .value_kind:     global_buffer
      - .offset:         40
        .size:           4
        .value_kind:     hidden_block_count_x
      - .offset:         44
        .size:           4
        .value_kind:     hidden_block_count_y
      - .offset:         48
        .size:           4
        .value_kind:     hidden_block_count_z
      - .offset:         52
        .size:           2
        .value_kind:     hidden_group_size_x
      - .offset:         54
        .size:           2
        .value_kind:     hidden_group_size_y
      - .offset:         56
        .size:           2
        .value_kind:     hidden_group_size_z
      - .offset:         58
        .size:           2
        .value_kind:     hidden_remainder_x
      - .offset:         60
        .size:           2
        .value_kind:     hidden_remainder_y
      - .offset:         62
        .size:           2
        .value_kind:     hidden_remainder_z
      - .offset:         80
        .size:           8
        .value_kind:     hidden_global_offset_x
      - .offset:         88
        .size:           8
        .value_kind:     hidden_global_offset_y
      - .offset:         96
        .size:           8
        .value_kind:     hidden_global_offset_z
      - .offset:         104
        .size:           2
        .value_kind:     hidden_grid_dims
    .group_segment_fixed_size: 0
    .kernarg_segment_align: 8
    .kernarg_segment_size: 296
    .language:       OpenCL C
    .language_version:
      - 2
      - 0
    .max_flat_workgroup_size: 256
    .name:           _ZN7rocprim17ROCPRIM_304000_NS6detail31init_lookback_scan_state_kernelINS1_19lookback_scan_stateIN3c107complexIdEELb0ELb0EEEEEvT_jjPNS8_10value_typeE
    .private_segment_fixed_size: 0
    .sgpr_count:     18
    .sgpr_spill_count: 0
    .symbol:         _ZN7rocprim17ROCPRIM_304000_NS6detail31init_lookback_scan_state_kernelINS1_19lookback_scan_stateIN3c107complexIdEELb0ELb0EEEEEvT_jjPNS8_10value_typeE.kd
    .uniform_work_group_size: 1
    .uses_dynamic_stack: false
    .vgpr_count:     6
    .vgpr_spill_count: 0
    .wavefront_size: 32
    .workgroup_processor_mode: 1
  - .args:
      - .address_space:  global
        .offset:         0
        .size:           8
        .value_kind:     global_buffer
      - .address_space:  global
        .offset:         8
        .size:           8
        .value_kind:     global_buffer
      - .offset:         16
        .size:           8
        .value_kind:     by_value
      - .offset:         32
        .size:           16
        .value_kind:     by_value
      - .offset:         48
        .size:           1
        .value_kind:     by_value
      - .offset:         56
        .size:           24
        .value_kind:     by_value
      - .offset:         80
        .size:           4
        .value_kind:     by_value
      - .address_space:  global
        .offset:         88
        .size:           8
        .value_kind:     global_buffer
      - .address_space:  global
        .offset:         96
        .size:           8
        .value_kind:     global_buffer
      - .offset:         104
        .size:           1
        .value_kind:     by_value
      - .offset:         105
        .size:           1
        .value_kind:     by_value
    .group_segment_fixed_size: 0
    .kernarg_segment_align: 16
    .kernarg_segment_size: 108
    .language:       OpenCL C
    .language_version:
      - 2
      - 0
    .max_flat_workgroup_size: 256
    .name:           _ZN7rocprim17ROCPRIM_304000_NS6detail20lookback_scan_kernelILNS1_25lookback_scan_determinismE0ELb0ENS1_19wrapped_scan_configINS0_14default_configEN3c107complexIdEEEEPKS8_PS8_St4plusIS8_ES8_S8_NS1_19lookback_scan_stateIS8_Lb1ELb0EEEEEvT2_T3_mT5_T4_T7_jPT6_SN_bb
    .private_segment_fixed_size: 0
    .sgpr_count:     0
    .sgpr_spill_count: 0
    .symbol:         _ZN7rocprim17ROCPRIM_304000_NS6detail20lookback_scan_kernelILNS1_25lookback_scan_determinismE0ELb0ENS1_19wrapped_scan_configINS0_14default_configEN3c107complexIdEEEEPKS8_PS8_St4plusIS8_ES8_S8_NS1_19lookback_scan_stateIS8_Lb1ELb0EEEEEvT2_T3_mT5_T4_T7_jPT6_SN_bb.kd
    .uniform_work_group_size: 1
    .uses_dynamic_stack: false
    .vgpr_count:     0
    .vgpr_spill_count: 0
    .wavefront_size: 32
    .workgroup_processor_mode: 1
  - .args:
      - .address_space:  global
        .offset:         0
        .size:           8
        .value_kind:     global_buffer
      - .address_space:  global
        .offset:         8
        .size:           8
        .value_kind:     global_buffer
      - .offset:         16
        .size:           8
        .value_kind:     by_value
      - .offset:         32
        .size:           16
        .value_kind:     by_value
      - .offset:         48
        .size:           1
        .value_kind:     by_value
      - .offset:         56
        .size:           24
        .value_kind:     by_value
      - .offset:         80
        .size:           4
        .value_kind:     by_value
      - .address_space:  global
        .offset:         88
        .size:           8
        .value_kind:     global_buffer
      - .address_space:  global
        .offset:         96
        .size:           8
        .value_kind:     global_buffer
      - .offset:         104
        .size:           1
        .value_kind:     by_value
      - .offset:         105
        .size:           1
        .value_kind:     by_value
    .group_segment_fixed_size: 33792
    .kernarg_segment_align: 16
    .kernarg_segment_size: 108
    .language:       OpenCL C
    .language_version:
      - 2
      - 0
    .max_flat_workgroup_size: 256
    .name:           _ZN7rocprim17ROCPRIM_304000_NS6detail20lookback_scan_kernelILNS1_25lookback_scan_determinismE0ELb0ENS1_19wrapped_scan_configINS0_14default_configEN3c107complexIdEEEEPKS8_PS8_St4plusIS8_ES8_S8_NS1_19lookback_scan_stateIS8_Lb0ELb0EEEEEvT2_T3_mT5_T4_T7_jPT6_SN_bb
    .private_segment_fixed_size: 0
    .sgpr_count:     29
    .sgpr_spill_count: 0
    .symbol:         _ZN7rocprim17ROCPRIM_304000_NS6detail20lookback_scan_kernelILNS1_25lookback_scan_determinismE0ELb0ENS1_19wrapped_scan_configINS0_14default_configEN3c107complexIdEEEEPKS8_PS8_St4plusIS8_ES8_S8_NS1_19lookback_scan_stateIS8_Lb0ELb0EEEEEvT2_T3_mT5_T4_T7_jPT6_SN_bb.kd
    .uniform_work_group_size: 1
    .uses_dynamic_stack: false
    .vgpr_count:     85
    .vgpr_spill_count: 0
    .wavefront_size: 32
    .workgroup_processor_mode: 1
  - .args:
      - .address_space:  global
        .offset:         0
        .size:           8
        .value_kind:     global_buffer
      - .offset:         8
        .size:           8
        .value_kind:     by_value
      - .address_space:  global
        .offset:         16
        .size:           8
        .value_kind:     global_buffer
      - .offset:         24
        .size:           1
        .value_kind:     by_value
      - .offset:         32
        .size:           4
        .value_kind:     hidden_block_count_x
      - .offset:         36
        .size:           4
        .value_kind:     hidden_block_count_y
      - .offset:         40
        .size:           4
        .value_kind:     hidden_block_count_z
      - .offset:         44
        .size:           2
        .value_kind:     hidden_group_size_x
      - .offset:         46
        .size:           2
        .value_kind:     hidden_group_size_y
      - .offset:         48
        .size:           2
        .value_kind:     hidden_group_size_z
      - .offset:         50
        .size:           2
        .value_kind:     hidden_remainder_x
      - .offset:         52
        .size:           2
        .value_kind:     hidden_remainder_y
      - .offset:         54
        .size:           2
        .value_kind:     hidden_remainder_z
      - .offset:         72
        .size:           8
        .value_kind:     hidden_global_offset_x
      - .offset:         80
        .size:           8
        .value_kind:     hidden_global_offset_y
      - .offset:         88
        .size:           8
        .value_kind:     hidden_global_offset_z
      - .offset:         96
        .size:           2
        .value_kind:     hidden_grid_dims
    .group_segment_fixed_size: 0
    .kernarg_segment_align: 8
    .kernarg_segment_size: 288
    .language:       OpenCL C
    .language_version:
      - 2
      - 0
    .max_flat_workgroup_size: 1024
    .name:           _ZN7rocprim17ROCPRIM_304000_NS6detail16transform_kernelINS1_24wrapped_transform_configINS0_14default_configEN3c107complexIdEEEES7_PS7_S9_NS0_8identityIS7_EEEEvT1_mT2_T3_
    .private_segment_fixed_size: 0
    .sgpr_count:     18
    .sgpr_spill_count: 0
    .symbol:         _ZN7rocprim17ROCPRIM_304000_NS6detail16transform_kernelINS1_24wrapped_transform_configINS0_14default_configEN3c107complexIdEEEES7_PS7_S9_NS0_8identityIS7_EEEEvT1_mT2_T3_.kd
    .uniform_work_group_size: 1
    .uses_dynamic_stack: false
    .vgpr_count:     5
    .vgpr_spill_count: 0
    .wavefront_size: 32
    .workgroup_processor_mode: 1
  - .args:
      - .address_space:  global
        .offset:         0
        .size:           8
        .value_kind:     global_buffer
      - .offset:         8
        .size:           8
        .value_kind:     by_value
      - .offset:         16
        .size:           16
        .value_kind:     by_value
      - .address_space:  global
        .offset:         32
        .size:           8
        .value_kind:     global_buffer
      - .offset:         40
        .size:           1
        .value_kind:     by_value
    .group_segment_fixed_size: 33792
    .kernarg_segment_align: 16
    .kernarg_segment_size: 44
    .language:       OpenCL C
    .language_version:
      - 2
      - 0
    .max_flat_workgroup_size: 256
    .name:           _ZN7rocprim17ROCPRIM_304000_NS6detail18single_scan_kernelILb0ENS1_19wrapped_scan_configINS0_14default_configEN3c107complexIdEEEEPKS7_PS7_St4plusIS7_ES7_S7_EEvT1_mT4_T2_T3_
    .private_segment_fixed_size: 0
    .sgpr_count:     18
    .sgpr_spill_count: 0
    .symbol:         _ZN7rocprim17ROCPRIM_304000_NS6detail18single_scan_kernelILb0ENS1_19wrapped_scan_configINS0_14default_configEN3c107complexIdEEEEPKS7_PS7_St4plusIS7_ES7_S7_EEvT1_mT4_T2_T3_.kd
    .uniform_work_group_size: 1
    .uses_dynamic_stack: false
    .vgpr_count:     86
    .vgpr_spill_count: 0
    .wavefront_size: 32
    .workgroup_processor_mode: 1
  - .args:
      - .address_space:  global
        .offset:         0
        .size:           8
        .value_kind:     global_buffer
      - .address_space:  global
        .offset:         8
        .size:           8
        .value_kind:     global_buffer
      - .offset:         16
        .size:           4
        .value_kind:     by_value
      - .offset:         20
        .size:           4
        .value_kind:     by_value
      - .offset:         24
        .size:           4
        .value_kind:     by_value
      - .offset:         32
        .size:           16
        .value_kind:     by_value
      - .offset:         48
        .size:           1
        .value_kind:     by_value
      - .offset:         56
        .size:           4
        .value_kind:     hidden_block_count_x
      - .offset:         60
        .size:           4
        .value_kind:     hidden_block_count_y
      - .offset:         64
        .size:           4
        .value_kind:     hidden_block_count_z
      - .offset:         68
        .size:           2
        .value_kind:     hidden_group_size_x
      - .offset:         70
        .size:           2
        .value_kind:     hidden_group_size_y
      - .offset:         72
        .size:           2
        .value_kind:     hidden_group_size_z
      - .offset:         74
        .size:           2
        .value_kind:     hidden_remainder_x
      - .offset:         76
        .size:           2
        .value_kind:     hidden_remainder_y
      - .offset:         78
        .size:           2
        .value_kind:     hidden_remainder_z
      - .offset:         96
        .size:           8
        .value_kind:     hidden_global_offset_x
      - .offset:         104
        .size:           8
        .value_kind:     hidden_global_offset_y
      - .offset:         112
        .size:           8
        .value_kind:     hidden_global_offset_z
      - .offset:         120
        .size:           2
        .value_kind:     hidden_grid_dims
      - .offset:         176
        .size:           4
        .value_kind:     hidden_dynamic_lds_size
    .group_segment_fixed_size: 0
    .kernarg_segment_align: 16
    .kernarg_segment_size: 312
    .language:       OpenCL C
    .language_version:
      - 2
      - 0
    .max_flat_workgroup_size: 1024
    .name:           _ZN2at6native32tensor_kernel_scan_innermost_dimIN3c107complexIdEESt4plusIS4_EEEvPT_PKS7_jjjS7_T0_
    .private_segment_fixed_size: 0
    .sgpr_count:     31
    .sgpr_spill_count: 0
    .symbol:         _ZN2at6native32tensor_kernel_scan_innermost_dimIN3c107complexIdEESt4plusIS4_EEEvPT_PKS7_jjjS7_T0_.kd
    .uniform_work_group_size: 1
    .uses_dynamic_stack: false
    .vgpr_count:     27
    .vgpr_spill_count: 0
    .wavefront_size: 32
    .workgroup_processor_mode: 1
  - .args:
      - .address_space:  global
        .offset:         0
        .size:           8
        .value_kind:     global_buffer
      - .address_space:  global
        .offset:         8
        .size:           8
        .value_kind:     global_buffer
      - .offset:         16
        .size:           4
        .value_kind:     by_value
      - .offset:         20
        .size:           4
        .value_kind:     by_value
      - .offset:         24
        .size:           4
        .value_kind:     by_value
      - .offset:         32
        .size:           16
        .value_kind:     by_value
      - .offset:         48
        .size:           1
        .value_kind:     by_value
      - .offset:         56
        .size:           4
        .value_kind:     hidden_block_count_x
      - .offset:         60
        .size:           4
        .value_kind:     hidden_block_count_y
      - .offset:         64
        .size:           4
        .value_kind:     hidden_block_count_z
      - .offset:         68
        .size:           2
        .value_kind:     hidden_group_size_x
      - .offset:         70
        .size:           2
        .value_kind:     hidden_group_size_y
      - .offset:         72
        .size:           2
        .value_kind:     hidden_group_size_z
      - .offset:         74
        .size:           2
        .value_kind:     hidden_remainder_x
      - .offset:         76
        .size:           2
        .value_kind:     hidden_remainder_y
      - .offset:         78
        .size:           2
        .value_kind:     hidden_remainder_z
      - .offset:         96
        .size:           8
        .value_kind:     hidden_global_offset_x
      - .offset:         104
        .size:           8
        .value_kind:     hidden_global_offset_y
      - .offset:         112
        .size:           8
        .value_kind:     hidden_global_offset_z
      - .offset:         120
        .size:           2
        .value_kind:     hidden_grid_dims
    .group_segment_fixed_size: 0
    .kernarg_segment_align: 16
    .kernarg_segment_size: 312
    .language:       OpenCL C
    .language_version:
      - 2
      - 0
    .max_flat_workgroup_size: 1024
    .name:           _ZN2at6native28tensor_kernel_scan_outer_dimIN3c107complexIdEEjSt4plusIS4_EEEvPT_PKS7_jjjS7_T1_
    .private_segment_fixed_size: 0
    .sgpr_count:     31
    .sgpr_spill_count: 0
    .symbol:         _ZN2at6native28tensor_kernel_scan_outer_dimIN3c107complexIdEEjSt4plusIS4_EEEvPT_PKS7_jjjS7_T1_.kd
    .uniform_work_group_size: 1
    .uses_dynamic_stack: false
    .vgpr_count:     13
    .vgpr_spill_count: 0
    .wavefront_size: 32
    .workgroup_processor_mode: 1
  - .args:
      - .address_space:  global
        .offset:         0
        .size:           8
        .value_kind:     global_buffer
      - .address_space:  global
        .offset:         8
        .size:           8
        .value_kind:     global_buffer
      - .offset:         16
        .size:           4
        .value_kind:     by_value
      - .offset:         20
        .size:           4
        .value_kind:     by_value
      - .offset:         24
        .size:           4
        .value_kind:     by_value
      - .offset:         32
        .size:           16
        .value_kind:     by_value
      - .offset:         48
        .size:           1
        .value_kind:     by_value
      - .offset:         56
        .size:           4
        .value_kind:     hidden_block_count_x
      - .offset:         60
        .size:           4
        .value_kind:     hidden_block_count_y
      - .offset:         64
        .size:           4
        .value_kind:     hidden_block_count_z
      - .offset:         68
        .size:           2
        .value_kind:     hidden_group_size_x
      - .offset:         70
        .size:           2
        .value_kind:     hidden_group_size_y
      - .offset:         72
        .size:           2
        .value_kind:     hidden_group_size_z
      - .offset:         74
        .size:           2
        .value_kind:     hidden_remainder_x
      - .offset:         76
        .size:           2
        .value_kind:     hidden_remainder_y
      - .offset:         78
        .size:           2
        .value_kind:     hidden_remainder_z
      - .offset:         96
        .size:           8
        .value_kind:     hidden_global_offset_x
      - .offset:         104
        .size:           8
        .value_kind:     hidden_global_offset_y
      - .offset:         112
        .size:           8
        .value_kind:     hidden_global_offset_z
      - .offset:         120
        .size:           2
        .value_kind:     hidden_grid_dims
    .group_segment_fixed_size: 0
    .kernarg_segment_align: 16
    .kernarg_segment_size: 312
    .language:       OpenCL C
    .language_version:
      - 2
      - 0
    .max_flat_workgroup_size: 1024
    .name:           _ZN2at6native28tensor_kernel_scan_outer_dimIN3c107complexIdEEmSt4plusIS4_EEEvPT_PKS7_jjjS7_T1_
    .private_segment_fixed_size: 0
    .sgpr_count:     30
    .sgpr_spill_count: 0
    .symbol:         _ZN2at6native28tensor_kernel_scan_outer_dimIN3c107complexIdEEmSt4plusIS4_EEEvPT_PKS7_jjjS7_T1_.kd
    .uniform_work_group_size: 1
    .uses_dynamic_stack: false
    .vgpr_count:     13
    .vgpr_spill_count: 0
    .wavefront_size: 32
    .workgroup_processor_mode: 1
  - .args:
      - .address_space:  global
        .offset:         0
        .size:           8
        .value_kind:     global_buffer
      - .address_space:  global
        .offset:         8
        .size:           8
        .value_kind:     global_buffer
      - .offset:         16
        .size:           8
        .value_kind:     by_value
      - .offset:         24
        .size:           4
        .value_kind:     by_value
    .group_segment_fixed_size: 64
    .kernarg_segment_align: 8
    .kernarg_segment_size: 28
    .language:       OpenCL C
    .language_version:
      - 2
      - 0
    .max_flat_workgroup_size: 1024
    .name:           _ZN2at4cuda3cub15calc_block_sumsILi256ELi16ELb0EN3c107complexIfEES5_EEvPKT2_PT3_li
    .private_segment_fixed_size: 0
    .sgpr_count:     18
    .sgpr_spill_count: 0
    .symbol:         _ZN2at4cuda3cub15calc_block_sumsILi256ELi16ELb0EN3c107complexIfEES5_EEvPKT2_PT3_li.kd
    .uniform_work_group_size: 1
    .uses_dynamic_stack: false
    .vgpr_count:     55
    .vgpr_spill_count: 0
    .wavefront_size: 32
    .workgroup_processor_mode: 1
  - .args:
      - .address_space:  global
        .offset:         0
        .size:           8
        .value_kind:     global_buffer
      - .address_space:  global
        .offset:         8
        .size:           8
        .value_kind:     global_buffer
      - .address_space:  global
        .offset:         16
        .size:           8
        .value_kind:     global_buffer
      - .offset:         24
        .size:           8
        .value_kind:     by_value
      - .offset:         32
        .size:           4
        .value_kind:     by_value
      - .offset:         40
        .size:           4
        .value_kind:     hidden_block_count_x
      - .offset:         44
        .size:           4
        .value_kind:     hidden_block_count_y
      - .offset:         48
        .size:           4
        .value_kind:     hidden_block_count_z
      - .offset:         52
        .size:           2
        .value_kind:     hidden_group_size_x
      - .offset:         54
        .size:           2
        .value_kind:     hidden_group_size_y
      - .offset:         56
        .size:           2
        .value_kind:     hidden_group_size_z
      - .offset:         58
        .size:           2
        .value_kind:     hidden_remainder_x
      - .offset:         60
        .size:           2
        .value_kind:     hidden_remainder_y
      - .offset:         62
        .size:           2
        .value_kind:     hidden_remainder_z
      - .offset:         80
        .size:           8
        .value_kind:     hidden_global_offset_x
      - .offset:         88
        .size:           8
        .value_kind:     hidden_global_offset_y
      - .offset:         96
        .size:           8
        .value_kind:     hidden_global_offset_z
      - .offset:         104
        .size:           2
        .value_kind:     hidden_grid_dims
    .group_segment_fixed_size: 33792
    .kernarg_segment_align: 8
    .kernarg_segment_size: 296
    .language:       OpenCL C
    .language_version:
      - 2
      - 0
    .max_flat_workgroup_size: 1024
    .name:           _ZN2at4cuda3cub17final_scan_kernelILi256ELi16EN3c107complexIfEEEEvPKT1_PS6_S9_li
    .private_segment_fixed_size: 0
    .sgpr_count:     29
    .sgpr_spill_count: 0
    .symbol:         _ZN2at4cuda3cub17final_scan_kernelILi256ELi16EN3c107complexIfEEEEvPKT1_PS6_S9_li.kd
    .uniform_work_group_size: 1
    .uses_dynamic_stack: false
    .vgpr_count:     111
    .vgpr_spill_count: 0
    .wavefront_size: 32
    .workgroup_processor_mode: 1
  - .args:
      - .address_space:  global
        .offset:         0
        .size:           8
        .value_kind:     global_buffer
      - .offset:         8
        .size:           4
        .value_kind:     by_value
      - .offset:         12
        .size:           4
        .value_kind:     by_value
      - .address_space:  global
        .offset:         16
        .size:           8
        .value_kind:     global_buffer
      - .offset:         24
        .size:           4
        .value_kind:     hidden_block_count_x
      - .offset:         28
        .size:           4
        .value_kind:     hidden_block_count_y
      - .offset:         32
        .size:           4
        .value_kind:     hidden_block_count_z
      - .offset:         36
        .size:           2
        .value_kind:     hidden_group_size_x
      - .offset:         38
        .size:           2
        .value_kind:     hidden_group_size_y
      - .offset:         40
        .size:           2
        .value_kind:     hidden_group_size_z
      - .offset:         42
        .size:           2
        .value_kind:     hidden_remainder_x
      - .offset:         44
        .size:           2
        .value_kind:     hidden_remainder_y
      - .offset:         46
        .size:           2
        .value_kind:     hidden_remainder_z
      - .offset:         64
        .size:           8
        .value_kind:     hidden_global_offset_x
      - .offset:         72
        .size:           8
        .value_kind:     hidden_global_offset_y
      - .offset:         80
        .size:           8
        .value_kind:     hidden_global_offset_z
      - .offset:         88
        .size:           2
        .value_kind:     hidden_grid_dims
    .group_segment_fixed_size: 0
    .kernarg_segment_align: 8
    .kernarg_segment_size: 280
    .language:       OpenCL C
    .language_version:
      - 2
      - 0
    .max_flat_workgroup_size: 256
    .name:           _ZN7rocprim17ROCPRIM_304000_NS6detail31init_lookback_scan_state_kernelINS1_19lookback_scan_stateIN3c107complexIfEELb1ELb1EEEEEvT_jjPNS8_10value_typeE
    .private_segment_fixed_size: 0
    .sgpr_count:     18
    .sgpr_spill_count: 0
    .symbol:         _ZN7rocprim17ROCPRIM_304000_NS6detail31init_lookback_scan_state_kernelINS1_19lookback_scan_stateIN3c107complexIfEELb1ELb1EEEEEvT_jjPNS8_10value_typeE.kd
    .uniform_work_group_size: 1
    .uses_dynamic_stack: false
    .vgpr_count:     9
    .vgpr_spill_count: 0
    .wavefront_size: 32
    .workgroup_processor_mode: 1
  - .args:
      - .address_space:  global
        .offset:         0
        .size:           8
        .value_kind:     global_buffer
      - .offset:         8
        .size:           4
        .value_kind:     by_value
      - .offset:         12
        .size:           4
        .value_kind:     by_value
      - .address_space:  global
        .offset:         16
        .size:           8
        .value_kind:     global_buffer
      - .offset:         24
        .size:           4
        .value_kind:     hidden_block_count_x
      - .offset:         28
        .size:           4
        .value_kind:     hidden_block_count_y
      - .offset:         32
        .size:           4
        .value_kind:     hidden_block_count_z
      - .offset:         36
        .size:           2
        .value_kind:     hidden_group_size_x
      - .offset:         38
        .size:           2
        .value_kind:     hidden_group_size_y
      - .offset:         40
        .size:           2
        .value_kind:     hidden_group_size_z
      - .offset:         42
        .size:           2
        .value_kind:     hidden_remainder_x
      - .offset:         44
        .size:           2
        .value_kind:     hidden_remainder_y
      - .offset:         46
        .size:           2
        .value_kind:     hidden_remainder_z
      - .offset:         64
        .size:           8
        .value_kind:     hidden_global_offset_x
      - .offset:         72
        .size:           8
        .value_kind:     hidden_global_offset_y
      - .offset:         80
        .size:           8
        .value_kind:     hidden_global_offset_z
      - .offset:         88
        .size:           2
        .value_kind:     hidden_grid_dims
    .group_segment_fixed_size: 0
    .kernarg_segment_align: 8
    .kernarg_segment_size: 280
    .language:       OpenCL C
    .language_version:
      - 2
      - 0
    .max_flat_workgroup_size: 256
    .name:           _ZN7rocprim17ROCPRIM_304000_NS6detail31init_lookback_scan_state_kernelINS1_19lookback_scan_stateIN3c107complexIfEELb0ELb1EEEEEvT_jjPNS8_10value_typeE
    .private_segment_fixed_size: 0
    .sgpr_count:     18
    .sgpr_spill_count: 0
    .symbol:         _ZN7rocprim17ROCPRIM_304000_NS6detail31init_lookback_scan_state_kernelINS1_19lookback_scan_stateIN3c107complexIfEELb0ELb1EEEEEvT_jjPNS8_10value_typeE.kd
    .uniform_work_group_size: 1
    .uses_dynamic_stack: false
    .vgpr_count:     9
    .vgpr_spill_count: 0
    .wavefront_size: 32
    .workgroup_processor_mode: 1
  - .args:
      - .address_space:  global
        .offset:         0
        .size:           8
        .value_kind:     global_buffer
      - .address_space:  global
        .offset:         8
        .size:           8
        .value_kind:     global_buffer
      - .offset:         16
        .size:           8
        .value_kind:     by_value
      - .offset:         24
        .size:           8
        .value_kind:     by_value
      - .offset:         32
        .size:           1
        .value_kind:     by_value
      - .address_space:  global
        .offset:         40
        .size:           8
        .value_kind:     global_buffer
      - .offset:         48
        .size:           4
        .value_kind:     by_value
      - .address_space:  global
        .offset:         56
        .size:           8
        .value_kind:     global_buffer
      - .address_space:  global
        .offset:         64
        .size:           8
        .value_kind:     global_buffer
      - .offset:         72
        .size:           1
        .value_kind:     by_value
      - .offset:         73
        .size:           1
        .value_kind:     by_value
    .group_segment_fixed_size: 0
    .kernarg_segment_align: 8
    .kernarg_segment_size: 76
    .language:       OpenCL C
    .language_version:
      - 2
      - 0
    .max_flat_workgroup_size: 256
    .name:           _ZN7rocprim17ROCPRIM_304000_NS6detail20lookback_scan_kernelILNS1_25lookback_scan_determinismE0ELb0ENS1_19wrapped_scan_configINS0_14default_configEN3c107complexIfEEEEPKS8_PS8_St4plusIS8_ES8_S8_NS1_19lookback_scan_stateIS8_Lb1ELb1EEEEEvT2_T3_mT5_T4_T7_jPT6_SN_bb
    .private_segment_fixed_size: 0
    .sgpr_count:     0
    .sgpr_spill_count: 0
    .symbol:         _ZN7rocprim17ROCPRIM_304000_NS6detail20lookback_scan_kernelILNS1_25lookback_scan_determinismE0ELb0ENS1_19wrapped_scan_configINS0_14default_configEN3c107complexIfEEEEPKS8_PS8_St4plusIS8_ES8_S8_NS1_19lookback_scan_stateIS8_Lb1ELb1EEEEEvT2_T3_mT5_T4_T7_jPT6_SN_bb.kd
    .uniform_work_group_size: 1
    .uses_dynamic_stack: false
    .vgpr_count:     0
    .vgpr_spill_count: 0
    .wavefront_size: 32
    .workgroup_processor_mode: 1
  - .args:
      - .address_space:  global
        .offset:         0
        .size:           8
        .value_kind:     global_buffer
      - .address_space:  global
        .offset:         8
        .size:           8
        .value_kind:     global_buffer
      - .offset:         16
        .size:           8
        .value_kind:     by_value
      - .offset:         24
        .size:           8
        .value_kind:     by_value
      - .offset:         32
        .size:           1
        .value_kind:     by_value
      - .address_space:  global
        .offset:         40
        .size:           8
        .value_kind:     global_buffer
      - .offset:         48
        .size:           4
        .value_kind:     by_value
      - .address_space:  global
        .offset:         56
        .size:           8
        .value_kind:     global_buffer
      - .address_space:  global
        .offset:         64
        .size:           8
        .value_kind:     global_buffer
      - .offset:         72
        .size:           1
        .value_kind:     by_value
      - .offset:         73
        .size:           1
        .value_kind:     by_value
    .group_segment_fixed_size: 33792
    .kernarg_segment_align: 8
    .kernarg_segment_size: 76
    .language:       OpenCL C
    .language_version:
      - 2
      - 0
    .max_flat_workgroup_size: 256
    .name:           _ZN7rocprim17ROCPRIM_304000_NS6detail20lookback_scan_kernelILNS1_25lookback_scan_determinismE0ELb0ENS1_19wrapped_scan_configINS0_14default_configEN3c107complexIfEEEEPKS8_PS8_St4plusIS8_ES8_S8_NS1_19lookback_scan_stateIS8_Lb0ELb1EEEEEvT2_T3_mT5_T4_T7_jPT6_SN_bb
    .private_segment_fixed_size: 0
    .sgpr_count:     28
    .sgpr_spill_count: 0
    .symbol:         _ZN7rocprim17ROCPRIM_304000_NS6detail20lookback_scan_kernelILNS1_25lookback_scan_determinismE0ELb0ENS1_19wrapped_scan_configINS0_14default_configEN3c107complexIfEEEEPKS8_PS8_St4plusIS8_ES8_S8_NS1_19lookback_scan_stateIS8_Lb0ELb1EEEEEvT2_T3_mT5_T4_T7_jPT6_SN_bb.kd
    .uniform_work_group_size: 1
    .uses_dynamic_stack: false
    .vgpr_count:     105
    .vgpr_spill_count: 0
    .wavefront_size: 32
    .workgroup_processor_mode: 1
  - .args:
      - .address_space:  global
        .offset:         0
        .size:           8
        .value_kind:     global_buffer
      - .offset:         8
        .size:           8
        .value_kind:     by_value
      - .address_space:  global
        .offset:         16
        .size:           8
        .value_kind:     global_buffer
      - .offset:         24
        .size:           1
        .value_kind:     by_value
      - .offset:         32
        .size:           4
        .value_kind:     hidden_block_count_x
      - .offset:         36
        .size:           4
        .value_kind:     hidden_block_count_y
      - .offset:         40
        .size:           4
        .value_kind:     hidden_block_count_z
      - .offset:         44
        .size:           2
        .value_kind:     hidden_group_size_x
      - .offset:         46
        .size:           2
        .value_kind:     hidden_group_size_y
      - .offset:         48
        .size:           2
        .value_kind:     hidden_group_size_z
      - .offset:         50
        .size:           2
        .value_kind:     hidden_remainder_x
      - .offset:         52
        .size:           2
        .value_kind:     hidden_remainder_y
      - .offset:         54
        .size:           2
        .value_kind:     hidden_remainder_z
      - .offset:         72
        .size:           8
        .value_kind:     hidden_global_offset_x
      - .offset:         80
        .size:           8
        .value_kind:     hidden_global_offset_y
      - .offset:         88
        .size:           8
        .value_kind:     hidden_global_offset_z
      - .offset:         96
        .size:           2
        .value_kind:     hidden_grid_dims
    .group_segment_fixed_size: 0
    .kernarg_segment_align: 8
    .kernarg_segment_size: 288
    .language:       OpenCL C
    .language_version:
      - 2
      - 0
    .max_flat_workgroup_size: 512
    .name:           _ZN7rocprim17ROCPRIM_304000_NS6detail16transform_kernelINS1_24wrapped_transform_configINS0_14default_configEN3c107complexIfEEEES7_PS7_S9_NS0_8identityIS7_EEEEvT1_mT2_T3_
    .private_segment_fixed_size: 0
    .sgpr_count:     18
    .sgpr_spill_count: 0
    .symbol:         _ZN7rocprim17ROCPRIM_304000_NS6detail16transform_kernelINS1_24wrapped_transform_configINS0_14default_configEN3c107complexIfEEEES7_PS7_S9_NS0_8identityIS7_EEEEvT1_mT2_T3_.kd
    .uniform_work_group_size: 1
    .uses_dynamic_stack: false
    .vgpr_count:     3
    .vgpr_spill_count: 0
    .wavefront_size: 32
    .workgroup_processor_mode: 1
  - .args:
      - .address_space:  global
        .offset:         0
        .size:           8
        .value_kind:     global_buffer
      - .offset:         8
        .size:           8
        .value_kind:     by_value
      - .offset:         16
        .size:           8
        .value_kind:     by_value
      - .address_space:  global
        .offset:         24
        .size:           8
        .value_kind:     global_buffer
      - .offset:         32
        .size:           1
        .value_kind:     by_value
    .group_segment_fixed_size: 33792
    .kernarg_segment_align: 8
    .kernarg_segment_size: 36
    .language:       OpenCL C
    .language_version:
      - 2
      - 0
    .max_flat_workgroup_size: 256
    .name:           _ZN7rocprim17ROCPRIM_304000_NS6detail18single_scan_kernelILb0ENS1_19wrapped_scan_configINS0_14default_configEN3c107complexIfEEEEPKS7_PS7_St4plusIS7_ES7_S7_EEvT1_mT4_T2_T3_
    .private_segment_fixed_size: 0
    .sgpr_count:     24
    .sgpr_spill_count: 0
    .symbol:         _ZN7rocprim17ROCPRIM_304000_NS6detail18single_scan_kernelILb0ENS1_19wrapped_scan_configINS0_14default_configEN3c107complexIfEEEEPKS7_PS7_St4plusIS7_ES7_S7_EEvT1_mT4_T2_T3_.kd
    .uniform_work_group_size: 1
    .uses_dynamic_stack: false
    .vgpr_count:     105
    .vgpr_spill_count: 0
    .wavefront_size: 32
    .workgroup_processor_mode: 1
  - .args:
      - .address_space:  global
        .offset:         0
        .size:           8
        .value_kind:     global_buffer
      - .address_space:  global
        .offset:         8
        .size:           8
        .value_kind:     global_buffer
      - .offset:         16
        .size:           4
        .value_kind:     by_value
      - .offset:         20
        .size:           4
        .value_kind:     by_value
      - .offset:         24
        .size:           4
        .value_kind:     by_value
      - .offset:         32
        .size:           8
        .value_kind:     by_value
      - .offset:         40
        .size:           1
        .value_kind:     by_value
      - .offset:         48
        .size:           4
        .value_kind:     hidden_block_count_x
      - .offset:         52
        .size:           4
        .value_kind:     hidden_block_count_y
      - .offset:         56
        .size:           4
        .value_kind:     hidden_block_count_z
      - .offset:         60
        .size:           2
        .value_kind:     hidden_group_size_x
      - .offset:         62
        .size:           2
        .value_kind:     hidden_group_size_y
      - .offset:         64
        .size:           2
        .value_kind:     hidden_group_size_z
      - .offset:         66
        .size:           2
        .value_kind:     hidden_remainder_x
      - .offset:         68
        .size:           2
        .value_kind:     hidden_remainder_y
      - .offset:         70
        .size:           2
        .value_kind:     hidden_remainder_z
      - .offset:         88
        .size:           8
        .value_kind:     hidden_global_offset_x
      - .offset:         96
        .size:           8
        .value_kind:     hidden_global_offset_y
      - .offset:         104
        .size:           8
        .value_kind:     hidden_global_offset_z
      - .offset:         112
        .size:           2
        .value_kind:     hidden_grid_dims
      - .offset:         168
        .size:           4
        .value_kind:     hidden_dynamic_lds_size
    .group_segment_fixed_size: 0
    .kernarg_segment_align: 8
    .kernarg_segment_size: 304
    .language:       OpenCL C
    .language_version:
      - 2
      - 0
    .max_flat_workgroup_size: 1024
    .name:           _ZN2at6native32tensor_kernel_scan_innermost_dimIN3c107complexIfEESt4plusIS4_EEEvPT_PKS7_jjjS7_T0_
    .private_segment_fixed_size: 0
    .sgpr_count:     29
    .sgpr_spill_count: 0
    .symbol:         _ZN2at6native32tensor_kernel_scan_innermost_dimIN3c107complexIfEESt4plusIS4_EEEvPT_PKS7_jjjS7_T0_.kd
    .uniform_work_group_size: 1
    .uses_dynamic_stack: false
    .vgpr_count:     22
    .vgpr_spill_count: 0
    .wavefront_size: 32
    .workgroup_processor_mode: 1
  - .args:
      - .address_space:  global
        .offset:         0
        .size:           8
        .value_kind:     global_buffer
      - .address_space:  global
        .offset:         8
        .size:           8
        .value_kind:     global_buffer
      - .offset:         16
        .size:           4
        .value_kind:     by_value
      - .offset:         20
        .size:           4
        .value_kind:     by_value
      - .offset:         24
        .size:           4
        .value_kind:     by_value
      - .offset:         32
        .size:           8
        .value_kind:     by_value
      - .offset:         40
        .size:           1
        .value_kind:     by_value
      - .offset:         48
        .size:           4
        .value_kind:     hidden_block_count_x
      - .offset:         52
        .size:           4
        .value_kind:     hidden_block_count_y
      - .offset:         56
        .size:           4
        .value_kind:     hidden_block_count_z
      - .offset:         60
        .size:           2
        .value_kind:     hidden_group_size_x
      - .offset:         62
        .size:           2
        .value_kind:     hidden_group_size_y
      - .offset:         64
        .size:           2
        .value_kind:     hidden_group_size_z
      - .offset:         66
        .size:           2
        .value_kind:     hidden_remainder_x
      - .offset:         68
        .size:           2
        .value_kind:     hidden_remainder_y
      - .offset:         70
        .size:           2
        .value_kind:     hidden_remainder_z
      - .offset:         88
        .size:           8
        .value_kind:     hidden_global_offset_x
      - .offset:         96
        .size:           8
        .value_kind:     hidden_global_offset_y
      - .offset:         104
        .size:           8
        .value_kind:     hidden_global_offset_z
      - .offset:         112
        .size:           2
        .value_kind:     hidden_grid_dims
    .group_segment_fixed_size: 0
    .kernarg_segment_align: 8
    .kernarg_segment_size: 304
    .language:       OpenCL C
    .language_version:
      - 2
      - 0
    .max_flat_workgroup_size: 1024
    .name:           _ZN2at6native28tensor_kernel_scan_outer_dimIN3c107complexIfEEjSt4plusIS4_EEEvPT_PKS7_jjjS7_T1_
    .private_segment_fixed_size: 0
    .sgpr_count:     29
    .sgpr_spill_count: 0
    .symbol:         _ZN2at6native28tensor_kernel_scan_outer_dimIN3c107complexIfEEjSt4plusIS4_EEEvPT_PKS7_jjjS7_T1_.kd
    .uniform_work_group_size: 1
    .uses_dynamic_stack: false
    .vgpr_count:     11
    .vgpr_spill_count: 0
    .wavefront_size: 32
    .workgroup_processor_mode: 1
  - .args:
      - .address_space:  global
        .offset:         0
        .size:           8
        .value_kind:     global_buffer
      - .address_space:  global
        .offset:         8
        .size:           8
        .value_kind:     global_buffer
      - .offset:         16
        .size:           4
        .value_kind:     by_value
      - .offset:         20
        .size:           4
        .value_kind:     by_value
      - .offset:         24
        .size:           4
        .value_kind:     by_value
      - .offset:         32
        .size:           8
        .value_kind:     by_value
      - .offset:         40
        .size:           1
        .value_kind:     by_value
      - .offset:         48
        .size:           4
        .value_kind:     hidden_block_count_x
      - .offset:         52
        .size:           4
        .value_kind:     hidden_block_count_y
      - .offset:         56
        .size:           4
        .value_kind:     hidden_block_count_z
      - .offset:         60
        .size:           2
        .value_kind:     hidden_group_size_x
      - .offset:         62
        .size:           2
        .value_kind:     hidden_group_size_y
      - .offset:         64
        .size:           2
        .value_kind:     hidden_group_size_z
      - .offset:         66
        .size:           2
        .value_kind:     hidden_remainder_x
      - .offset:         68
        .size:           2
        .value_kind:     hidden_remainder_y
      - .offset:         70
        .size:           2
        .value_kind:     hidden_remainder_z
      - .offset:         88
        .size:           8
        .value_kind:     hidden_global_offset_x
      - .offset:         96
        .size:           8
        .value_kind:     hidden_global_offset_y
      - .offset:         104
        .size:           8
        .value_kind:     hidden_global_offset_z
      - .offset:         112
        .size:           2
        .value_kind:     hidden_grid_dims
    .group_segment_fixed_size: 0
    .kernarg_segment_align: 8
    .kernarg_segment_size: 304
    .language:       OpenCL C
    .language_version:
      - 2
      - 0
    .max_flat_workgroup_size: 1024
    .name:           _ZN2at6native28tensor_kernel_scan_outer_dimIN3c107complexIfEEmSt4plusIS4_EEEvPT_PKS7_jjjS7_T1_
    .private_segment_fixed_size: 0
    .sgpr_count:     28
    .sgpr_spill_count: 0
    .symbol:         _ZN2at6native28tensor_kernel_scan_outer_dimIN3c107complexIfEEmSt4plusIS4_EEEvPT_PKS7_jjjS7_T1_.kd
    .uniform_work_group_size: 1
    .uses_dynamic_stack: false
    .vgpr_count:     11
    .vgpr_spill_count: 0
    .wavefront_size: 32
    .workgroup_processor_mode: 1
  - .args:
      - .address_space:  global
        .offset:         0
        .size:           8
        .value_kind:     global_buffer
      - .address_space:  global
        .offset:         8
        .size:           8
        .value_kind:     global_buffer
      - .offset:         16
        .size:           8
        .value_kind:     by_value
      - .offset:         24
        .size:           4
        .value_kind:     by_value
    .group_segment_fixed_size: 32
    .kernarg_segment_align: 8
    .kernarg_segment_size: 28
    .language:       OpenCL C
    .language_version:
      - 2
      - 0
    .max_flat_workgroup_size: 1024
    .name:           _ZN2at4cuda3cub15calc_block_sumsILi512ELi16ELb0EN3c104HalfES4_EEvPKT2_PT3_li
    .private_segment_fixed_size: 0
    .sgpr_count:     18
    .sgpr_spill_count: 0
    .symbol:         _ZN2at4cuda3cub15calc_block_sumsILi512ELi16ELb0EN3c104HalfES4_EEvPKT2_PT3_li.kd
    .uniform_work_group_size: 1
    .uses_dynamic_stack: false
    .vgpr_count:     42
    .vgpr_spill_count: 0
    .wavefront_size: 32
    .workgroup_processor_mode: 1
  - .args:
      - .address_space:  global
        .offset:         0
        .size:           8
        .value_kind:     global_buffer
      - .address_space:  global
        .offset:         8
        .size:           8
        .value_kind:     global_buffer
      - .address_space:  global
        .offset:         16
        .size:           8
        .value_kind:     global_buffer
      - .offset:         24
        .size:           8
        .value_kind:     by_value
      - .offset:         32
        .size:           4
        .value_kind:     by_value
      - .offset:         40
        .size:           4
        .value_kind:     hidden_block_count_x
      - .offset:         44
        .size:           4
        .value_kind:     hidden_block_count_y
      - .offset:         48
        .size:           4
        .value_kind:     hidden_block_count_z
      - .offset:         52
        .size:           2
        .value_kind:     hidden_group_size_x
      - .offset:         54
        .size:           2
        .value_kind:     hidden_group_size_y
      - .offset:         56
        .size:           2
        .value_kind:     hidden_group_size_z
      - .offset:         58
        .size:           2
        .value_kind:     hidden_remainder_x
      - .offset:         60
        .size:           2
        .value_kind:     hidden_remainder_y
      - .offset:         62
        .size:           2
        .value_kind:     hidden_remainder_z
      - .offset:         80
        .size:           8
        .value_kind:     hidden_global_offset_x
      - .offset:         88
        .size:           8
        .value_kind:     hidden_global_offset_y
      - .offset:         96
        .size:           8
        .value_kind:     hidden_global_offset_z
      - .offset:         104
        .size:           2
        .value_kind:     hidden_grid_dims
    .group_segment_fixed_size: 16896
    .kernarg_segment_align: 8
    .kernarg_segment_size: 296
    .language:       OpenCL C
    .language_version:
      - 2
      - 0
    .max_flat_workgroup_size: 1024
    .name:           _ZN2at4cuda3cub17final_scan_kernelILi512ELi16EN3c104HalfEEEvPKT1_PS5_S8_li
    .private_segment_fixed_size: 0
    .sgpr_count:     28
    .sgpr_spill_count: 0
    .symbol:         _ZN2at4cuda3cub17final_scan_kernelILi512ELi16EN3c104HalfEEEvPKT1_PS5_S8_li.kd
    .uniform_work_group_size: 1
    .uses_dynamic_stack: false
    .vgpr_count:     70
    .vgpr_spill_count: 0
    .wavefront_size: 32
    .workgroup_processor_mode: 1
  - .args:
      - .address_space:  global
        .offset:         0
        .size:           8
        .value_kind:     global_buffer
      - .offset:         8
        .size:           4
        .value_kind:     by_value
      - .offset:         12
        .size:           4
        .value_kind:     by_value
      - .address_space:  global
        .offset:         16
        .size:           8
        .value_kind:     global_buffer
      - .offset:         24
        .size:           4
        .value_kind:     hidden_block_count_x
      - .offset:         28
        .size:           4
        .value_kind:     hidden_block_count_y
      - .offset:         32
        .size:           4
        .value_kind:     hidden_block_count_z
      - .offset:         36
        .size:           2
        .value_kind:     hidden_group_size_x
      - .offset:         38
        .size:           2
        .value_kind:     hidden_group_size_y
      - .offset:         40
        .size:           2
        .value_kind:     hidden_group_size_z
      - .offset:         42
        .size:           2
        .value_kind:     hidden_remainder_x
      - .offset:         44
        .size:           2
        .value_kind:     hidden_remainder_y
      - .offset:         46
        .size:           2
        .value_kind:     hidden_remainder_z
      - .offset:         64
        .size:           8
        .value_kind:     hidden_global_offset_x
      - .offset:         72
        .size:           8
        .value_kind:     hidden_global_offset_y
      - .offset:         80
        .size:           8
        .value_kind:     hidden_global_offset_z
      - .offset:         88
        .size:           2
        .value_kind:     hidden_grid_dims
    .group_segment_fixed_size: 0
    .kernarg_segment_align: 8
    .kernarg_segment_size: 280
    .language:       OpenCL C
    .language_version:
      - 2
      - 0
    .max_flat_workgroup_size: 256
    .name:           _ZN7rocprim17ROCPRIM_304000_NS6detail31init_lookback_scan_state_kernelINS1_19lookback_scan_stateIN3c104HalfELb1ELb1EEEEEvT_jjPNS7_10value_typeE
    .private_segment_fixed_size: 0
    .sgpr_count:     18
    .sgpr_spill_count: 0
    .symbol:         _ZN7rocprim17ROCPRIM_304000_NS6detail31init_lookback_scan_state_kernelINS1_19lookback_scan_stateIN3c104HalfELb1ELb1EEEEEvT_jjPNS7_10value_typeE.kd
    .uniform_work_group_size: 1
    .uses_dynamic_stack: false
    .vgpr_count:     6
    .vgpr_spill_count: 0
    .wavefront_size: 32
    .workgroup_processor_mode: 1
  - .args:
      - .address_space:  global
        .offset:         0
        .size:           8
        .value_kind:     global_buffer
      - .offset:         8
        .size:           4
        .value_kind:     by_value
      - .offset:         12
        .size:           4
        .value_kind:     by_value
      - .address_space:  global
        .offset:         16
        .size:           8
        .value_kind:     global_buffer
      - .offset:         24
        .size:           4
        .value_kind:     hidden_block_count_x
      - .offset:         28
        .size:           4
        .value_kind:     hidden_block_count_y
      - .offset:         32
        .size:           4
        .value_kind:     hidden_block_count_z
      - .offset:         36
        .size:           2
        .value_kind:     hidden_group_size_x
      - .offset:         38
        .size:           2
        .value_kind:     hidden_group_size_y
      - .offset:         40
        .size:           2
        .value_kind:     hidden_group_size_z
      - .offset:         42
        .size:           2
        .value_kind:     hidden_remainder_x
      - .offset:         44
        .size:           2
        .value_kind:     hidden_remainder_y
      - .offset:         46
        .size:           2
        .value_kind:     hidden_remainder_z
      - .offset:         64
        .size:           8
        .value_kind:     hidden_global_offset_x
      - .offset:         72
        .size:           8
        .value_kind:     hidden_global_offset_y
      - .offset:         80
        .size:           8
        .value_kind:     hidden_global_offset_z
      - .offset:         88
        .size:           2
        .value_kind:     hidden_grid_dims
    .group_segment_fixed_size: 0
    .kernarg_segment_align: 8
    .kernarg_segment_size: 280
    .language:       OpenCL C
    .language_version:
      - 2
      - 0
    .max_flat_workgroup_size: 256
    .name:           _ZN7rocprim17ROCPRIM_304000_NS6detail31init_lookback_scan_state_kernelINS1_19lookback_scan_stateIN3c104HalfELb0ELb1EEEEEvT_jjPNS7_10value_typeE
    .private_segment_fixed_size: 0
    .sgpr_count:     18
    .sgpr_spill_count: 0
    .symbol:         _ZN7rocprim17ROCPRIM_304000_NS6detail31init_lookback_scan_state_kernelINS1_19lookback_scan_stateIN3c104HalfELb0ELb1EEEEEvT_jjPNS7_10value_typeE.kd
    .uniform_work_group_size: 1
    .uses_dynamic_stack: false
    .vgpr_count:     6
    .vgpr_spill_count: 0
    .wavefront_size: 32
    .workgroup_processor_mode: 1
  - .args:
      - .address_space:  global
        .offset:         0
        .size:           8
        .value_kind:     global_buffer
      - .address_space:  global
        .offset:         8
        .size:           8
        .value_kind:     global_buffer
      - .offset:         16
        .size:           8
        .value_kind:     by_value
      - .offset:         24
        .size:           2
        .value_kind:     by_value
      - .offset:         26
        .size:           1
        .value_kind:     by_value
      - .address_space:  global
        .offset:         32
        .size:           8
        .value_kind:     global_buffer
      - .offset:         40
        .size:           4
        .value_kind:     by_value
      - .address_space:  global
        .offset:         48
        .size:           8
        .value_kind:     global_buffer
      - .address_space:  global
        .offset:         56
        .size:           8
        .value_kind:     global_buffer
      - .offset:         64
        .size:           1
        .value_kind:     by_value
      - .offset:         65
        .size:           1
        .value_kind:     by_value
    .group_segment_fixed_size: 0
    .kernarg_segment_align: 8
    .kernarg_segment_size: 68
    .language:       OpenCL C
    .language_version:
      - 2
      - 0
    .max_flat_workgroup_size: 64
    .name:           _ZN7rocprim17ROCPRIM_304000_NS6detail20lookback_scan_kernelILNS1_25lookback_scan_determinismE0ELb0ENS1_19wrapped_scan_configINS0_14default_configEN3c104HalfEEEPKS7_PS7_St4plusIS7_ES7_S7_NS1_19lookback_scan_stateIS7_Lb1ELb1EEEEEvT2_T3_mT5_T4_T7_jPT6_SM_bb
    .private_segment_fixed_size: 0
    .sgpr_count:     0
    .sgpr_spill_count: 0
    .symbol:         _ZN7rocprim17ROCPRIM_304000_NS6detail20lookback_scan_kernelILNS1_25lookback_scan_determinismE0ELb0ENS1_19wrapped_scan_configINS0_14default_configEN3c104HalfEEEPKS7_PS7_St4plusIS7_ES7_S7_NS1_19lookback_scan_stateIS7_Lb1ELb1EEEEEvT2_T3_mT5_T4_T7_jPT6_SM_bb.kd
    .uniform_work_group_size: 1
    .uses_dynamic_stack: false
    .vgpr_count:     0
    .vgpr_spill_count: 0
    .wavefront_size: 32
    .workgroup_processor_mode: 1
  - .args:
      - .address_space:  global
        .offset:         0
        .size:           8
        .value_kind:     global_buffer
      - .address_space:  global
        .offset:         8
        .size:           8
        .value_kind:     global_buffer
      - .offset:         16
        .size:           8
        .value_kind:     by_value
      - .offset:         24
        .size:           2
        .value_kind:     by_value
      - .offset:         26
        .size:           1
        .value_kind:     by_value
      - .address_space:  global
        .offset:         32
        .size:           8
        .value_kind:     global_buffer
      - .offset:         40
        .size:           4
        .value_kind:     by_value
      - .address_space:  global
        .offset:         48
        .size:           8
        .value_kind:     global_buffer
      - .address_space:  global
        .offset:         56
        .size:           8
        .value_kind:     global_buffer
      - .offset:         64
        .size:           1
        .value_kind:     by_value
      - .offset:         65
        .size:           1
        .value_kind:     by_value
    .group_segment_fixed_size: 2816
    .kernarg_segment_align: 8
    .kernarg_segment_size: 68
    .language:       OpenCL C
    .language_version:
      - 2
      - 0
    .max_flat_workgroup_size: 64
    .name:           _ZN7rocprim17ROCPRIM_304000_NS6detail20lookback_scan_kernelILNS1_25lookback_scan_determinismE0ELb0ENS1_19wrapped_scan_configINS0_14default_configEN3c104HalfEEEPKS7_PS7_St4plusIS7_ES7_S7_NS1_19lookback_scan_stateIS7_Lb0ELb1EEEEEvT2_T3_mT5_T4_T7_jPT6_SM_bb
    .private_segment_fixed_size: 0
    .sgpr_count:     22
    .sgpr_spill_count: 0
    .symbol:         _ZN7rocprim17ROCPRIM_304000_NS6detail20lookback_scan_kernelILNS1_25lookback_scan_determinismE0ELb0ENS1_19wrapped_scan_configINS0_14default_configEN3c104HalfEEEPKS7_PS7_St4plusIS7_ES7_S7_NS1_19lookback_scan_stateIS7_Lb0ELb1EEEEEvT2_T3_mT5_T4_T7_jPT6_SM_bb.kd
    .uniform_work_group_size: 1
    .uses_dynamic_stack: false
    .vgpr_count:     53
    .vgpr_spill_count: 0
    .wavefront_size: 32
    .workgroup_processor_mode: 1
  - .args:
      - .address_space:  global
        .offset:         0
        .size:           8
        .value_kind:     global_buffer
      - .offset:         8
        .size:           8
        .value_kind:     by_value
      - .address_space:  global
        .offset:         16
        .size:           8
        .value_kind:     global_buffer
      - .offset:         24
        .size:           1
        .value_kind:     by_value
      - .offset:         32
        .size:           4
        .value_kind:     hidden_block_count_x
      - .offset:         36
        .size:           4
        .value_kind:     hidden_block_count_y
      - .offset:         40
        .size:           4
        .value_kind:     hidden_block_count_z
      - .offset:         44
        .size:           2
        .value_kind:     hidden_group_size_x
      - .offset:         46
        .size:           2
        .value_kind:     hidden_group_size_y
      - .offset:         48
        .size:           2
        .value_kind:     hidden_group_size_z
      - .offset:         50
        .size:           2
        .value_kind:     hidden_remainder_x
      - .offset:         52
        .size:           2
        .value_kind:     hidden_remainder_y
      - .offset:         54
        .size:           2
        .value_kind:     hidden_remainder_z
      - .offset:         72
        .size:           8
        .value_kind:     hidden_global_offset_x
      - .offset:         80
        .size:           8
        .value_kind:     hidden_global_offset_y
      - .offset:         88
        .size:           8
        .value_kind:     hidden_global_offset_z
      - .offset:         96
        .size:           2
        .value_kind:     hidden_grid_dims
    .group_segment_fixed_size: 0
    .kernarg_segment_align: 8
    .kernarg_segment_size: 288
    .language:       OpenCL C
    .language_version:
      - 2
      - 0
    .max_flat_workgroup_size: 1024
    .name:           _ZN7rocprim17ROCPRIM_304000_NS6detail16transform_kernelINS1_24wrapped_transform_configINS0_14default_configEN3c104HalfEEES6_PS6_S8_NS0_8identityIS6_EEEEvT1_mT2_T3_
    .private_segment_fixed_size: 0
    .sgpr_count:     18
    .sgpr_spill_count: 0
    .symbol:         _ZN7rocprim17ROCPRIM_304000_NS6detail16transform_kernelINS1_24wrapped_transform_configINS0_14default_configEN3c104HalfEEES6_PS6_S8_NS0_8identityIS6_EEEEvT1_mT2_T3_.kd
    .uniform_work_group_size: 1
    .uses_dynamic_stack: false
    .vgpr_count:     6
    .vgpr_spill_count: 0
    .wavefront_size: 32
    .workgroup_processor_mode: 1
  - .args:
      - .address_space:  global
        .offset:         0
        .size:           8
        .value_kind:     global_buffer
      - .offset:         8
        .size:           8
        .value_kind:     by_value
      - .offset:         16
        .size:           2
        .value_kind:     by_value
      - .address_space:  global
        .offset:         24
        .size:           8
        .value_kind:     global_buffer
      - .offset:         32
        .size:           1
        .value_kind:     by_value
    .group_segment_fixed_size: 2816
    .kernarg_segment_align: 8
    .kernarg_segment_size: 36
    .language:       OpenCL C
    .language_version:
      - 2
      - 0
    .max_flat_workgroup_size: 64
    .name:           _ZN7rocprim17ROCPRIM_304000_NS6detail18single_scan_kernelILb0ENS1_19wrapped_scan_configINS0_14default_configEN3c104HalfEEEPKS6_PS6_St4plusIS6_ES6_S6_EEvT1_mT4_T2_T3_
    .private_segment_fixed_size: 0
    .sgpr_count:     28
    .sgpr_spill_count: 0
    .symbol:         _ZN7rocprim17ROCPRIM_304000_NS6detail18single_scan_kernelILb0ENS1_19wrapped_scan_configINS0_14default_configEN3c104HalfEEEPKS6_PS6_St4plusIS6_ES6_S6_EEvT1_mT4_T2_T3_.kd
    .uniform_work_group_size: 1
    .uses_dynamic_stack: false
    .vgpr_count:     34
    .vgpr_spill_count: 0
    .wavefront_size: 32
    .workgroup_processor_mode: 1
  - .args:
      - .address_space:  global
        .offset:         0
        .size:           8
        .value_kind:     global_buffer
      - .address_space:  global
        .offset:         8
        .size:           8
        .value_kind:     global_buffer
      - .offset:         16
        .size:           4
        .value_kind:     by_value
      - .offset:         20
        .size:           4
        .value_kind:     by_value
      - .offset:         24
        .size:           4
        .value_kind:     by_value
      - .offset:         28
        .size:           2
        .value_kind:     by_value
      - .offset:         30
        .size:           1
        .value_kind:     by_value
      - .offset:         32
        .size:           4
        .value_kind:     hidden_block_count_x
      - .offset:         36
        .size:           4
        .value_kind:     hidden_block_count_y
      - .offset:         40
        .size:           4
        .value_kind:     hidden_block_count_z
      - .offset:         44
        .size:           2
        .value_kind:     hidden_group_size_x
      - .offset:         46
        .size:           2
        .value_kind:     hidden_group_size_y
      - .offset:         48
        .size:           2
        .value_kind:     hidden_group_size_z
      - .offset:         50
        .size:           2
        .value_kind:     hidden_remainder_x
      - .offset:         52
        .size:           2
        .value_kind:     hidden_remainder_y
      - .offset:         54
        .size:           2
        .value_kind:     hidden_remainder_z
      - .offset:         72
        .size:           8
        .value_kind:     hidden_global_offset_x
      - .offset:         80
        .size:           8
        .value_kind:     hidden_global_offset_y
      - .offset:         88
        .size:           8
        .value_kind:     hidden_global_offset_z
      - .offset:         96
        .size:           2
        .value_kind:     hidden_grid_dims
      - .offset:         152
        .size:           4
        .value_kind:     hidden_dynamic_lds_size
    .group_segment_fixed_size: 0
    .kernarg_segment_align: 8
    .kernarg_segment_size: 288
    .language:       OpenCL C
    .language_version:
      - 2
      - 0
    .max_flat_workgroup_size: 1024
    .name:           _ZN2at6native32tensor_kernel_scan_innermost_dimIN3c104HalfESt4plusIS3_EEEvPT_PKS6_jjjS6_T0_
    .private_segment_fixed_size: 0
    .sgpr_count:     28
    .sgpr_spill_count: 0
    .symbol:         _ZN2at6native32tensor_kernel_scan_innermost_dimIN3c104HalfESt4plusIS3_EEEvPT_PKS6_jjjS6_T0_.kd
    .uniform_work_group_size: 1
    .uses_dynamic_stack: false
    .vgpr_count:     20
    .vgpr_spill_count: 0
    .wavefront_size: 32
    .workgroup_processor_mode: 1
  - .args:
      - .address_space:  global
        .offset:         0
        .size:           8
        .value_kind:     global_buffer
      - .address_space:  global
        .offset:         8
        .size:           8
        .value_kind:     global_buffer
      - .offset:         16
        .size:           4
        .value_kind:     by_value
      - .offset:         20
        .size:           4
        .value_kind:     by_value
      - .offset:         24
        .size:           4
        .value_kind:     by_value
      - .offset:         28
        .size:           2
        .value_kind:     by_value
      - .offset:         30
        .size:           1
        .value_kind:     by_value
      - .offset:         32
        .size:           4
        .value_kind:     hidden_block_count_x
      - .offset:         36
        .size:           4
        .value_kind:     hidden_block_count_y
      - .offset:         40
        .size:           4
        .value_kind:     hidden_block_count_z
      - .offset:         44
        .size:           2
        .value_kind:     hidden_group_size_x
      - .offset:         46
        .size:           2
        .value_kind:     hidden_group_size_y
      - .offset:         48
        .size:           2
        .value_kind:     hidden_group_size_z
      - .offset:         50
        .size:           2
        .value_kind:     hidden_remainder_x
      - .offset:         52
        .size:           2
        .value_kind:     hidden_remainder_y
      - .offset:         54
        .size:           2
        .value_kind:     hidden_remainder_z
      - .offset:         72
        .size:           8
        .value_kind:     hidden_global_offset_x
      - .offset:         80
        .size:           8
        .value_kind:     hidden_global_offset_y
      - .offset:         88
        .size:           8
        .value_kind:     hidden_global_offset_z
      - .offset:         96
        .size:           2
        .value_kind:     hidden_grid_dims
    .group_segment_fixed_size: 0
    .kernarg_segment_align: 8
    .kernarg_segment_size: 288
    .language:       OpenCL C
    .language_version:
      - 2
      - 0
    .max_flat_workgroup_size: 1024
    .name:           _ZN2at6native28tensor_kernel_scan_outer_dimIN3c104HalfEjSt4plusIS3_EEEvPT_PKS6_jjjS6_T1_
    .private_segment_fixed_size: 0
    .sgpr_count:     28
    .sgpr_spill_count: 0
    .symbol:         _ZN2at6native28tensor_kernel_scan_outer_dimIN3c104HalfEjSt4plusIS3_EEEvPT_PKS6_jjjS6_T1_.kd
    .uniform_work_group_size: 1
    .uses_dynamic_stack: false
    .vgpr_count:     9
    .vgpr_spill_count: 0
    .wavefront_size: 32
    .workgroup_processor_mode: 1
  - .args:
      - .address_space:  global
        .offset:         0
        .size:           8
        .value_kind:     global_buffer
      - .address_space:  global
        .offset:         8
        .size:           8
        .value_kind:     global_buffer
      - .offset:         16
        .size:           4
        .value_kind:     by_value
      - .offset:         20
        .size:           4
        .value_kind:     by_value
      - .offset:         24
        .size:           4
        .value_kind:     by_value
      - .offset:         28
        .size:           2
        .value_kind:     by_value
      - .offset:         30
        .size:           1
        .value_kind:     by_value
      - .offset:         32
        .size:           4
        .value_kind:     hidden_block_count_x
      - .offset:         36
        .size:           4
        .value_kind:     hidden_block_count_y
      - .offset:         40
        .size:           4
        .value_kind:     hidden_block_count_z
      - .offset:         44
        .size:           2
        .value_kind:     hidden_group_size_x
      - .offset:         46
        .size:           2
        .value_kind:     hidden_group_size_y
      - .offset:         48
        .size:           2
        .value_kind:     hidden_group_size_z
      - .offset:         50
        .size:           2
        .value_kind:     hidden_remainder_x
      - .offset:         52
        .size:           2
        .value_kind:     hidden_remainder_y
      - .offset:         54
        .size:           2
        .value_kind:     hidden_remainder_z
      - .offset:         72
        .size:           8
        .value_kind:     hidden_global_offset_x
      - .offset:         80
        .size:           8
        .value_kind:     hidden_global_offset_y
      - .offset:         88
        .size:           8
        .value_kind:     hidden_global_offset_z
      - .offset:         96
        .size:           2
        .value_kind:     hidden_grid_dims
    .group_segment_fixed_size: 0
    .kernarg_segment_align: 8
    .kernarg_segment_size: 288
    .language:       OpenCL C
    .language_version:
      - 2
      - 0
    .max_flat_workgroup_size: 1024
    .name:           _ZN2at6native28tensor_kernel_scan_outer_dimIN3c104HalfEmSt4plusIS3_EEEvPT_PKS6_jjjS6_T1_
    .private_segment_fixed_size: 0
    .sgpr_count:     27
    .sgpr_spill_count: 0
    .symbol:         _ZN2at6native28tensor_kernel_scan_outer_dimIN3c104HalfEmSt4plusIS3_EEEvPT_PKS6_jjjS6_T1_.kd
    .uniform_work_group_size: 1
    .uses_dynamic_stack: false
    .vgpr_count:     9
    .vgpr_spill_count: 0
    .wavefront_size: 32
    .workgroup_processor_mode: 1
  - .args:
      - .address_space:  global
        .offset:         0
        .size:           8
        .value_kind:     global_buffer
      - .address_space:  global
        .offset:         8
        .size:           8
        .value_kind:     global_buffer
      - .offset:         16
        .size:           8
        .value_kind:     by_value
      - .offset:         24
        .size:           4
        .value_kind:     by_value
    .group_segment_fixed_size: 32
    .kernarg_segment_align: 8
    .kernarg_segment_size: 28
    .language:       OpenCL C
    .language_version:
      - 2
      - 0
    .max_flat_workgroup_size: 1024
    .name:           _ZN2at4cuda3cub15calc_block_sumsILi512ELi16ELb0EN3c108BFloat16ES4_EEvPKT2_PT3_li
    .private_segment_fixed_size: 0
    .sgpr_count:     18
    .sgpr_spill_count: 0
    .symbol:         _ZN2at4cuda3cub15calc_block_sumsILi512ELi16ELb0EN3c108BFloat16ES4_EEvPKT2_PT3_li.kd
    .uniform_work_group_size: 1
    .uses_dynamic_stack: false
    .vgpr_count:     42
    .vgpr_spill_count: 0
    .wavefront_size: 32
    .workgroup_processor_mode: 1
  - .args:
      - .address_space:  global
        .offset:         0
        .size:           8
        .value_kind:     global_buffer
      - .address_space:  global
        .offset:         8
        .size:           8
        .value_kind:     global_buffer
      - .address_space:  global
        .offset:         16
        .size:           8
        .value_kind:     global_buffer
      - .offset:         24
        .size:           8
        .value_kind:     by_value
      - .offset:         32
        .size:           4
        .value_kind:     by_value
      - .offset:         40
        .size:           4
        .value_kind:     hidden_block_count_x
      - .offset:         44
        .size:           4
        .value_kind:     hidden_block_count_y
      - .offset:         48
        .size:           4
        .value_kind:     hidden_block_count_z
      - .offset:         52
        .size:           2
        .value_kind:     hidden_group_size_x
      - .offset:         54
        .size:           2
        .value_kind:     hidden_group_size_y
      - .offset:         56
        .size:           2
        .value_kind:     hidden_group_size_z
      - .offset:         58
        .size:           2
        .value_kind:     hidden_remainder_x
      - .offset:         60
        .size:           2
        .value_kind:     hidden_remainder_y
      - .offset:         62
        .size:           2
        .value_kind:     hidden_remainder_z
      - .offset:         80
        .size:           8
        .value_kind:     hidden_global_offset_x
      - .offset:         88
        .size:           8
        .value_kind:     hidden_global_offset_y
      - .offset:         96
        .size:           8
        .value_kind:     hidden_global_offset_z
      - .offset:         104
        .size:           2
        .value_kind:     hidden_grid_dims
    .group_segment_fixed_size: 16896
    .kernarg_segment_align: 8
    .kernarg_segment_size: 296
    .language:       OpenCL C
    .language_version:
      - 2
      - 0
    .max_flat_workgroup_size: 1024
    .name:           _ZN2at4cuda3cub17final_scan_kernelILi512ELi16EN3c108BFloat16EEEvPKT1_PS5_S8_li
    .private_segment_fixed_size: 0
    .sgpr_count:     28
    .sgpr_spill_count: 0
    .symbol:         _ZN2at4cuda3cub17final_scan_kernelILi512ELi16EN3c108BFloat16EEEvPKT1_PS5_S8_li.kd
    .uniform_work_group_size: 1
    .uses_dynamic_stack: false
    .vgpr_count:     70
    .vgpr_spill_count: 0
    .wavefront_size: 32
    .workgroup_processor_mode: 1
  - .args:
      - .address_space:  global
        .offset:         0
        .size:           8
        .value_kind:     global_buffer
      - .offset:         8
        .size:           4
        .value_kind:     by_value
      - .offset:         12
        .size:           4
        .value_kind:     by_value
      - .address_space:  global
        .offset:         16
        .size:           8
        .value_kind:     global_buffer
      - .offset:         24
        .size:           4
        .value_kind:     hidden_block_count_x
      - .offset:         28
        .size:           4
        .value_kind:     hidden_block_count_y
      - .offset:         32
        .size:           4
        .value_kind:     hidden_block_count_z
      - .offset:         36
        .size:           2
        .value_kind:     hidden_group_size_x
      - .offset:         38
        .size:           2
        .value_kind:     hidden_group_size_y
      - .offset:         40
        .size:           2
        .value_kind:     hidden_group_size_z
      - .offset:         42
        .size:           2
        .value_kind:     hidden_remainder_x
      - .offset:         44
        .size:           2
        .value_kind:     hidden_remainder_y
      - .offset:         46
        .size:           2
        .value_kind:     hidden_remainder_z
      - .offset:         64
        .size:           8
        .value_kind:     hidden_global_offset_x
      - .offset:         72
        .size:           8
        .value_kind:     hidden_global_offset_y
      - .offset:         80
        .size:           8
        .value_kind:     hidden_global_offset_z
      - .offset:         88
        .size:           2
        .value_kind:     hidden_grid_dims
    .group_segment_fixed_size: 0
    .kernarg_segment_align: 8
    .kernarg_segment_size: 280
    .language:       OpenCL C
    .language_version:
      - 2
      - 0
    .max_flat_workgroup_size: 256
    .name:           _ZN7rocprim17ROCPRIM_304000_NS6detail31init_lookback_scan_state_kernelINS1_19lookback_scan_stateIN3c108BFloat16ELb1ELb1EEEEEvT_jjPNS7_10value_typeE
    .private_segment_fixed_size: 0
    .sgpr_count:     18
    .sgpr_spill_count: 0
    .symbol:         _ZN7rocprim17ROCPRIM_304000_NS6detail31init_lookback_scan_state_kernelINS1_19lookback_scan_stateIN3c108BFloat16ELb1ELb1EEEEEvT_jjPNS7_10value_typeE.kd
    .uniform_work_group_size: 1
    .uses_dynamic_stack: false
    .vgpr_count:     6
    .vgpr_spill_count: 0
    .wavefront_size: 32
    .workgroup_processor_mode: 1
  - .args:
      - .address_space:  global
        .offset:         0
        .size:           8
        .value_kind:     global_buffer
      - .offset:         8
        .size:           4
        .value_kind:     by_value
      - .offset:         12
        .size:           4
        .value_kind:     by_value
      - .address_space:  global
        .offset:         16
        .size:           8
        .value_kind:     global_buffer
      - .offset:         24
        .size:           4
        .value_kind:     hidden_block_count_x
      - .offset:         28
        .size:           4
        .value_kind:     hidden_block_count_y
      - .offset:         32
        .size:           4
        .value_kind:     hidden_block_count_z
      - .offset:         36
        .size:           2
        .value_kind:     hidden_group_size_x
      - .offset:         38
        .size:           2
        .value_kind:     hidden_group_size_y
      - .offset:         40
        .size:           2
        .value_kind:     hidden_group_size_z
      - .offset:         42
        .size:           2
        .value_kind:     hidden_remainder_x
      - .offset:         44
        .size:           2
        .value_kind:     hidden_remainder_y
      - .offset:         46
        .size:           2
        .value_kind:     hidden_remainder_z
      - .offset:         64
        .size:           8
        .value_kind:     hidden_global_offset_x
      - .offset:         72
        .size:           8
        .value_kind:     hidden_global_offset_y
      - .offset:         80
        .size:           8
        .value_kind:     hidden_global_offset_z
      - .offset:         88
        .size:           2
        .value_kind:     hidden_grid_dims
    .group_segment_fixed_size: 0
    .kernarg_segment_align: 8
    .kernarg_segment_size: 280
    .language:       OpenCL C
    .language_version:
      - 2
      - 0
    .max_flat_workgroup_size: 256
    .name:           _ZN7rocprim17ROCPRIM_304000_NS6detail31init_lookback_scan_state_kernelINS1_19lookback_scan_stateIN3c108BFloat16ELb0ELb1EEEEEvT_jjPNS7_10value_typeE
    .private_segment_fixed_size: 0
    .sgpr_count:     18
    .sgpr_spill_count: 0
    .symbol:         _ZN7rocprim17ROCPRIM_304000_NS6detail31init_lookback_scan_state_kernelINS1_19lookback_scan_stateIN3c108BFloat16ELb0ELb1EEEEEvT_jjPNS7_10value_typeE.kd
    .uniform_work_group_size: 1
    .uses_dynamic_stack: false
    .vgpr_count:     6
    .vgpr_spill_count: 0
    .wavefront_size: 32
    .workgroup_processor_mode: 1
  - .args:
      - .address_space:  global
        .offset:         0
        .size:           8
        .value_kind:     global_buffer
      - .address_space:  global
        .offset:         8
        .size:           8
        .value_kind:     global_buffer
      - .offset:         16
        .size:           8
        .value_kind:     by_value
      - .offset:         24
        .size:           2
        .value_kind:     by_value
      - .offset:         26
        .size:           1
        .value_kind:     by_value
      - .address_space:  global
        .offset:         32
        .size:           8
        .value_kind:     global_buffer
      - .offset:         40
        .size:           4
        .value_kind:     by_value
      - .address_space:  global
        .offset:         48
        .size:           8
        .value_kind:     global_buffer
      - .address_space:  global
        .offset:         56
        .size:           8
        .value_kind:     global_buffer
      - .offset:         64
        .size:           1
        .value_kind:     by_value
      - .offset:         65
        .size:           1
        .value_kind:     by_value
    .group_segment_fixed_size: 0
    .kernarg_segment_align: 8
    .kernarg_segment_size: 68
    .language:       OpenCL C
    .language_version:
      - 2
      - 0
    .max_flat_workgroup_size: 64
    .name:           _ZN7rocprim17ROCPRIM_304000_NS6detail20lookback_scan_kernelILNS1_25lookback_scan_determinismE0ELb0ENS1_19wrapped_scan_configINS0_14default_configEN3c108BFloat16EEEPKS7_PS7_St4plusIS7_ES7_S7_NS1_19lookback_scan_stateIS7_Lb1ELb1EEEEEvT2_T3_mT5_T4_T7_jPT6_SM_bb
    .private_segment_fixed_size: 0
    .sgpr_count:     0
    .sgpr_spill_count: 0
    .symbol:         _ZN7rocprim17ROCPRIM_304000_NS6detail20lookback_scan_kernelILNS1_25lookback_scan_determinismE0ELb0ENS1_19wrapped_scan_configINS0_14default_configEN3c108BFloat16EEEPKS7_PS7_St4plusIS7_ES7_S7_NS1_19lookback_scan_stateIS7_Lb1ELb1EEEEEvT2_T3_mT5_T4_T7_jPT6_SM_bb.kd
    .uniform_work_group_size: 1
    .uses_dynamic_stack: false
    .vgpr_count:     0
    .vgpr_spill_count: 0
    .wavefront_size: 32
    .workgroup_processor_mode: 1
  - .args:
      - .address_space:  global
        .offset:         0
        .size:           8
        .value_kind:     global_buffer
      - .address_space:  global
        .offset:         8
        .size:           8
        .value_kind:     global_buffer
      - .offset:         16
        .size:           8
        .value_kind:     by_value
      - .offset:         24
        .size:           2
        .value_kind:     by_value
      - .offset:         26
        .size:           1
        .value_kind:     by_value
      - .address_space:  global
        .offset:         32
        .size:           8
        .value_kind:     global_buffer
      - .offset:         40
        .size:           4
        .value_kind:     by_value
      - .address_space:  global
        .offset:         48
        .size:           8
        .value_kind:     global_buffer
      - .address_space:  global
        .offset:         56
        .size:           8
        .value_kind:     global_buffer
      - .offset:         64
        .size:           1
        .value_kind:     by_value
      - .offset:         65
        .size:           1
        .value_kind:     by_value
    .group_segment_fixed_size: 2816
    .kernarg_segment_align: 8
    .kernarg_segment_size: 68
    .language:       OpenCL C
    .language_version:
      - 2
      - 0
    .max_flat_workgroup_size: 64
    .name:           _ZN7rocprim17ROCPRIM_304000_NS6detail20lookback_scan_kernelILNS1_25lookback_scan_determinismE0ELb0ENS1_19wrapped_scan_configINS0_14default_configEN3c108BFloat16EEEPKS7_PS7_St4plusIS7_ES7_S7_NS1_19lookback_scan_stateIS7_Lb0ELb1EEEEEvT2_T3_mT5_T4_T7_jPT6_SM_bb
    .private_segment_fixed_size: 0
    .sgpr_count:     22
    .sgpr_spill_count: 0
    .symbol:         _ZN7rocprim17ROCPRIM_304000_NS6detail20lookback_scan_kernelILNS1_25lookback_scan_determinismE0ELb0ENS1_19wrapped_scan_configINS0_14default_configEN3c108BFloat16EEEPKS7_PS7_St4plusIS7_ES7_S7_NS1_19lookback_scan_stateIS7_Lb0ELb1EEEEEvT2_T3_mT5_T4_T7_jPT6_SM_bb.kd
    .uniform_work_group_size: 1
    .uses_dynamic_stack: false
    .vgpr_count:     50
    .vgpr_spill_count: 0
    .wavefront_size: 32
    .workgroup_processor_mode: 1
  - .args:
      - .address_space:  global
        .offset:         0
        .size:           8
        .value_kind:     global_buffer
      - .offset:         8
        .size:           8
        .value_kind:     by_value
      - .address_space:  global
        .offset:         16
        .size:           8
        .value_kind:     global_buffer
      - .offset:         24
        .size:           1
        .value_kind:     by_value
      - .offset:         32
        .size:           4
        .value_kind:     hidden_block_count_x
      - .offset:         36
        .size:           4
        .value_kind:     hidden_block_count_y
      - .offset:         40
        .size:           4
        .value_kind:     hidden_block_count_z
      - .offset:         44
        .size:           2
        .value_kind:     hidden_group_size_x
      - .offset:         46
        .size:           2
        .value_kind:     hidden_group_size_y
      - .offset:         48
        .size:           2
        .value_kind:     hidden_group_size_z
      - .offset:         50
        .size:           2
        .value_kind:     hidden_remainder_x
      - .offset:         52
        .size:           2
        .value_kind:     hidden_remainder_y
      - .offset:         54
        .size:           2
        .value_kind:     hidden_remainder_z
      - .offset:         72
        .size:           8
        .value_kind:     hidden_global_offset_x
      - .offset:         80
        .size:           8
        .value_kind:     hidden_global_offset_y
      - .offset:         88
        .size:           8
        .value_kind:     hidden_global_offset_z
      - .offset:         96
        .size:           2
        .value_kind:     hidden_grid_dims
    .group_segment_fixed_size: 0
    .kernarg_segment_align: 8
    .kernarg_segment_size: 288
    .language:       OpenCL C
    .language_version:
      - 2
      - 0
    .max_flat_workgroup_size: 1024
    .name:           _ZN7rocprim17ROCPRIM_304000_NS6detail16transform_kernelINS1_24wrapped_transform_configINS0_14default_configEN3c108BFloat16EEES6_PS6_S8_NS0_8identityIS6_EEEEvT1_mT2_T3_
    .private_segment_fixed_size: 0
    .sgpr_count:     18
    .sgpr_spill_count: 0
    .symbol:         _ZN7rocprim17ROCPRIM_304000_NS6detail16transform_kernelINS1_24wrapped_transform_configINS0_14default_configEN3c108BFloat16EEES6_PS6_S8_NS0_8identityIS6_EEEEvT1_mT2_T3_.kd
    .uniform_work_group_size: 1
    .uses_dynamic_stack: false
    .vgpr_count:     6
    .vgpr_spill_count: 0
    .wavefront_size: 32
    .workgroup_processor_mode: 1
  - .args:
      - .address_space:  global
        .offset:         0
        .size:           8
        .value_kind:     global_buffer
      - .offset:         8
        .size:           8
        .value_kind:     by_value
      - .offset:         16
        .size:           2
        .value_kind:     by_value
      - .address_space:  global
        .offset:         24
        .size:           8
        .value_kind:     global_buffer
      - .offset:         32
        .size:           1
        .value_kind:     by_value
    .group_segment_fixed_size: 2816
    .kernarg_segment_align: 8
    .kernarg_segment_size: 36
    .language:       OpenCL C
    .language_version:
      - 2
      - 0
    .max_flat_workgroup_size: 64
    .name:           _ZN7rocprim17ROCPRIM_304000_NS6detail18single_scan_kernelILb0ENS1_19wrapped_scan_configINS0_14default_configEN3c108BFloat16EEEPKS6_PS6_St4plusIS6_ES6_S6_EEvT1_mT4_T2_T3_
    .private_segment_fixed_size: 0
    .sgpr_count:     28
    .sgpr_spill_count: 0
    .symbol:         _ZN7rocprim17ROCPRIM_304000_NS6detail18single_scan_kernelILb0ENS1_19wrapped_scan_configINS0_14default_configEN3c108BFloat16EEEPKS6_PS6_St4plusIS6_ES6_S6_EEvT1_mT4_T2_T3_.kd
    .uniform_work_group_size: 1
    .uses_dynamic_stack: false
    .vgpr_count:     36
    .vgpr_spill_count: 0
    .wavefront_size: 32
    .workgroup_processor_mode: 1
  - .args:
      - .address_space:  global
        .offset:         0
        .size:           8
        .value_kind:     global_buffer
      - .address_space:  global
        .offset:         8
        .size:           8
        .value_kind:     global_buffer
      - .offset:         16
        .size:           4
        .value_kind:     by_value
      - .offset:         20
        .size:           4
        .value_kind:     by_value
      - .offset:         24
        .size:           4
        .value_kind:     by_value
      - .offset:         28
        .size:           2
        .value_kind:     by_value
      - .offset:         30
        .size:           1
        .value_kind:     by_value
      - .offset:         32
        .size:           4
        .value_kind:     hidden_block_count_x
      - .offset:         36
        .size:           4
        .value_kind:     hidden_block_count_y
      - .offset:         40
        .size:           4
        .value_kind:     hidden_block_count_z
      - .offset:         44
        .size:           2
        .value_kind:     hidden_group_size_x
      - .offset:         46
        .size:           2
        .value_kind:     hidden_group_size_y
      - .offset:         48
        .size:           2
        .value_kind:     hidden_group_size_z
      - .offset:         50
        .size:           2
        .value_kind:     hidden_remainder_x
      - .offset:         52
        .size:           2
        .value_kind:     hidden_remainder_y
      - .offset:         54
        .size:           2
        .value_kind:     hidden_remainder_z
      - .offset:         72
        .size:           8
        .value_kind:     hidden_global_offset_x
      - .offset:         80
        .size:           8
        .value_kind:     hidden_global_offset_y
      - .offset:         88
        .size:           8
        .value_kind:     hidden_global_offset_z
      - .offset:         96
        .size:           2
        .value_kind:     hidden_grid_dims
      - .offset:         152
        .size:           4
        .value_kind:     hidden_dynamic_lds_size
    .group_segment_fixed_size: 0
    .kernarg_segment_align: 8
    .kernarg_segment_size: 288
    .language:       OpenCL C
    .language_version:
      - 2
      - 0
    .max_flat_workgroup_size: 1024
    .name:           _ZN2at6native32tensor_kernel_scan_innermost_dimIN3c108BFloat16ESt4plusIS3_EEEvPT_PKS6_jjjS6_T0_
    .private_segment_fixed_size: 0
    .sgpr_count:     28
    .sgpr_spill_count: 0
    .symbol:         _ZN2at6native32tensor_kernel_scan_innermost_dimIN3c108BFloat16ESt4plusIS3_EEEvPT_PKS6_jjjS6_T0_.kd
    .uniform_work_group_size: 1
    .uses_dynamic_stack: false
    .vgpr_count:     20
    .vgpr_spill_count: 0
    .wavefront_size: 32
    .workgroup_processor_mode: 1
  - .args:
      - .address_space:  global
        .offset:         0
        .size:           8
        .value_kind:     global_buffer
      - .address_space:  global
        .offset:         8
        .size:           8
        .value_kind:     global_buffer
      - .offset:         16
        .size:           4
        .value_kind:     by_value
      - .offset:         20
        .size:           4
        .value_kind:     by_value
      - .offset:         24
        .size:           4
        .value_kind:     by_value
      - .offset:         28
        .size:           2
        .value_kind:     by_value
      - .offset:         30
        .size:           1
        .value_kind:     by_value
      - .offset:         32
        .size:           4
        .value_kind:     hidden_block_count_x
      - .offset:         36
        .size:           4
        .value_kind:     hidden_block_count_y
      - .offset:         40
        .size:           4
        .value_kind:     hidden_block_count_z
      - .offset:         44
        .size:           2
        .value_kind:     hidden_group_size_x
      - .offset:         46
        .size:           2
        .value_kind:     hidden_group_size_y
      - .offset:         48
        .size:           2
        .value_kind:     hidden_group_size_z
      - .offset:         50
        .size:           2
        .value_kind:     hidden_remainder_x
      - .offset:         52
        .size:           2
        .value_kind:     hidden_remainder_y
      - .offset:         54
        .size:           2
        .value_kind:     hidden_remainder_z
      - .offset:         72
        .size:           8
        .value_kind:     hidden_global_offset_x
      - .offset:         80
        .size:           8
        .value_kind:     hidden_global_offset_y
      - .offset:         88
        .size:           8
        .value_kind:     hidden_global_offset_z
      - .offset:         96
        .size:           2
        .value_kind:     hidden_grid_dims
    .group_segment_fixed_size: 0
    .kernarg_segment_align: 8
    .kernarg_segment_size: 288
    .language:       OpenCL C
    .language_version:
      - 2
      - 0
    .max_flat_workgroup_size: 1024
    .name:           _ZN2at6native28tensor_kernel_scan_outer_dimIN3c108BFloat16EjSt4plusIS3_EEEvPT_PKS6_jjjS6_T1_
    .private_segment_fixed_size: 0
    .sgpr_count:     29
    .sgpr_spill_count: 0
    .symbol:         _ZN2at6native28tensor_kernel_scan_outer_dimIN3c108BFloat16EjSt4plusIS3_EEEvPT_PKS6_jjjS6_T1_.kd
    .uniform_work_group_size: 1
    .uses_dynamic_stack: false
    .vgpr_count:     9
    .vgpr_spill_count: 0
    .wavefront_size: 32
    .workgroup_processor_mode: 1
  - .args:
      - .address_space:  global
        .offset:         0
        .size:           8
        .value_kind:     global_buffer
      - .address_space:  global
        .offset:         8
        .size:           8
        .value_kind:     global_buffer
      - .offset:         16
        .size:           4
        .value_kind:     by_value
      - .offset:         20
        .size:           4
        .value_kind:     by_value
      - .offset:         24
        .size:           4
        .value_kind:     by_value
      - .offset:         28
        .size:           2
        .value_kind:     by_value
      - .offset:         30
        .size:           1
        .value_kind:     by_value
      - .offset:         32
        .size:           4
        .value_kind:     hidden_block_count_x
      - .offset:         36
        .size:           4
        .value_kind:     hidden_block_count_y
      - .offset:         40
        .size:           4
        .value_kind:     hidden_block_count_z
      - .offset:         44
        .size:           2
        .value_kind:     hidden_group_size_x
      - .offset:         46
        .size:           2
        .value_kind:     hidden_group_size_y
      - .offset:         48
        .size:           2
        .value_kind:     hidden_group_size_z
      - .offset:         50
        .size:           2
        .value_kind:     hidden_remainder_x
      - .offset:         52
        .size:           2
        .value_kind:     hidden_remainder_y
      - .offset:         54
        .size:           2
        .value_kind:     hidden_remainder_z
      - .offset:         72
        .size:           8
        .value_kind:     hidden_global_offset_x
      - .offset:         80
        .size:           8
        .value_kind:     hidden_global_offset_y
      - .offset:         88
        .size:           8
        .value_kind:     hidden_global_offset_z
      - .offset:         96
        .size:           2
        .value_kind:     hidden_grid_dims
    .group_segment_fixed_size: 0
    .kernarg_segment_align: 8
    .kernarg_segment_size: 288
    .language:       OpenCL C
    .language_version:
      - 2
      - 0
    .max_flat_workgroup_size: 1024
    .name:           _ZN2at6native28tensor_kernel_scan_outer_dimIN3c108BFloat16EmSt4plusIS3_EEEvPT_PKS6_jjjS6_T1_
    .private_segment_fixed_size: 0
    .sgpr_count:     28
    .sgpr_spill_count: 0
    .symbol:         _ZN2at6native28tensor_kernel_scan_outer_dimIN3c108BFloat16EmSt4plusIS3_EEEvPT_PKS6_jjjS6_T1_.kd
    .uniform_work_group_size: 1
    .uses_dynamic_stack: false
    .vgpr_count:     9
    .vgpr_spill_count: 0
    .wavefront_size: 32
    .workgroup_processor_mode: 1
amdhsa.target:   amdgcn-amd-amdhsa--gfx1100
amdhsa.version:
  - 1
  - 2
...

	.end_amdgpu_metadata
